;; amdgpu-corpus repo=vllm-project/vllm kind=compiled arch=gfx1100 opt=O3
	.text
	.amdgcn_target "amdgcn-amd-amdhsa--gfx1100"
	.amdhsa_code_object_version 6
	.section	.text._ZN4vllm39rms_norm_dynamic_per_token_quant_kernelIfN3c1013Float8_e4m3fnELb1EEEvPT0_PfPKT_S8_PKffiiPS6_,"axG",@progbits,_ZN4vllm39rms_norm_dynamic_per_token_quant_kernelIfN3c1013Float8_e4m3fnELb1EEEvPT0_PfPKT_S8_PKffiiPS6_,comdat
	.protected	_ZN4vllm39rms_norm_dynamic_per_token_quant_kernelIfN3c1013Float8_e4m3fnELb1EEEvPT0_PfPKT_S8_PKffiiPS6_ ; -- Begin function _ZN4vllm39rms_norm_dynamic_per_token_quant_kernelIfN3c1013Float8_e4m3fnELb1EEEvPT0_PfPKT_S8_PKffiiPS6_
	.globl	_ZN4vllm39rms_norm_dynamic_per_token_quant_kernelIfN3c1013Float8_e4m3fnELb1EEEvPT0_PfPKT_S8_PKffiiPS6_
	.p2align	8
	.type	_ZN4vllm39rms_norm_dynamic_per_token_quant_kernelIfN3c1013Float8_e4m3fnELb1EEEvPT0_PfPKT_S8_PKffiiPS6_,@function
_ZN4vllm39rms_norm_dynamic_per_token_quant_kernelIfN3c1013Float8_e4m3fnELb1EEEvPT0_PfPKT_S8_PKffiiPS6_: ; @_ZN4vllm39rms_norm_dynamic_per_token_quant_kernelIfN3c1013Float8_e4m3fnELb1EEEvPT0_PfPKT_S8_PKffiiPS6_
; %bb.0:
	s_mov_b32 s24, s15
	s_clause 0x3
	s_load_b128 s[20:23], s[0:1], 0x28
	s_load_b64 s[26:27], s[0:1], 0x20
	s_load_b256 s[12:19], s[0:1], 0x0
	s_load_b64 s[28:29], s[0:1], 0x38
	s_waitcnt lgkmcnt(0)
	s_or_b32 s2, s22, s21
	s_delay_alu instid0(SALU_CYCLE_1) | instskip(NEXT) | instid1(SALU_CYCLE_1)
	s_and_b32 s2, s2, 3
	s_cmp_lg_u32 s2, 0
	s_cbranch_scc0 .LBB0_37
; %bb.1:
	v_cmp_gt_u32_e64 s2, s21, v0
	v_cmp_le_u32_e64 s3, s21, v0
                                        ; implicit-def: $sgpr7
                                        ; implicit-def: $sgpr4_sgpr5
	s_delay_alu instid0(VALU_DEP_1) | instskip(NEXT) | instid1(SALU_CYCLE_1)
	s_and_saveexec_b32 s6, s3
	s_xor_b32 s6, exec_lo, s6
; %bb.2:
	s_add_u32 s4, s0, 64
	s_addc_u32 s5, s1, 0
	s_mov_b32 s7, 0
; %bb.3:
	s_or_saveexec_b32 s6, s6
	v_mov_b32_e32 v1, s4
	v_dual_mov_b32 v5, s7 :: v_dual_mov_b32 v2, s5
	v_mov_b32_e32 v3, s24
	s_xor_b32 exec_lo, exec_lo, s6
	s_cbranch_execz .LBB0_7
; %bb.4:
	s_load_b32 s23, s[0:1], 0x4c
	s_ashr_i32 s5, s22, 31
	s_ashr_i32 s4, s21, 31
	s_mul_hi_u32 s8, s22, s24
	s_mul_i32 s5, s5, s24
	s_mul_i32 s9, s4, s24
	s_add_i32 s5, s8, s5
	s_mul_i32 s4, s22, s24
	s_mul_hi_u32 s7, s21, s24
	s_lshl_b64 s[4:5], s[4:5], 2
	s_add_i32 s11, s7, s9
	s_mul_i32 s10, s21, s24
	s_add_u32 s7, s16, s4
	s_addc_u32 s8, s17, s5
	s_lshl_b64 s[4:5], s[10:11], 2
	v_dual_mov_b32 v2, 0 :: v_dual_mov_b32 v5, 0
	s_add_u32 s9, s28, s4
	v_mov_b32_e32 v1, v0
	s_addc_u32 s10, s29, s5
	s_add_u32 s4, s0, 64
	s_addc_u32 s5, s1, 0
	s_waitcnt lgkmcnt(0)
	s_and_b32 s23, s23, 0xffff
	s_mov_b32 s11, 0
	.p2align	6
.LBB0_5:                                ; =>This Inner Loop Header: Depth=1
	v_lshlrev_b64 v[3:4], 2, v[1:2]
	v_add_nc_u32_e32 v1, s23, v1
	s_delay_alu instid0(VALU_DEP_2) | instskip(NEXT) | instid1(VALU_DEP_3)
	v_add_co_u32 v6, vcc_lo, s7, v3
	v_add_co_ci_u32_e32 v7, vcc_lo, s8, v4, vcc_lo
	v_add_co_u32 v3, vcc_lo, s9, v3
	v_add_co_ci_u32_e32 v4, vcc_lo, s10, v4, vcc_lo
	v_cmp_le_u32_e32 vcc_lo, s21, v1
	global_load_b32 v6, v[6:7], off
	global_load_b32 v3, v[3:4], off
	s_or_b32 s11, vcc_lo, s11
	s_waitcnt vmcnt(0)
	v_add_f32_e32 v3, v6, v3
	s_delay_alu instid0(VALU_DEP_1)
	v_fmac_f32_e32 v5, v3, v3
	s_and_not1_b32 exec_lo, exec_lo, s11
	s_cbranch_execnz .LBB0_5
; %bb.6:
	s_or_b32 exec_lo, exec_lo, s11
	v_dual_mov_b32 v1, s4 :: v_dual_mov_b32 v2, s5
	v_mov_b32_e32 v3, s24
.LBB0_7:
	s_or_b32 exec_lo, exec_lo, s6
	global_load_b32 v4, v[1:2], off
	v_and_b32_e32 v14, 0x3e0, v0
	s_waitcnt vmcnt(0)
	v_cmp_lt_u32_e32 vcc_lo, v3, v4
	v_cndmask_b32_e64 v3, 18, 12, vcc_lo
	s_delay_alu instid0(VALU_DEP_1) | instskip(SKIP_3) | instid1(VALU_DEP_1)
	v_add_co_u32 v1, vcc_lo, v1, v3
	v_add_co_ci_u32_e32 v2, vcc_lo, 0, v2, vcc_lo
	global_load_u16 v1, v[1:2], off
	v_mbcnt_lo_u32_b32 v2, -1, 0
	v_cmp_ne_u32_e32 vcc_lo, 31, v2
	v_cmp_eq_u32_e64 s5, 0, v2
	v_add_co_ci_u32_e32 v3, vcc_lo, 0, v2, vcc_lo
	v_cmp_gt_u32_e32 vcc_lo, 30, v2
	s_delay_alu instid0(VALU_DEP_2)
	v_lshlrev_b32_e32 v3, 2, v3
	v_cndmask_b32_e64 v7, 0, 1, vcc_lo
	ds_bpermute_b32 v6, v3, v5
	s_waitcnt lgkmcnt(0)
	v_dual_add_f32 v8, v5, v6 :: v_dual_lshlrev_b32 v7, 1, v7
	v_add_nc_u32_e32 v4, 1, v2
	s_delay_alu instid0(VALU_DEP_2) | instskip(SKIP_2) | instid1(VALU_DEP_1)
	v_add_lshl_u32 v6, v7, v2, 2
	s_waitcnt vmcnt(0)
	v_sub_nc_u32_e64 v15, v1, v14 clamp
	v_cmp_lt_u32_e32 vcc_lo, v4, v15
	v_cndmask_b32_e32 v5, v5, v8, vcc_lo
	v_cmp_gt_u32_e32 vcc_lo, 28, v2
	ds_bpermute_b32 v7, v6, v5
	v_cndmask_b32_e64 v8, 0, 1, vcc_lo
	s_delay_alu instid0(VALU_DEP_1) | instskip(SKIP_1) | instid1(VALU_DEP_1)
	v_lshlrev_b32_e32 v9, 2, v8
	v_add_nc_u32_e32 v8, 2, v2
	v_cmp_lt_u32_e32 vcc_lo, v8, v15
	s_waitcnt lgkmcnt(0)
	v_add_f32_e32 v10, v5, v7
	v_add_lshl_u32 v7, v9, v2, 2
	s_delay_alu instid0(VALU_DEP_2) | instskip(SKIP_3) | instid1(VALU_DEP_1)
	v_cndmask_b32_e32 v5, v5, v10, vcc_lo
	v_cmp_gt_u32_e32 vcc_lo, 24, v2
	ds_bpermute_b32 v9, v7, v5
	v_cndmask_b32_e64 v10, 0, 1, vcc_lo
	v_lshlrev_b32_e32 v11, 3, v10
	v_add_nc_u32_e32 v10, 4, v2
	s_delay_alu instid0(VALU_DEP_1) | instskip(SKIP_3) | instid1(VALU_DEP_2)
	v_cmp_lt_u32_e32 vcc_lo, v10, v15
	s_waitcnt lgkmcnt(0)
	v_add_f32_e32 v12, v5, v9
	v_add_lshl_u32 v9, v11, v2, 2
	v_cndmask_b32_e32 v5, v5, v12, vcc_lo
	v_cmp_gt_u32_e32 vcc_lo, 16, v2
	ds_bpermute_b32 v11, v9, v5
	v_cndmask_b32_e64 v12, 0, 1, vcc_lo
	s_delay_alu instid0(VALU_DEP_1) | instskip(SKIP_1) | instid1(VALU_DEP_1)
	v_lshlrev_b32_e32 v13, 4, v12
	v_add_nc_u32_e32 v12, 8, v2
	v_cmp_lt_u32_e32 vcc_lo, v12, v15
	s_waitcnt lgkmcnt(0)
	v_add_f32_e32 v16, v5, v11
	v_add_lshl_u32 v11, v13, v2, 2
	v_add_nc_u32_e32 v13, 16, v2
	s_delay_alu instid0(VALU_DEP_3) | instskip(NEXT) | instid1(VALU_DEP_2)
	v_cndmask_b32_e32 v5, v5, v16, vcc_lo
	v_cmp_lt_u32_e32 vcc_lo, v13, v15
	ds_bpermute_b32 v16, v11, v5
	s_waitcnt lgkmcnt(0)
	v_add_f32_e32 v16, v5, v16
	s_delay_alu instid0(VALU_DEP_1)
	v_cndmask_b32_e32 v5, v5, v16, vcc_lo
	s_and_saveexec_b32 s4, s5
	s_cbranch_execz .LBB0_9
; %bb.8:
	v_lshrrev_b32_e32 v15, 3, v0
	s_delay_alu instid0(VALU_DEP_1)
	v_and_b32_e32 v15, 0x7c, v15
	ds_store_b32 v15, v5 offset:256
.LBB0_9:
	s_or_b32 exec_lo, exec_lo, s4
	v_cmp_gt_u32_e64 s6, 32, v0
	v_lshlrev_b32_e32 v15, 2, v2
	s_waitcnt lgkmcnt(0)
	s_barrier
	buffer_gl0_inv
	s_and_saveexec_b32 s4, s6
	s_cbranch_execz .LBB0_11
; %bb.10:
	ds_load_b32 v2, v15 offset:256
	v_add_nc_u32_e32 v1, 31, v1
	s_delay_alu instid0(VALU_DEP_1) | instskip(NEXT) | instid1(VALU_DEP_1)
	v_lshrrev_b32_e32 v1, 5, v1
	v_cmp_lt_u32_e32 vcc_lo, v4, v1
	s_waitcnt lgkmcnt(0)
	ds_bpermute_b32 v5, v3, v2
	s_waitcnt lgkmcnt(0)
	v_add_f32_e32 v5, v2, v5
	s_delay_alu instid0(VALU_DEP_1) | instskip(SKIP_4) | instid1(VALU_DEP_1)
	v_cndmask_b32_e32 v2, v2, v5, vcc_lo
	v_cmp_lt_u32_e32 vcc_lo, v8, v1
	ds_bpermute_b32 v5, v6, v2
	s_waitcnt lgkmcnt(0)
	v_add_f32_e32 v5, v2, v5
	v_cndmask_b32_e32 v2, v2, v5, vcc_lo
	v_cmp_lt_u32_e32 vcc_lo, v10, v1
	ds_bpermute_b32 v5, v7, v2
	s_waitcnt lgkmcnt(0)
	v_add_f32_e32 v5, v2, v5
	s_delay_alu instid0(VALU_DEP_1) | instskip(SKIP_4) | instid1(VALU_DEP_1)
	v_cndmask_b32_e32 v2, v2, v5, vcc_lo
	v_cmp_lt_u32_e32 vcc_lo, v12, v1
	ds_bpermute_b32 v5, v9, v2
	s_waitcnt lgkmcnt(0)
	v_add_f32_e32 v5, v2, v5
	v_cndmask_b32_e32 v2, v2, v5, vcc_lo
	v_cmp_lt_u32_e32 vcc_lo, v13, v1
	ds_bpermute_b32 v5, v11, v2
	s_waitcnt lgkmcnt(0)
	v_add_f32_e32 v5, v2, v5
	s_delay_alu instid0(VALU_DEP_1)
	v_cndmask_b32_e32 v5, v2, v5, vcc_lo
.LBB0_11:
	s_or_b32 exec_lo, exec_lo, s4
	v_cmp_eq_u32_e64 s4, 0, v0
	s_mov_b32 s25, 0
	s_delay_alu instid0(VALU_DEP_1)
	s_and_saveexec_b32 s7, s4
	s_cbranch_execz .LBB0_13
; %bb.12:
	v_cvt_f32_i32_e32 v1, s21
	s_delay_alu instid0(VALU_DEP_1) | instskip(SKIP_1) | instid1(VALU_DEP_2)
	v_div_scale_f32 v2, null, v1, v1, v5
	v_div_scale_f32 v18, vcc_lo, v5, v1, v5
	v_rcp_f32_e32 v16, v2
	s_waitcnt_depctr 0xfff
	v_fma_f32 v17, -v2, v16, 1.0
	s_delay_alu instid0(VALU_DEP_1) | instskip(NEXT) | instid1(VALU_DEP_1)
	v_fmac_f32_e32 v16, v17, v16
	v_mul_f32_e32 v17, v18, v16
	s_delay_alu instid0(VALU_DEP_1) | instskip(NEXT) | instid1(VALU_DEP_1)
	v_fma_f32 v19, -v2, v17, v18
	v_fmac_f32_e32 v17, v19, v16
	s_delay_alu instid0(VALU_DEP_1) | instskip(NEXT) | instid1(VALU_DEP_1)
	v_fma_f32 v2, -v2, v17, v18
	v_div_fmas_f32 v2, v2, v16, v17
	s_delay_alu instid0(VALU_DEP_1) | instskip(NEXT) | instid1(VALU_DEP_1)
	v_div_fixup_f32 v1, v2, v1, v5
	v_add_f32_e32 v1, s20, v1
	s_delay_alu instid0(VALU_DEP_1) | instskip(SKIP_1) | instid1(VALU_DEP_2)
	v_mul_f32_e32 v2, 0x4b800000, v1
	v_cmp_gt_f32_e32 vcc_lo, 0x800000, v1
	v_cndmask_b32_e32 v1, v1, v2, vcc_lo
	s_delay_alu instid0(VALU_DEP_1) | instskip(SKIP_2) | instid1(VALU_DEP_1)
	v_rsq_f32_e32 v1, v1
	s_waitcnt_depctr 0xfff
	v_mul_f32_e32 v2, 0x45800000, v1
	v_dual_cndmask_b32 v1, v1, v2 :: v_dual_mov_b32 v2, 0
	ds_store_b32 v2, v1 offset:520
.LBB0_13:
	s_or_b32 exec_lo, exec_lo, s7
	v_mov_b32_e32 v1, 0
	s_waitcnt lgkmcnt(0)
	s_barrier
	buffer_gl0_inv
                                        ; implicit-def: $sgpr7
                                        ; implicit-def: $sgpr8_sgpr9
	ds_load_b32 v5, v1 offset:520
	s_waitcnt lgkmcnt(0)
	s_barrier
	buffer_gl0_inv
	s_and_saveexec_b32 s10, s3
	s_delay_alu instid0(SALU_CYCLE_1)
	s_xor_b32 s3, exec_lo, s10
; %bb.14:
	s_add_u32 s8, s0, 64
	s_addc_u32 s9, s1, 0
	s_mov_b32 s7, 0
; %bb.15:
	s_or_saveexec_b32 s3, s3
	v_dual_mov_b32 v16, s7 :: v_dual_mov_b32 v1, s8
	v_mov_b32_e32 v2, s9
	s_mul_hi_u32 s11, s21, s24
	s_mul_i32 s30, s21, s24
	s_mul_hi_u32 s23, s22, s24
	s_mul_i32 s34, s22, s24
	s_xor_b32 exec_lo, exec_lo, s3
	s_cbranch_execz .LBB0_19
; %bb.16:
	s_load_b32 s36, s[0:1], 0x4c
	s_ashr_i32 s8, s22, 31
	s_ashr_i32 s7, s21, 31
	s_mul_i32 s8, s8, s24
	s_mul_i32 s7, s7, s24
	s_add_i32 s35, s23, s8
	s_add_i32 s31, s11, s7
	s_lshl_b64 s[8:9], s[34:35], 2
	v_dual_mov_b32 v2, 0 :: v_dual_mov_b32 v1, v0
	s_add_u32 s7, s16, s8
	s_addc_u32 s10, s17, s9
	s_lshl_b64 s[8:9], s[30:31], 2
	v_mov_b32_e32 v16, 0
	s_add_u32 s31, s28, s8
	s_addc_u32 s33, s29, s9
	s_add_u32 s8, s0, 64
	s_addc_u32 s9, s1, 0
	s_mov_b32 s35, 0
	s_waitcnt lgkmcnt(0)
	s_and_b32 s36, s36, 0xffff
	.p2align	6
.LBB0_17:                               ; =>This Inner Loop Header: Depth=1
	v_lshlrev_b64 v[17:18], 2, v[1:2]
	v_add_nc_u32_e32 v1, s36, v1
	s_delay_alu instid0(VALU_DEP_2) | instskip(NEXT) | instid1(VALU_DEP_3)
	v_add_co_u32 v19, vcc_lo, s7, v17
	v_add_co_ci_u32_e32 v20, vcc_lo, s10, v18, vcc_lo
	v_add_co_u32 v21, vcc_lo, s31, v17
	v_add_co_ci_u32_e32 v22, vcc_lo, s33, v18, vcc_lo
	global_load_b32 v19, v[19:20], off
	global_load_b32 v20, v[21:22], off
	v_add_co_u32 v17, vcc_lo, s18, v17
	v_add_co_ci_u32_e32 v18, vcc_lo, s19, v18, vcc_lo
	v_cmp_le_u32_e32 vcc_lo, s21, v1
	global_load_b32 v17, v[17:18], off
	s_or_b32 s35, vcc_lo, s35
	s_waitcnt vmcnt(1)
	v_add_f32_e32 v18, v19, v20
	s_delay_alu instid0(VALU_DEP_1) | instskip(SKIP_1) | instid1(VALU_DEP_1)
	v_mul_f32_e32 v18, v5, v18
	s_waitcnt vmcnt(0)
	v_dual_max_f32 v16, v16, v16 :: v_dual_mul_f32 v17, v17, v18
	s_delay_alu instid0(VALU_DEP_1)
	v_max_f32_e64 v16, v16, |v17|
	s_and_not1_b32 exec_lo, exec_lo, s35
	s_cbranch_execnz .LBB0_17
; %bb.18:
	s_or_b32 exec_lo, exec_lo, s35
	v_dual_mov_b32 v1, s8 :: v_dual_mov_b32 v2, s9
.LBB0_19:
	s_or_b32 exec_lo, exec_lo, s3
	global_load_b32 v17, v[1:2], off
	s_waitcnt vmcnt(0)
	v_cmp_lt_u32_e32 vcc_lo, s24, v17
	v_cndmask_b32_e64 v17, 18, 12, vcc_lo
	s_delay_alu instid0(VALU_DEP_1)
	v_add_co_u32 v1, vcc_lo, v1, v17
	v_add_co_ci_u32_e32 v2, vcc_lo, 0, v2, vcc_lo
	global_load_u16 v1, v[1:2], off
	ds_bpermute_b32 v2, v3, v16
	s_waitcnt lgkmcnt(0)
	v_cmp_lt_f32_e32 vcc_lo, v16, v2
	v_cndmask_b32_e32 v2, v16, v2, vcc_lo
	s_waitcnt vmcnt(0)
	v_sub_nc_u32_e64 v14, v1, v14 clamp
	s_delay_alu instid0(VALU_DEP_1)
	v_cmp_lt_u32_e32 vcc_lo, v4, v14
	v_cmp_lt_u32_e64 s9, v13, v14
	v_cndmask_b32_e32 v2, v16, v2, vcc_lo
	ds_bpermute_b32 v17, v6, v2
	s_waitcnt lgkmcnt(0)
	v_cmp_lt_f32_e64 s3, v2, v17
	s_delay_alu instid0(VALU_DEP_1) | instskip(SKIP_1) | instid1(VALU_DEP_1)
	v_cndmask_b32_e64 v17, v2, v17, s3
	v_cmp_lt_u32_e64 s3, v8, v14
	v_cndmask_b32_e64 v2, v2, v17, s3
	s_or_b32 s3, vcc_lo, s3
	ds_bpermute_b32 v17, v7, v2
	s_waitcnt lgkmcnt(0)
	v_cmp_lt_f32_e64 s7, v2, v17
	s_delay_alu instid0(VALU_DEP_1) | instskip(SKIP_1) | instid1(VALU_DEP_1)
	v_cndmask_b32_e64 v17, v2, v17, s7
	v_cmp_lt_u32_e64 s7, v10, v14
	v_cndmask_b32_e64 v2, v2, v17, s7
	s_or_b32 s3, s7, s3
	ds_bpermute_b32 v17, v9, v2
	s_waitcnt lgkmcnt(0)
	v_cmp_lt_f32_e64 s8, v2, v17
	s_delay_alu instid0(VALU_DEP_1) | instskip(SKIP_1) | instid1(VALU_DEP_1)
	v_cndmask_b32_e64 v17, v2, v17, s8
	v_cmp_lt_u32_e64 s8, v12, v14
	v_cndmask_b32_e64 v2, v2, v17, s8
	s_or_b32 s3, s8, s3
	ds_bpermute_b32 v17, v11, v2
	s_waitcnt lgkmcnt(0)
	v_cmp_lt_f32_e64 s10, v2, v17
	s_delay_alu instid0(VALU_DEP_1) | instskip(SKIP_2) | instid1(VALU_DEP_1)
	s_and_b32 vcc_lo, s9, s10
	v_cndmask_b32_e32 v2, v2, v17, vcc_lo
	s_or_b32 vcc_lo, s9, s3
	v_cndmask_b32_e32 v2, v16, v2, vcc_lo
	s_and_saveexec_b32 s3, s5
	s_cbranch_execz .LBB0_21
; %bb.20:
	v_lshrrev_b32_e32 v14, 3, v0
	s_delay_alu instid0(VALU_DEP_1)
	v_and_b32_e32 v14, 0x7c, v14
	ds_store_b32 v14, v2 offset:384
.LBB0_21:
	s_or_b32 exec_lo, exec_lo, s3
	s_waitcnt lgkmcnt(0)
	s_barrier
	buffer_gl0_inv
	s_and_saveexec_b32 s9, s6
	s_cbranch_execz .LBB0_23
; %bb.22:
	ds_load_b32 v2, v15 offset:384
	v_add_nc_u32_e32 v1, 31, v1
	s_delay_alu instid0(VALU_DEP_1) | instskip(NEXT) | instid1(VALU_DEP_1)
	v_lshrrev_b32_e32 v1, 5, v1
	v_cmp_lt_u32_e64 s7, v13, v1
	s_waitcnt lgkmcnt(0)
	ds_bpermute_b32 v3, v3, v2
	s_waitcnt lgkmcnt(0)
	v_cmp_lt_f32_e32 vcc_lo, v2, v3
	v_cndmask_b32_e32 v3, v2, v3, vcc_lo
	v_cmp_lt_u32_e32 vcc_lo, v4, v1
	s_delay_alu instid0(VALU_DEP_2) | instskip(SKIP_3) | instid1(VALU_DEP_1)
	v_cndmask_b32_e32 v3, v2, v3, vcc_lo
	ds_bpermute_b32 v4, v6, v3
	s_waitcnt lgkmcnt(0)
	v_cmp_lt_f32_e64 s3, v3, v4
	v_cndmask_b32_e64 v4, v3, v4, s3
	v_cmp_lt_u32_e64 s3, v8, v1
	s_delay_alu instid0(VALU_DEP_1) | instskip(SKIP_4) | instid1(VALU_DEP_1)
	v_cndmask_b32_e64 v3, v3, v4, s3
	s_or_b32 s3, vcc_lo, s3
	ds_bpermute_b32 v4, v7, v3
	s_waitcnt lgkmcnt(0)
	v_cmp_lt_f32_e64 s5, v3, v4
	v_cndmask_b32_e64 v4, v3, v4, s5
	v_cmp_lt_u32_e64 s5, v10, v1
	s_delay_alu instid0(VALU_DEP_1) | instskip(SKIP_4) | instid1(VALU_DEP_1)
	v_cndmask_b32_e64 v3, v3, v4, s5
	s_or_b32 s3, s5, s3
	ds_bpermute_b32 v4, v9, v3
	s_waitcnt lgkmcnt(0)
	v_cmp_lt_f32_e64 s6, v3, v4
	v_cndmask_b32_e64 v4, v3, v4, s6
	v_cmp_lt_u32_e64 s6, v12, v1
	s_delay_alu instid0(VALU_DEP_1) | instskip(SKIP_4) | instid1(VALU_DEP_1)
	v_cndmask_b32_e64 v3, v3, v4, s6
	s_or_b32 s3, s6, s3
	ds_bpermute_b32 v4, v11, v3
	s_waitcnt lgkmcnt(0)
	v_cmp_lt_f32_e64 s8, v3, v4
	s_and_b32 vcc_lo, s7, s8
	v_cndmask_b32_e32 v1, v3, v4, vcc_lo
	s_or_b32 vcc_lo, s7, s3
	s_delay_alu instid0(VALU_DEP_1)
	v_cndmask_b32_e32 v2, v2, v1, vcc_lo
.LBB0_23:
	s_or_b32 exec_lo, exec_lo, s9
	s_and_saveexec_b32 s3, s4
	s_cbranch_execz .LBB0_27
; %bb.24:
	s_cmp_eq_u64 s[26:27], 0
	s_cbranch_scc1 .LBB0_26
; %bb.25:
	s_load_b32 s4, s[26:27], 0x0
	v_max_f32_e32 v1, v2, v2
	s_waitcnt lgkmcnt(0)
	v_max_f32_e64 v2, s4, s4
	s_delay_alu instid0(VALU_DEP_1)
	v_min_f32_e32 v2, v1, v2
.LBB0_26:
	s_delay_alu instid0(VALU_DEP_1) | instskip(SKIP_2) | instid1(VALU_DEP_2)
	v_div_scale_f32 v1, null, 0x43e00000, 0x43e00000, v2
	v_div_scale_f32 v6, vcc_lo, v2, 0x43e00000, v2
	s_lshl_b64 s[4:5], s[24:25], 2
	v_rcp_f32_e32 v3, v1
	s_add_u32 s4, s14, s4
	s_addc_u32 s5, s15, s5
	s_waitcnt_depctr 0xfff
	v_fma_f32 v4, -v1, v3, 1.0
	s_delay_alu instid0(VALU_DEP_1) | instskip(NEXT) | instid1(VALU_DEP_1)
	v_fmac_f32_e32 v3, v4, v3
	v_mul_f32_e32 v4, v6, v3
	s_delay_alu instid0(VALU_DEP_1) | instskip(NEXT) | instid1(VALU_DEP_1)
	v_fma_f32 v7, -v1, v4, v6
	v_fmac_f32_e32 v4, v7, v3
	s_delay_alu instid0(VALU_DEP_1) | instskip(NEXT) | instid1(VALU_DEP_1)
	v_fma_f32 v1, -v1, v4, v6
	v_div_fmas_f32 v1, v1, v3, v4
	s_delay_alu instid0(VALU_DEP_1) | instskip(NEXT) | instid1(VALU_DEP_1)
	v_div_fixup_f32 v1, v1, 0x43e00000, v2
	v_dual_mov_b32 v2, 0 :: v_dual_max_f32 v1, 0x36924925, v1
	ds_store_b32 v2, v1 offset:524
	global_store_b32 v2, v1, s[4:5]
.LBB0_27:
	s_or_b32 exec_lo, exec_lo, s3
	s_waitcnt lgkmcnt(0)
	s_waitcnt_vscnt null, 0x0
	s_barrier
	buffer_gl0_inv
	s_and_saveexec_b32 s3, s2
	s_cbranch_execz .LBB0_36
; %bb.28:
	v_dual_mov_b32 v2, 0 :: v_dual_mov_b32 v1, v0
	s_load_b32 s2, s[0:1], 0x4c
	s_ashr_i32 s4, s22, 31
	s_ashr_i32 s5, s21, 31
	ds_load_b32 v6, v2 offset:524
	s_mul_i32 s4, s4, s24
	s_mul_i32 s5, s5, s24
	s_add_i32 s35, s23, s4
	s_add_i32 s4, s11, s5
	s_lshl_b64 s[6:7], s[34:35], 2
	s_mov_b32 s8, 0
	s_add_u32 s5, s16, s6
	s_addc_u32 s6, s17, s7
	s_mov_b32 s9, 0x43e00000
	s_waitcnt lgkmcnt(0)
	s_and_b32 s7, s2, 0xffff
	s_branch .LBB0_31
.LBB0_29:                               ;   in Loop: Header=BB0_31 Depth=1
	s_or_b32 exec_lo, exec_lo, s10
.LBB0_30:                               ;   in Loop: Header=BB0_31 Depth=1
	s_delay_alu instid0(SALU_CYCLE_1) | instskip(SKIP_3) | instid1(VALU_DEP_1)
	s_or_b32 exec_lo, exec_lo, s2
	v_add_nc_u32_e32 v1, s7, v1
	v_lshrrev_b32_e32 v7, 24, v7
	v_add_co_u32 v3, s2, s12, v3
	v_add_co_ci_u32_e64 v4, s2, s13, v4, s2
	s_delay_alu instid0(VALU_DEP_4) | instskip(NEXT) | instid1(VALU_DEP_4)
	v_cmp_le_u32_e32 vcc_lo, s21, v1
	v_and_or_b32 v7, 0x80, v7, v8
	s_or_b32 s8, vcc_lo, s8
	global_store_b8 v[3:4], v7, off
	s_and_not1_b32 exec_lo, exec_lo, s8
	s_cbranch_execz .LBB0_36
.LBB0_31:                               ; =>This Inner Loop Header: Depth=1
	v_add_co_u32 v3, s2, s30, v1
	s_delay_alu instid0(VALU_DEP_1) | instskip(SKIP_2) | instid1(VALU_DEP_2)
	v_add_co_ci_u32_e64 v4, null, s4, 0, s2
	v_lshlrev_b64 v[7:8], 2, v[1:2]
	s_mov_b32 s2, exec_lo
	v_lshlrev_b64 v[9:10], 2, v[3:4]
	s_delay_alu instid0(VALU_DEP_2) | instskip(NEXT) | instid1(VALU_DEP_3)
	v_add_co_u32 v11, vcc_lo, s5, v7
	v_add_co_ci_u32_e32 v12, vcc_lo, s6, v8, vcc_lo
	s_delay_alu instid0(VALU_DEP_3) | instskip(NEXT) | instid1(VALU_DEP_4)
	v_add_co_u32 v13, vcc_lo, s28, v9
	v_add_co_ci_u32_e32 v14, vcc_lo, s29, v10, vcc_lo
	v_add_co_u32 v7, vcc_lo, s18, v7
	global_load_b32 v9, v[11:12], off
	global_load_b32 v10, v[13:14], off
	v_add_co_ci_u32_e32 v8, vcc_lo, s19, v8, vcc_lo
	global_load_b32 v7, v[7:8], off
	s_waitcnt vmcnt(1)
	v_add_f32_e32 v10, v9, v10
	s_delay_alu instid0(VALU_DEP_1) | instskip(SKIP_1) | instid1(VALU_DEP_1)
	v_mul_f32_e32 v8, v5, v10
	s_waitcnt vmcnt(0)
	v_mul_f32_e32 v7, v8, v7
	global_store_b32 v[13:14], v10, off
	v_div_scale_f32 v8, null, v6, v6, v7
	v_div_scale_f32 v12, vcc_lo, v7, v6, v7
	s_delay_alu instid0(VALU_DEP_2) | instskip(SKIP_2) | instid1(VALU_DEP_1)
	v_rcp_f32_e32 v9, v8
	s_waitcnt_depctr 0xfff
	v_fma_f32 v11, -v8, v9, 1.0
	v_fmac_f32_e32 v9, v11, v9
	s_delay_alu instid0(VALU_DEP_1) | instskip(NEXT) | instid1(VALU_DEP_1)
	v_mul_f32_e32 v11, v12, v9
	v_fma_f32 v15, -v8, v11, v12
	s_delay_alu instid0(VALU_DEP_1) | instskip(NEXT) | instid1(VALU_DEP_1)
	v_fmac_f32_e32 v11, v15, v9
	v_fma_f32 v8, -v8, v11, v12
	s_delay_alu instid0(VALU_DEP_1) | instskip(NEXT) | instid1(VALU_DEP_1)
	v_div_fmas_f32 v8, v8, v9, v11
	v_div_fixup_f32 v7, v8, v6, v7
	v_mov_b32_e32 v8, 0x7f
	s_delay_alu instid0(VALU_DEP_2) | instskip(NEXT) | instid1(VALU_DEP_1)
	v_minmax_f32 v7, v7, s9, 0xc3e00000
	v_and_b32_e32 v9, 0x7fffffff, v7
	s_delay_alu instid0(VALU_DEP_1)
	v_cmpx_gt_u32_e32 0x43f00000, v9
	s_cbranch_execz .LBB0_30
; %bb.32:                               ;   in Loop: Header=BB0_31 Depth=1
	s_mov_b32 s10, exec_lo
                                        ; implicit-def: $vgpr8
	v_cmpx_lt_u32_e32 0x3c7fffff, v9
	s_xor_b32 s10, exec_lo, s10
; %bb.33:                               ;   in Loop: Header=BB0_31 Depth=1
	v_bfe_u32 v8, v7, 20, 1
	s_delay_alu instid0(VALU_DEP_1) | instskip(NEXT) | instid1(VALU_DEP_1)
	v_add3_u32 v8, v7, v8, 0x407ffff
	v_lshrrev_b32_e32 v8, 20, v8
; %bb.34:                               ;   in Loop: Header=BB0_31 Depth=1
	s_and_not1_saveexec_b32 s10, s10
	s_cbranch_execz .LBB0_29
; %bb.35:                               ;   in Loop: Header=BB0_31 Depth=1
	v_add_f32_e64 v8, 0x46800000, |v7|
	s_branch .LBB0_29
.LBB0_36:
	s_or_b32 exec_lo, exec_lo, s3
	s_branch .LBB0_177
.LBB0_37:
	s_cbranch_execz .LBB0_177
; %bb.38:
	s_ashr_i32 s2, s22, 31
	s_mul_hi_u32 s3, s22, s24
	s_mul_i32 s2, s2, s24
	s_ashr_i32 s4, s21, 31
	s_add_i32 s5, s3, s2
	s_load_b32 s3, s[0:1], 0x40
	s_mul_i32 s6, s4, s24
	s_mul_i32 s4, s22, s24
	s_mul_hi_u32 s2, s21, s24
	s_lshl_b64 s[4:5], s[4:5], 2
	s_add_i32 s11, s2, s6
	s_mul_i32 s10, s21, s24
	s_add_u32 s9, s16, s4
	s_addc_u32 s16, s17, s5
	s_lshl_b64 s[4:5], s[10:11], 2
	v_mov_b32_e32 v10, 0
	s_add_u32 s17, s28, s4
	s_addc_u32 s22, s29, s5
	s_ashr_i32 s23, s21, 2
	s_add_u32 s0, s0, 64
	v_cmp_gt_u32_e64 s2, s23, v0
	s_mov_b32 s25, 0
	s_addc_u32 s1, s1, 0
	s_delay_alu instid0(VALU_DEP_1)
	s_and_saveexec_b32 s4, s2
	s_cbranch_execz .LBB0_48
; %bb.39:
	s_waitcnt lgkmcnt(0)
	s_cmp_lt_u32 s24, s3
	v_mov_b32_e32 v2, 0
	s_cselect_b32 s5, 12, 18
	v_mov_b32_e32 v1, v0
	s_add_u32 s6, s0, s5
	s_addc_u32 s7, s1, 0
	s_mov_b32 s5, s25
	global_load_u16 v6, v2, s[6:7]
                                        ; implicit-def: $sgpr6
	s_waitcnt vmcnt(0)
	v_add_nc_u32_e32 v9, v6, v6
	v_mul_lo_u32 v7, v6, 3
	v_lshlrev_b32_e32 v8, 1, v6
	v_mov_b32_e32 v10, v2
	s_branch .LBB0_43
.LBB0_40:                               ;   in Loop: Header=BB0_43 Depth=1
	s_or_b32 exec_lo, exec_lo, s28
	s_delay_alu instid0(SALU_CYCLE_1)
	s_or_not1_b32 s28, s29, exec_lo
.LBB0_41:                               ;   in Loop: Header=BB0_43 Depth=1
	s_or_b32 exec_lo, exec_lo, s8
	s_delay_alu instid0(SALU_CYCLE_1) | instskip(SKIP_1) | instid1(SALU_CYCLE_1)
	s_and_not1_b32 s6, s6, exec_lo
	s_and_b32 s8, s28, exec_lo
	s_or_b32 s6, s6, s8
.LBB0_42:                               ;   in Loop: Header=BB0_43 Depth=1
	s_or_b32 exec_lo, exec_lo, s7
	s_delay_alu instid0(SALU_CYCLE_1) | instskip(NEXT) | instid1(SALU_CYCLE_1)
	s_and_b32 s7, exec_lo, s6
	s_or_b32 s5, s7, s5
	s_delay_alu instid0(SALU_CYCLE_1)
	s_and_not1_b32 exec_lo, exec_lo, s5
	s_cbranch_execz .LBB0_47
.LBB0_43:                               ; =>This Inner Loop Header: Depth=1
	v_lshlrev_b64 v[3:4], 4, v[1:2]
	s_or_b32 s6, s6, exec_lo
	s_mov_b32 s7, exec_lo
	s_delay_alu instid0(VALU_DEP_1) | instskip(NEXT) | instid1(VALU_DEP_2)
	v_add_co_u32 v11, vcc_lo, s9, v3
	v_add_co_ci_u32_e32 v12, vcc_lo, s16, v4, vcc_lo
	v_add_co_u32 v3, vcc_lo, s17, v3
	v_add_co_ci_u32_e32 v4, vcc_lo, s22, v4, vcc_lo
	global_load_b128 v[11:14], v[11:12], off
	global_load_b128 v[15:18], v[3:4], off
	s_waitcnt vmcnt(0)
	v_dual_add_f32 v3, v11, v15 :: v_dual_add_f32 v4, v12, v16
	s_delay_alu instid0(VALU_DEP_1) | instskip(NEXT) | instid1(VALU_DEP_1)
	v_dual_fmac_f32 v10, v3, v3 :: v_dual_add_f32 v3, v13, v17
	v_fmac_f32_e32 v10, v4, v4
	v_add_f32_e32 v4, v14, v18
	s_delay_alu instid0(VALU_DEP_2) | instskip(NEXT) | instid1(VALU_DEP_1)
	v_dual_fmac_f32 v10, v3, v3 :: v_dual_add_nc_u32 v3, v1, v6
	v_fmac_f32_e32 v10, v4, v4
	s_delay_alu instid0(VALU_DEP_2)
	v_cmpx_gt_u32_e64 s23, v3
	s_cbranch_execz .LBB0_42
; %bb.44:                               ;   in Loop: Header=BB0_43 Depth=1
	v_mov_b32_e32 v4, v2
	s_mov_b32 s28, -1
	s_mov_b32 s8, exec_lo
	s_delay_alu instid0(VALU_DEP_1) | instskip(NEXT) | instid1(VALU_DEP_1)
	v_lshlrev_b64 v[4:5], 4, v[3:4]
	v_add_co_u32 v11, vcc_lo, s9, v4
	s_delay_alu instid0(VALU_DEP_2)
	v_add_co_ci_u32_e32 v12, vcc_lo, s16, v5, vcc_lo
	v_add_co_u32 v4, vcc_lo, s17, v4
	v_add_co_ci_u32_e32 v5, vcc_lo, s22, v5, vcc_lo
	global_load_b128 v[11:14], v[11:12], off
	global_load_b128 v[15:18], v[4:5], off
	s_waitcnt vmcnt(0)
	v_dual_add_f32 v5, v12, v16 :: v_dual_add_f32 v4, v11, v15
	s_delay_alu instid0(VALU_DEP_1) | instskip(SKIP_1) | instid1(VALU_DEP_2)
	v_fmac_f32_e32 v10, v4, v4
	v_add_f32_e32 v4, v13, v17
	v_dual_fmac_f32 v10, v5, v5 :: v_dual_add_f32 v5, v14, v18
	s_delay_alu instid0(VALU_DEP_1) | instskip(SKIP_1) | instid1(VALU_DEP_2)
	v_fmac_f32_e32 v10, v4, v4
	v_add_nc_u32_e32 v4, v8, v1
	v_fmac_f32_e32 v10, v5, v5
	s_delay_alu instid0(VALU_DEP_2)
	v_cmpx_gt_u32_e64 s23, v4
	s_cbranch_execz .LBB0_41
; %bb.45:                               ;   in Loop: Header=BB0_43 Depth=1
	v_mov_b32_e32 v5, v2
	s_mov_b32 s29, -1
	s_mov_b32 s28, exec_lo
	v_add_nc_u32_e32 v1, v7, v1
	s_delay_alu instid0(VALU_DEP_2) | instskip(NEXT) | instid1(VALU_DEP_1)
	v_lshlrev_b64 v[4:5], 4, v[4:5]
	v_add_co_u32 v11, vcc_lo, s9, v4
	s_delay_alu instid0(VALU_DEP_2)
	v_add_co_ci_u32_e32 v12, vcc_lo, s16, v5, vcc_lo
	v_add_co_u32 v4, vcc_lo, s17, v4
	v_add_co_ci_u32_e32 v5, vcc_lo, s22, v5, vcc_lo
	global_load_b128 v[11:14], v[11:12], off
	global_load_b128 v[15:18], v[4:5], off
	s_waitcnt vmcnt(0)
	v_dual_add_f32 v4, v11, v15 :: v_dual_add_f32 v5, v12, v16
	s_delay_alu instid0(VALU_DEP_1) | instskip(SKIP_1) | instid1(VALU_DEP_2)
	v_fmac_f32_e32 v10, v4, v4
	v_add_f32_e32 v4, v13, v17
	v_dual_fmac_f32 v10, v5, v5 :: v_dual_add_f32 v5, v14, v18
	s_delay_alu instid0(VALU_DEP_1) | instskip(NEXT) | instid1(VALU_DEP_1)
	v_fmac_f32_e32 v10, v4, v4
	v_fmac_f32_e32 v10, v5, v5
	v_cmpx_gt_u32_e64 s23, v1
	s_xor_b32 s28, exec_lo, s28
	s_cbranch_execz .LBB0_40
; %bb.46:                               ;   in Loop: Header=BB0_43 Depth=1
	v_lshlrev_b64 v[4:5], 4, v[1:2]
	s_delay_alu instid0(VALU_DEP_1) | instskip(NEXT) | instid1(VALU_DEP_2)
	v_add_co_u32 v11, vcc_lo, s9, v4
	v_add_co_ci_u32_e32 v12, vcc_lo, s16, v5, vcc_lo
	v_add_co_u32 v4, vcc_lo, s17, v4
	v_add_co_ci_u32_e32 v5, vcc_lo, s22, v5, vcc_lo
	global_load_b128 v[11:14], v[11:12], off
	global_load_b128 v[15:18], v[4:5], off
	s_waitcnt vmcnt(0)
	v_dual_add_f32 v1, v11, v15 :: v_dual_add_f32 v4, v12, v16
	s_delay_alu instid0(VALU_DEP_1) | instskip(SKIP_2) | instid1(VALU_DEP_3)
	v_fmac_f32_e32 v10, v1, v1
	v_add3_u32 v1, v9, v6, v3
	v_add_f32_e32 v3, v14, v18
	v_dual_add_f32 v5, v13, v17 :: v_dual_fmac_f32 v10, v4, v4
	s_delay_alu instid0(VALU_DEP_3) | instskip(NEXT) | instid1(VALU_DEP_2)
	v_cmp_le_u32_e32 vcc_lo, s23, v1
	v_fmac_f32_e32 v10, v5, v5
	s_or_not1_b32 s29, vcc_lo, exec_lo
	s_delay_alu instid0(VALU_DEP_1)
	v_fmac_f32_e32 v10, v3, v3
	s_branch .LBB0_40
.LBB0_47:
	s_or_b32 exec_lo, exec_lo, s5
.LBB0_48:
	s_delay_alu instid0(SALU_CYCLE_1)
	s_or_b32 exec_lo, exec_lo, s4
	s_waitcnt lgkmcnt(0)
	s_cmp_lt_u32 s24, s3
	v_dual_mov_b32 v1, 0 :: v_dual_and_b32 v4, 0x3e0, v0
	s_cselect_b32 s3, 12, 18
	v_mbcnt_lo_u32_b32 v6, -1, 0
	s_add_u32 s0, s0, s3
	s_addc_u32 s1, s1, 0
	global_load_u16 v1, v1, s[0:1]
	v_cmp_ne_u32_e32 vcc_lo, 31, v6
	v_add_nc_u32_e32 v8, 1, v6
	v_add_nc_u32_e32 v11, 2, v6
	;; [unrolled: 1-line block ×3, first 2 shown]
	v_cmp_eq_u32_e64 s6, 0, v6
	v_add_co_ci_u32_e32 v2, vcc_lo, 0, v6, vcc_lo
	v_cmp_gt_u32_e32 vcc_lo, 30, v6
	s_delay_alu instid0(VALU_DEP_2)
	v_lshlrev_b32_e32 v7, 2, v2
	v_cndmask_b32_e64 v3, 0, 1, vcc_lo
	v_cmp_gt_u32_e32 vcc_lo, 28, v6
	ds_bpermute_b32 v2, v7, v10
	v_lshlrev_b32_e32 v3, 1, v3
	v_cndmask_b32_e64 v5, 0, 1, vcc_lo
	v_cmp_gt_u32_e32 vcc_lo, 24, v6
	s_waitcnt lgkmcnt(0)
	s_delay_alu instid0(VALU_DEP_2) | instskip(SKIP_4) | instid1(VALU_DEP_2)
	v_dual_add_f32 v2, v10, v2 :: v_dual_lshlrev_b32 v5, 2, v5
	v_add_lshl_u32 v9, v3, v6, 2
	s_waitcnt vmcnt(0)
	v_sub_nc_u32_e64 v4, v1, v4 clamp
	v_readfirstlane_b32 s28, v1
	v_cmp_lt_u32_e64 s0, v8, v4
	v_cmp_lt_u32_e64 s1, v11, v4
	;; [unrolled: 1-line block ×3, first 2 shown]
	s_delay_alu instid0(VALU_DEP_3)
	v_cndmask_b32_e64 v2, v10, v2, s0
	v_add_lshl_u32 v10, v5, v6, 2
	v_cndmask_b32_e64 v5, 0, 1, vcc_lo
	v_cmp_gt_u32_e32 vcc_lo, 16, v6
	ds_bpermute_b32 v3, v9, v2
	v_lshlrev_b32_e32 v5, 3, v5
	s_delay_alu instid0(VALU_DEP_1) | instskip(SKIP_1) | instid1(VALU_DEP_1)
	v_add_lshl_u32 v12, v5, v6, 2
	v_cndmask_b32_e64 v5, 0, 1, vcc_lo
	v_lshlrev_b32_e32 v5, 4, v5
	s_delay_alu instid0(VALU_DEP_1) | instskip(SKIP_2) | instid1(VALU_DEP_1)
	v_add_lshl_u32 v15, v5, v6, 2
	s_waitcnt lgkmcnt(0)
	v_add_f32_e32 v3, v2, v3
	v_cndmask_b32_e64 v2, v2, v3, s1
	ds_bpermute_b32 v3, v10, v2
	s_waitcnt lgkmcnt(0)
	v_dual_add_f32 v3, v2, v3 :: v_dual_add_nc_u32 v14, 4, v6
	s_delay_alu instid0(VALU_DEP_1) | instskip(NEXT) | instid1(VALU_DEP_1)
	v_cmp_lt_u32_e64 s3, v14, v4
	v_cndmask_b32_e64 v2, v2, v3, s3
	ds_bpermute_b32 v3, v12, v2
	s_waitcnt lgkmcnt(0)
	v_dual_add_f32 v3, v2, v3 :: v_dual_add_nc_u32 v16, 8, v6
	s_delay_alu instid0(VALU_DEP_1) | instskip(NEXT) | instid1(VALU_DEP_1)
	v_cmp_lt_u32_e64 s5, v16, v4
	v_cndmask_b32_e64 v2, v2, v3, s5
	ds_bpermute_b32 v3, v15, v2
	s_waitcnt lgkmcnt(0)
	v_add_f32_e32 v3, v2, v3
	s_delay_alu instid0(VALU_DEP_1)
	v_cndmask_b32_e64 v1, v2, v3, s8
	s_and_saveexec_b32 s4, s6
	s_cbranch_execz .LBB0_50
; %bb.49:
	v_lshrrev_b32_e32 v2, 3, v0
	s_delay_alu instid0(VALU_DEP_1)
	v_and_b32_e32 v2, 0x7c, v2
	ds_store_b32 v2, v1
.LBB0_50:
	s_or_b32 exec_lo, exec_lo, s4
	v_cmp_gt_u32_e64 s7, 32, v0
	s_waitcnt lgkmcnt(0)
	s_waitcnt_vscnt null, 0x0
	s_barrier
	buffer_gl0_inv
	s_and_saveexec_b32 s4, s7
	s_cbranch_execz .LBB0_52
; %bb.51:
	v_lshlrev_b32_e32 v1, 2, v6
	s_add_i32 s29, s28, 31
	s_delay_alu instid0(SALU_CYCLE_1) | instskip(NEXT) | instid1(SALU_CYCLE_1)
	s_lshr_b32 s29, s29, 5
	v_cmp_gt_u32_e32 vcc_lo, s29, v8
	ds_load_b32 v1, v1
	s_waitcnt lgkmcnt(0)
	ds_bpermute_b32 v2, v7, v1
	s_waitcnt lgkmcnt(0)
	v_add_f32_e32 v2, v1, v2
	s_delay_alu instid0(VALU_DEP_1) | instskip(SKIP_4) | instid1(VALU_DEP_1)
	v_cndmask_b32_e32 v1, v1, v2, vcc_lo
	v_cmp_gt_u32_e32 vcc_lo, s29, v11
	ds_bpermute_b32 v2, v9, v1
	s_waitcnt lgkmcnt(0)
	v_add_f32_e32 v2, v1, v2
	v_cndmask_b32_e32 v1, v1, v2, vcc_lo
	v_cmp_gt_u32_e32 vcc_lo, s29, v14
	ds_bpermute_b32 v2, v10, v1
	s_waitcnt lgkmcnt(0)
	v_add_f32_e32 v2, v1, v2
	s_delay_alu instid0(VALU_DEP_1) | instskip(SKIP_4) | instid1(VALU_DEP_1)
	v_cndmask_b32_e32 v1, v1, v2, vcc_lo
	v_cmp_gt_u32_e32 vcc_lo, s29, v16
	ds_bpermute_b32 v2, v12, v1
	s_waitcnt lgkmcnt(0)
	v_add_f32_e32 v2, v1, v2
	v_cndmask_b32_e32 v1, v1, v2, vcc_lo
	v_cmp_gt_u32_e32 vcc_lo, s29, v17
	ds_bpermute_b32 v2, v15, v1
	s_waitcnt lgkmcnt(0)
	v_add_f32_e32 v2, v1, v2
	s_delay_alu instid0(VALU_DEP_1)
	v_cndmask_b32_e32 v1, v1, v2, vcc_lo
.LBB0_52:
	s_or_b32 exec_lo, exec_lo, s4
	v_cmp_eq_u32_e64 s4, 0, v0
	s_delay_alu instid0(VALU_DEP_1)
	s_and_saveexec_b32 s29, s4
	s_cbranch_execz .LBB0_54
; %bb.53:
	v_cvt_f32_i32_e32 v2, s21
	s_delay_alu instid0(VALU_DEP_1) | instskip(SKIP_1) | instid1(VALU_DEP_2)
	v_div_scale_f32 v3, null, v2, v2, v1
	v_div_scale_f32 v13, vcc_lo, v1, v2, v1
	v_rcp_f32_e32 v4, v3
	s_waitcnt_depctr 0xfff
	v_fma_f32 v5, -v3, v4, 1.0
	s_delay_alu instid0(VALU_DEP_1) | instskip(NEXT) | instid1(VALU_DEP_1)
	v_fmac_f32_e32 v4, v5, v4
	v_mul_f32_e32 v5, v13, v4
	s_delay_alu instid0(VALU_DEP_1) | instskip(NEXT) | instid1(VALU_DEP_1)
	v_fma_f32 v18, -v3, v5, v13
	v_fmac_f32_e32 v5, v18, v4
	s_delay_alu instid0(VALU_DEP_1) | instskip(NEXT) | instid1(VALU_DEP_1)
	v_fma_f32 v3, -v3, v5, v13
	v_div_fmas_f32 v3, v3, v4, v5
	s_delay_alu instid0(VALU_DEP_1) | instskip(NEXT) | instid1(VALU_DEP_1)
	v_div_fixup_f32 v1, v3, v2, v1
	v_add_f32_e32 v1, s20, v1
	s_delay_alu instid0(VALU_DEP_1) | instskip(SKIP_1) | instid1(VALU_DEP_2)
	v_mul_f32_e32 v2, 0x4b800000, v1
	v_cmp_gt_f32_e32 vcc_lo, 0x800000, v1
	v_cndmask_b32_e32 v1, v1, v2, vcc_lo
	s_delay_alu instid0(VALU_DEP_1) | instskip(SKIP_2) | instid1(VALU_DEP_1)
	v_rsq_f32_e32 v1, v1
	s_waitcnt_depctr 0xfff
	v_mul_f32_e32 v2, 0x45800000, v1
	v_dual_cndmask_b32 v1, v1, v2 :: v_dual_mov_b32 v2, 0
	ds_store_b32 v2, v1 offset:512
.LBB0_54:
	s_or_b32 exec_lo, exec_lo, s29
	v_mov_b32_e32 v18, 0
	s_waitcnt lgkmcnt(0)
	s_barrier
	buffer_gl0_inv
	ds_load_b32 v13, v18 offset:512
	s_and_saveexec_b32 s20, s2
	s_cbranch_execz .LBB0_64
; %bb.55:
	v_dual_mov_b32 v2, 0 :: v_dual_mov_b32 v1, v0
	v_mov_b32_e32 v18, 0
	s_mul_i32 s21, s28, 3
	s_lshl_b32 s30, s28, 1
	s_mov_b32 s29, 0
	s_add_i32 s31, s28, s28
                                        ; implicit-def: $sgpr33
	s_branch .LBB0_59
.LBB0_56:                               ;   in Loop: Header=BB0_59 Depth=1
	s_or_b32 exec_lo, exec_lo, s36
	s_delay_alu instid0(SALU_CYCLE_1)
	s_or_not1_b32 s36, s37, exec_lo
.LBB0_57:                               ;   in Loop: Header=BB0_59 Depth=1
	s_or_b32 exec_lo, exec_lo, s35
	s_delay_alu instid0(SALU_CYCLE_1) | instskip(SKIP_1) | instid1(SALU_CYCLE_1)
	s_and_not1_b32 s33, s33, exec_lo
	s_and_b32 s35, s36, exec_lo
	s_or_b32 s33, s33, s35
.LBB0_58:                               ;   in Loop: Header=BB0_59 Depth=1
	s_or_b32 exec_lo, exec_lo, s34
	s_delay_alu instid0(SALU_CYCLE_1) | instskip(NEXT) | instid1(SALU_CYCLE_1)
	s_and_b32 s34, exec_lo, s33
	s_or_b32 s29, s34, s29
	s_delay_alu instid0(SALU_CYCLE_1)
	s_and_not1_b32 exec_lo, exec_lo, s29
	s_cbranch_execz .LBB0_63
.LBB0_59:                               ; =>This Inner Loop Header: Depth=1
	v_lshlrev_b64 v[3:4], 4, v[1:2]
	s_or_b32 s33, s33, exec_lo
	s_mov_b32 s34, exec_lo
	s_delay_alu instid0(VALU_DEP_1) | instskip(NEXT) | instid1(VALU_DEP_2)
	v_add_co_u32 v19, vcc_lo, s9, v3
	v_add_co_ci_u32_e32 v20, vcc_lo, s16, v4, vcc_lo
	v_add_co_u32 v23, vcc_lo, s17, v3
	v_add_co_ci_u32_e32 v24, vcc_lo, s22, v4, vcc_lo
	v_add_co_u32 v3, vcc_lo, s18, v3
	global_load_b128 v[19:22], v[19:20], off
	global_load_b128 v[23:26], v[23:24], off
	v_add_co_ci_u32_e32 v4, vcc_lo, s19, v4, vcc_lo
	global_load_b128 v[27:30], v[3:4], off
	s_waitcnt vmcnt(1)
	v_dual_add_f32 v3, v19, v23 :: v_dual_add_f32 v4, v20, v24
	v_add_f32_e32 v19, v22, v26
	s_waitcnt lgkmcnt(0)
	s_delay_alu instid0(VALU_DEP_2) | instskip(NEXT) | instid1(VALU_DEP_3)
	v_mul_f32_e32 v3, v13, v3
	v_mul_f32_e32 v4, v13, v4
	v_add_f32_e32 v5, v21, v25
	v_mul_f32_e32 v19, v13, v19
	s_waitcnt vmcnt(0)
	s_delay_alu instid0(VALU_DEP_3) | instskip(NEXT) | instid1(VALU_DEP_3)
	v_dual_mul_f32 v3, v27, v3 :: v_dual_mul_f32 v4, v28, v4
	v_mul_f32_e32 v5, v13, v5
	s_delay_alu instid0(VALU_DEP_3) | instskip(NEXT) | instid1(VALU_DEP_3)
	v_mul_f32_e32 v19, v30, v19
	v_max3_f32 v4, v18, |v3|, |v4|
	s_delay_alu instid0(VALU_DEP_3) | instskip(SKIP_1) | instid1(VALU_DEP_2)
	v_mul_f32_e32 v5, v29, v5
	v_add_nc_u32_e32 v3, s28, v1
	v_max3_f32 v18, v4, |v5|, |v19|
	s_delay_alu instid0(VALU_DEP_2)
	v_cmpx_gt_u32_e64 s23, v3
	s_cbranch_execz .LBB0_58
; %bb.60:                               ;   in Loop: Header=BB0_59 Depth=1
	v_mov_b32_e32 v4, v2
	s_mov_b32 s36, -1
	s_mov_b32 s35, exec_lo
	s_delay_alu instid0(VALU_DEP_1) | instskip(NEXT) | instid1(VALU_DEP_1)
	v_lshlrev_b64 v[4:5], 4, v[3:4]
	v_add_co_u32 v19, vcc_lo, s9, v4
	s_delay_alu instid0(VALU_DEP_2)
	v_add_co_ci_u32_e32 v20, vcc_lo, s16, v5, vcc_lo
	v_add_co_u32 v23, vcc_lo, s17, v4
	v_add_co_ci_u32_e32 v24, vcc_lo, s22, v5, vcc_lo
	v_add_co_u32 v4, vcc_lo, s18, v4
	global_load_b128 v[19:22], v[19:20], off
	global_load_b128 v[23:26], v[23:24], off
	v_add_co_ci_u32_e32 v5, vcc_lo, s19, v5, vcc_lo
	global_load_b128 v[27:30], v[4:5], off
	s_waitcnt vmcnt(1)
	v_dual_add_f32 v5, v20, v24 :: v_dual_add_f32 v4, v19, v23
	v_dual_add_f32 v19, v21, v25 :: v_dual_add_f32 v20, v22, v26
	s_delay_alu instid0(VALU_DEP_2) | instskip(NEXT) | instid1(VALU_DEP_3)
	v_mul_f32_e32 v5, v13, v5
	v_mul_f32_e32 v4, v13, v4
	s_waitcnt vmcnt(0)
	s_delay_alu instid0(VALU_DEP_2) | instskip(NEXT) | instid1(VALU_DEP_2)
	v_dual_mul_f32 v20, v13, v20 :: v_dual_mul_f32 v5, v28, v5
	v_dual_mul_f32 v19, v13, v19 :: v_dual_mul_f32 v4, v27, v4
	s_delay_alu instid0(VALU_DEP_1) | instskip(NEXT) | instid1(VALU_DEP_2)
	v_dual_mul_f32 v20, v30, v20 :: v_dual_mul_f32 v19, v29, v19
	v_max3_f32 v5, v18, |v4|, |v5|
	v_add_nc_u32_e32 v4, s30, v1
	s_delay_alu instid0(VALU_DEP_2) | instskip(NEXT) | instid1(VALU_DEP_2)
	v_max3_f32 v18, v5, |v19|, |v20|
	v_cmpx_gt_u32_e64 s23, v4
	s_cbranch_execz .LBB0_57
; %bb.61:                               ;   in Loop: Header=BB0_59 Depth=1
	v_mov_b32_e32 v5, v2
	s_mov_b32 s37, -1
	s_mov_b32 s36, exec_lo
	v_add_nc_u32_e32 v1, s21, v1
	s_delay_alu instid0(VALU_DEP_2) | instskip(NEXT) | instid1(VALU_DEP_1)
	v_lshlrev_b64 v[4:5], 4, v[4:5]
	v_add_co_u32 v19, vcc_lo, s9, v4
	s_delay_alu instid0(VALU_DEP_2)
	v_add_co_ci_u32_e32 v20, vcc_lo, s16, v5, vcc_lo
	v_add_co_u32 v23, vcc_lo, s17, v4
	v_add_co_ci_u32_e32 v24, vcc_lo, s22, v5, vcc_lo
	global_load_b128 v[19:22], v[19:20], off
	global_load_b128 v[23:26], v[23:24], off
	v_add_co_u32 v4, vcc_lo, s18, v4
	v_add_co_ci_u32_e32 v5, vcc_lo, s19, v5, vcc_lo
	global_load_b128 v[27:30], v[4:5], off
	s_waitcnt vmcnt(1)
	v_dual_add_f32 v4, v19, v23 :: v_dual_add_f32 v5, v20, v24
	v_add_f32_e32 v20, v22, v26
	s_delay_alu instid0(VALU_DEP_1) | instskip(SKIP_1) | instid1(VALU_DEP_1)
	v_mul_f32_e32 v20, v13, v20
	s_waitcnt vmcnt(0)
	v_dual_mul_f32 v5, v13, v5 :: v_dual_mul_f32 v20, v30, v20
	s_delay_alu instid0(VALU_DEP_1) | instskip(NEXT) | instid1(VALU_DEP_1)
	v_dual_mul_f32 v4, v13, v4 :: v_dual_mul_f32 v5, v28, v5
	v_dual_add_f32 v19, v21, v25 :: v_dual_mul_f32 v4, v27, v4
	s_delay_alu instid0(VALU_DEP_1) | instskip(NEXT) | instid1(VALU_DEP_2)
	v_mul_f32_e32 v19, v13, v19
	v_max3_f32 v4, v18, |v4|, |v5|
	s_delay_alu instid0(VALU_DEP_2) | instskip(NEXT) | instid1(VALU_DEP_1)
	v_mul_f32_e32 v19, v29, v19
	v_max3_f32 v18, v4, |v19|, |v20|
	v_cmpx_gt_u32_e64 s23, v1
	s_xor_b32 s36, exec_lo, s36
	s_cbranch_execz .LBB0_56
; %bb.62:                               ;   in Loop: Header=BB0_59 Depth=1
	v_lshlrev_b64 v[4:5], 4, v[1:2]
	s_delay_alu instid0(VALU_DEP_1) | instskip(NEXT) | instid1(VALU_DEP_2)
	v_add_co_u32 v19, vcc_lo, s9, v4
	v_add_co_ci_u32_e32 v20, vcc_lo, s16, v5, vcc_lo
	v_add_co_u32 v23, vcc_lo, s17, v4
	v_add_co_ci_u32_e32 v24, vcc_lo, s22, v5, vcc_lo
	v_add_co_u32 v4, vcc_lo, s18, v4
	global_load_b128 v[19:22], v[19:20], off
	global_load_b128 v[23:26], v[23:24], off
	v_add_co_ci_u32_e32 v5, vcc_lo, s19, v5, vcc_lo
	global_load_b128 v[27:30], v[4:5], off
	s_waitcnt vmcnt(1)
	v_dual_add_f32 v1, v19, v23 :: v_dual_add_f32 v4, v20, v24
	v_add_f32_e32 v19, v22, v26
	s_delay_alu instid0(VALU_DEP_2) | instskip(NEXT) | instid1(VALU_DEP_3)
	v_mul_f32_e32 v1, v13, v1
	v_mul_f32_e32 v4, v13, v4
	v_add_f32_e32 v5, v21, v25
	s_waitcnt vmcnt(0)
	s_delay_alu instid0(VALU_DEP_3) | instskip(NEXT) | instid1(VALU_DEP_2)
	v_dual_mul_f32 v19, v13, v19 :: v_dual_mul_f32 v20, v27, v1
	v_dual_mul_f32 v4, v28, v4 :: v_dual_mul_f32 v5, v13, v5
	v_add3_u32 v1, s31, s28, v3
	s_delay_alu instid0(VALU_DEP_2) | instskip(NEXT) | instid1(VALU_DEP_3)
	v_max3_f32 v4, v18, |v20|, |v4|
	v_mul_f32_e32 v3, v29, v5
	v_mul_f32_e32 v5, v30, v19
	s_delay_alu instid0(VALU_DEP_4) | instskip(NEXT) | instid1(VALU_DEP_2)
	v_cmp_le_u32_e32 vcc_lo, s23, v1
	v_max3_f32 v18, v4, |v3|, |v5|
	s_or_not1_b32 s37, vcc_lo, exec_lo
	s_branch .LBB0_56
.LBB0_63:
	s_or_b32 exec_lo, exec_lo, s29
.LBB0_64:
	s_delay_alu instid0(SALU_CYCLE_1) | instskip(SKIP_4) | instid1(VALU_DEP_1)
	s_or_b32 exec_lo, exec_lo, s20
	ds_bpermute_b32 v1, v7, v18
	s_waitcnt lgkmcnt(0)
	v_cmp_lt_f32_e32 vcc_lo, v18, v1
	v_cndmask_b32_e32 v1, v18, v1, vcc_lo
	v_cndmask_b32_e64 v1, v18, v1, s0
	s_or_b32 s0, s0, s1
	s_delay_alu instid0(SALU_CYCLE_1) | instskip(NEXT) | instid1(SALU_CYCLE_1)
	s_or_b32 s0, s3, s0
	s_or_b32 s0, s5, s0
	ds_bpermute_b32 v2, v9, v1
	s_waitcnt lgkmcnt(0)
	v_cmp_lt_f32_e32 vcc_lo, v1, v2
	v_cndmask_b32_e32 v2, v1, v2, vcc_lo
	s_delay_alu instid0(VALU_DEP_1) | instskip(SKIP_4) | instid1(VALU_DEP_1)
	v_cndmask_b32_e64 v1, v1, v2, s1
	ds_bpermute_b32 v2, v10, v1
	s_waitcnt lgkmcnt(0)
	v_cmp_lt_f32_e32 vcc_lo, v1, v2
	v_cndmask_b32_e32 v2, v1, v2, vcc_lo
	v_cndmask_b32_e64 v1, v1, v2, s3
	ds_bpermute_b32 v2, v12, v1
	s_waitcnt lgkmcnt(0)
	v_cmp_lt_f32_e32 vcc_lo, v1, v2
	v_cndmask_b32_e32 v2, v1, v2, vcc_lo
	s_delay_alu instid0(VALU_DEP_1)
	v_cndmask_b32_e64 v1, v1, v2, s5
	ds_bpermute_b32 v2, v15, v1
	s_waitcnt lgkmcnt(0)
	v_cmp_lt_f32_e32 vcc_lo, v1, v2
	s_and_b32 vcc_lo, s8, vcc_lo
	v_cndmask_b32_e32 v1, v1, v2, vcc_lo
	s_or_b32 vcc_lo, s8, s0
	s_delay_alu instid0(VALU_DEP_1)
	v_cndmask_b32_e32 v1, v18, v1, vcc_lo
	s_and_saveexec_b32 s0, s6
	s_cbranch_execz .LBB0_66
; %bb.65:
	v_lshrrev_b32_e32 v2, 3, v0
	s_delay_alu instid0(VALU_DEP_1)
	v_and_b32_e32 v2, 0x7c, v2
	ds_store_b32 v2, v1 offset:128
.LBB0_66:
	s_or_b32 exec_lo, exec_lo, s0
	s_waitcnt lgkmcnt(0)
	s_barrier
	buffer_gl0_inv
	s_and_saveexec_b32 s8, s7
	s_cbranch_execz .LBB0_68
; %bb.67:
	v_lshlrev_b32_e32 v1, 2, v6
	s_add_i32 s0, s28, 31
	s_delay_alu instid0(SALU_CYCLE_1)
	s_lshr_b32 s5, s0, 5
	ds_load_b32 v1, v1 offset:128
	s_waitcnt lgkmcnt(0)
	ds_bpermute_b32 v2, v7, v1
	s_waitcnt lgkmcnt(0)
	v_cmp_lt_f32_e32 vcc_lo, v1, v2
	v_cndmask_b32_e32 v2, v1, v2, vcc_lo
	v_cmp_gt_u32_e32 vcc_lo, s5, v8
	s_delay_alu instid0(VALU_DEP_2) | instskip(SKIP_3) | instid1(VALU_DEP_1)
	v_cndmask_b32_e32 v2, v1, v2, vcc_lo
	ds_bpermute_b32 v3, v9, v2
	s_waitcnt lgkmcnt(0)
	v_cmp_lt_f32_e64 s0, v2, v3
	v_cndmask_b32_e64 v3, v2, v3, s0
	v_cmp_gt_u32_e64 s0, s5, v11
	s_delay_alu instid0(VALU_DEP_1) | instskip(SKIP_4) | instid1(VALU_DEP_1)
	v_cndmask_b32_e64 v2, v2, v3, s0
	s_or_b32 s0, vcc_lo, s0
	ds_bpermute_b32 v3, v10, v2
	s_waitcnt lgkmcnt(0)
	v_cmp_lt_f32_e64 s1, v2, v3
	v_cndmask_b32_e64 v3, v2, v3, s1
	v_cmp_gt_u32_e64 s1, s5, v14
	s_delay_alu instid0(VALU_DEP_1) | instskip(SKIP_4) | instid1(VALU_DEP_1)
	v_cndmask_b32_e64 v2, v2, v3, s1
	s_or_b32 s0, s1, s0
	ds_bpermute_b32 v3, v12, v2
	s_waitcnt lgkmcnt(0)
	v_cmp_lt_f32_e64 s3, v2, v3
	v_cndmask_b32_e64 v3, v2, v3, s3
	v_cmp_gt_u32_e64 s3, s5, v16
	v_cmp_gt_u32_e64 s5, s5, v17
	s_delay_alu instid0(VALU_DEP_2) | instskip(SKIP_4) | instid1(VALU_DEP_1)
	v_cndmask_b32_e64 v2, v2, v3, s3
	s_or_b32 s0, s3, s0
	ds_bpermute_b32 v3, v15, v2
	s_waitcnt lgkmcnt(0)
	v_cmp_lt_f32_e64 s6, v2, v3
	s_and_b32 vcc_lo, s5, s6
	v_cndmask_b32_e32 v2, v2, v3, vcc_lo
	s_or_b32 vcc_lo, s5, s0
	s_delay_alu instid0(VALU_DEP_1)
	v_cndmask_b32_e32 v1, v1, v2, vcc_lo
.LBB0_68:
	s_or_b32 exec_lo, exec_lo, s8
	s_and_saveexec_b32 s0, s4
	s_cbranch_execz .LBB0_72
; %bb.69:
	s_cmp_eq_u64 s[26:27], 0
	s_cbranch_scc1 .LBB0_71
; %bb.70:
	s_load_b32 s1, s[26:27], 0x0
	v_max_f32_e32 v1, v1, v1
	s_waitcnt lgkmcnt(0)
	v_max_f32_e64 v2, s1, s1
	s_delay_alu instid0(VALU_DEP_1)
	v_min_f32_e32 v1, v1, v2
.LBB0_71:
	s_delay_alu instid0(VALU_DEP_1) | instskip(SKIP_2) | instid1(VALU_DEP_2)
	v_div_scale_f32 v2, null, 0x43e00000, 0x43e00000, v1
	v_div_scale_f32 v5, vcc_lo, v1, 0x43e00000, v1
	s_lshl_b64 s[4:5], s[24:25], 2
	v_rcp_f32_e32 v3, v2
	s_add_u32 s4, s14, s4
	s_addc_u32 s5, s15, s5
	s_waitcnt_depctr 0xfff
	v_fma_f32 v4, -v2, v3, 1.0
	s_delay_alu instid0(VALU_DEP_1) | instskip(NEXT) | instid1(VALU_DEP_1)
	v_fmac_f32_e32 v3, v4, v3
	v_mul_f32_e32 v4, v5, v3
	s_delay_alu instid0(VALU_DEP_1) | instskip(NEXT) | instid1(VALU_DEP_1)
	v_fma_f32 v6, -v2, v4, v5
	v_fmac_f32_e32 v4, v6, v3
	s_delay_alu instid0(VALU_DEP_1) | instskip(NEXT) | instid1(VALU_DEP_1)
	v_fma_f32 v2, -v2, v4, v5
	v_div_fmas_f32 v2, v2, v3, v4
	s_delay_alu instid0(VALU_DEP_1) | instskip(NEXT) | instid1(VALU_DEP_1)
	v_div_fixup_f32 v1, v2, 0x43e00000, v1
	v_dual_mov_b32 v2, 0 :: v_dual_max_f32 v1, 0x36924925, v1
	ds_store_b32 v2, v1 offset:516
	global_store_b32 v2, v1, s[4:5]
.LBB0_72:
	s_or_b32 exec_lo, exec_lo, s0
	s_waitcnt lgkmcnt(0)
	s_waitcnt_vscnt null, 0x0
	s_barrier
	buffer_gl0_inv
	s_and_saveexec_b32 s0, s2
	s_cbranch_execz .LBB0_177
; %bb.73:
	v_mov_b32_e32 v1, 0
	s_add_u32 s0, s12, s10
	s_addc_u32 s1, s13, s11
	s_mul_i32 s2, s28, 3
	s_lshl_b32 s3, s28, 1
	ds_load_b32 v14, v1 offset:516
	s_mov_b32 s4, 0
	s_mov_b32 s5, 0x43e00000
	s_add_i32 s6, s28, s28
	s_branch .LBB0_79
.LBB0_74:                               ;   in Loop: Header=BB0_79 Depth=1
	s_or_b32 exec_lo, exec_lo, s12
.LBB0_75:                               ;   in Loop: Header=BB0_79 Depth=1
	s_delay_alu instid0(SALU_CYCLE_1)
	s_or_b32 exec_lo, exec_lo, s11
	v_lshrrev_b32_e32 v7, 24, v7
	v_lshrrev_b32_e32 v3, 24, v3
	;; [unrolled: 1-line block ×3, first 2 shown]
	v_lshlrev_b32_e32 v4, 24, v4
	v_and_b32_e32 v5, 0x80000000, v5
	v_and_b32_e32 v7, 0x80, v7
	;; [unrolled: 1-line block ×3, first 2 shown]
	s_delay_alu instid0(VALU_DEP_2) | instskip(NEXT) | instid1(VALU_DEP_2)
	v_and_or_b32 v6, 0xff, v6, v7
	v_and_or_b32 v9, 0xff, v2, v3
	v_lshlrev_b64 v[2:3], 2, v[0:1]
	v_and_b32_e32 v7, 0xff, v11
	v_add3_u32 v0, s6, s28, v10
	v_lshlrev_b32_e32 v6, 16, v6
	s_delay_alu instid0(VALU_DEP_3) | instskip(SKIP_1) | instid1(VALU_DEP_3)
	v_and_or_b32 v7, 0x80, v8, v7
	v_lshlrev_b32_e32 v8, 8, v9
	v_or3_b32 v4, v5, v4, v6
	v_add_co_u32 v2, vcc_lo, s0, v2
	v_add_co_ci_u32_e32 v3, vcc_lo, s1, v3, vcc_lo
	v_cmp_le_u32_e32 vcc_lo, s23, v0
	s_delay_alu instid0(VALU_DEP_4)
	v_or3_b32 v4, v4, v8, v7
	s_or_not1_b32 s11, vcc_lo, exec_lo
	global_store_b32 v[2:3], v4, off
.LBB0_76:                               ;   in Loop: Header=BB0_79 Depth=1
	s_or_b32 exec_lo, exec_lo, s10
	s_delay_alu instid0(SALU_CYCLE_1)
	s_or_not1_b32 s10, s11, exec_lo
.LBB0_77:                               ;   in Loop: Header=BB0_79 Depth=1
	s_or_b32 exec_lo, exec_lo, s8
	s_delay_alu instid0(SALU_CYCLE_1)
	s_or_not1_b32 s8, s10, exec_lo
.LBB0_78:                               ;   in Loop: Header=BB0_79 Depth=1
	s_or_b32 exec_lo, exec_lo, s7
	s_delay_alu instid0(SALU_CYCLE_1) | instskip(NEXT) | instid1(SALU_CYCLE_1)
	s_and_b32 s7, exec_lo, s8
	s_or_b32 s4, s7, s4
	s_delay_alu instid0(SALU_CYCLE_1)
	s_and_not1_b32 exec_lo, exec_lo, s4
	s_cbranch_execz .LBB0_177
.LBB0_79:                               ; =>This Inner Loop Header: Depth=1
	v_lshlrev_b64 v[2:3], 4, v[0:1]
	s_mov_b32 s7, exec_lo
	s_delay_alu instid0(VALU_DEP_1) | instskip(NEXT) | instid1(VALU_DEP_2)
	v_add_co_u32 v4, vcc_lo, s9, v2
	v_add_co_ci_u32_e32 v5, vcc_lo, s16, v3, vcc_lo
	v_add_co_u32 v19, vcc_lo, s17, v2
	v_add_co_ci_u32_e32 v20, vcc_lo, s22, v3, vcc_lo
	v_add_co_u32 v2, vcc_lo, s18, v2
	global_load_b128 v[6:9], v[4:5], off
	global_load_b128 v[15:18], v[19:20], off
	v_add_co_ci_u32_e32 v3, vcc_lo, s19, v3, vcc_lo
	global_load_b128 v[2:5], v[2:3], off
	s_waitcnt vmcnt(1)
	v_dual_add_f32 v6, v6, v15 :: v_dual_add_f32 v7, v7, v16
	v_dual_add_f32 v8, v8, v17 :: v_dual_add_f32 v9, v9, v18
	s_delay_alu instid0(VALU_DEP_2) | instskip(SKIP_4) | instid1(VALU_DEP_1)
	v_mul_f32_e32 v10, v13, v6
	global_store_b128 v[19:20], v[6:9], off
	s_waitcnt vmcnt(0)
	v_mul_f32_e32 v2, v2, v10
	s_waitcnt lgkmcnt(0)
	v_div_scale_f32 v10, null, v14, v14, v2
	v_div_scale_f32 v15, vcc_lo, v2, v14, v2
	s_delay_alu instid0(VALU_DEP_2) | instskip(SKIP_2) | instid1(VALU_DEP_1)
	v_rcp_f32_e32 v11, v10
	s_waitcnt_depctr 0xfff
	v_fma_f32 v12, -v10, v11, 1.0
	v_fmac_f32_e32 v11, v12, v11
	s_delay_alu instid0(VALU_DEP_1) | instskip(NEXT) | instid1(VALU_DEP_1)
	v_mul_f32_e32 v12, v15, v11
	v_fma_f32 v21, -v10, v12, v15
	s_delay_alu instid0(VALU_DEP_1) | instskip(NEXT) | instid1(VALU_DEP_1)
	v_fmac_f32_e32 v12, v21, v11
	v_fma_f32 v10, -v10, v12, v15
	s_delay_alu instid0(VALU_DEP_1) | instskip(NEXT) | instid1(VALU_DEP_1)
	v_div_fmas_f32 v10, v10, v11, v12
	v_div_fixup_f32 v2, v10, v14, v2
	v_mov_b32_e32 v10, 0x7f
	s_delay_alu instid0(VALU_DEP_2) | instskip(SKIP_1) | instid1(VALU_DEP_2)
	v_minmax_f32 v11, v2, s5, 0xc3e00000
	v_mov_b32_e32 v2, 0x7f
	v_and_b32_e32 v12, 0x7fffffff, v11
	s_delay_alu instid0(VALU_DEP_1)
	v_cmpx_gt_u32_e32 0x43f00000, v12
	s_cbranch_execz .LBB0_85
; %bb.80:                               ;   in Loop: Header=BB0_79 Depth=1
	s_mov_b32 s8, exec_lo
                                        ; implicit-def: $vgpr10
	v_cmpx_lt_u32_e32 0x3c7fffff, v12
	s_xor_b32 s8, exec_lo, s8
; %bb.81:                               ;   in Loop: Header=BB0_79 Depth=1
	v_bfe_u32 v6, v11, 20, 1
	s_delay_alu instid0(VALU_DEP_1) | instskip(NEXT) | instid1(VALU_DEP_1)
	v_add3_u32 v6, v11, v6, 0x407ffff
	v_lshrrev_b32_e32 v10, 20, v6
; %bb.82:                               ;   in Loop: Header=BB0_79 Depth=1
	s_and_not1_saveexec_b32 s8, s8
; %bb.83:                               ;   in Loop: Header=BB0_79 Depth=1
	v_add_f32_e64 v10, 0x46800000, |v11|
; %bb.84:                               ;   in Loop: Header=BB0_79 Depth=1
	s_or_b32 exec_lo, exec_lo, s8
.LBB0_85:                               ;   in Loop: Header=BB0_79 Depth=1
	s_delay_alu instid0(SALU_CYCLE_1) | instskip(SKIP_2) | instid1(VALU_DEP_1)
	s_or_b32 exec_lo, exec_lo, s7
	v_mul_f32_e32 v6, v13, v7
	s_mov_b32 s7, exec_lo
	v_mul_f32_e32 v3, v3, v6
	s_delay_alu instid0(VALU_DEP_1) | instskip(NEXT) | instid1(VALU_DEP_1)
	v_div_scale_f32 v6, null, v14, v14, v3
	v_rcp_f32_e32 v7, v6
	s_waitcnt_depctr 0xfff
	v_fma_f32 v12, -v6, v7, 1.0
	s_delay_alu instid0(VALU_DEP_1) | instskip(SKIP_1) | instid1(VALU_DEP_1)
	v_fmac_f32_e32 v7, v12, v7
	v_div_scale_f32 v12, vcc_lo, v3, v14, v3
	v_mul_f32_e32 v15, v12, v7
	s_delay_alu instid0(VALU_DEP_1) | instskip(NEXT) | instid1(VALU_DEP_1)
	v_fma_f32 v16, -v6, v15, v12
	v_fmac_f32_e32 v15, v16, v7
	s_delay_alu instid0(VALU_DEP_1) | instskip(NEXT) | instid1(VALU_DEP_1)
	v_fma_f32 v6, -v6, v15, v12
	v_div_fmas_f32 v6, v6, v7, v15
	s_delay_alu instid0(VALU_DEP_1) | instskip(NEXT) | instid1(VALU_DEP_1)
	v_div_fixup_f32 v3, v6, v14, v3
	v_minmax_f32 v3, v3, s5, 0xc3e00000
	s_delay_alu instid0(VALU_DEP_1) | instskip(NEXT) | instid1(VALU_DEP_1)
	v_and_b32_e32 v6, 0x7fffffff, v3
	v_cmpx_gt_u32_e32 0x43f00000, v6
	s_cbranch_execz .LBB0_91
; %bb.86:                               ;   in Loop: Header=BB0_79 Depth=1
	s_mov_b32 s8, exec_lo
                                        ; implicit-def: $vgpr2
	v_cmpx_lt_u32_e32 0x3c7fffff, v6
	s_xor_b32 s8, exec_lo, s8
; %bb.87:                               ;   in Loop: Header=BB0_79 Depth=1
	v_bfe_u32 v2, v3, 20, 1
	s_delay_alu instid0(VALU_DEP_1) | instskip(NEXT) | instid1(VALU_DEP_1)
	v_add3_u32 v2, v3, v2, 0x407ffff
	v_lshrrev_b32_e32 v2, 20, v2
; %bb.88:                               ;   in Loop: Header=BB0_79 Depth=1
	s_and_not1_saveexec_b32 s8, s8
; %bb.89:                               ;   in Loop: Header=BB0_79 Depth=1
	v_add_f32_e64 v2, 0x46800000, |v3|
; %bb.90:                               ;   in Loop: Header=BB0_79 Depth=1
	s_or_b32 exec_lo, exec_lo, s8
.LBB0_91:                               ;   in Loop: Header=BB0_79 Depth=1
	s_delay_alu instid0(SALU_CYCLE_1) | instskip(SKIP_2) | instid1(VALU_DEP_1)
	s_or_b32 exec_lo, exec_lo, s7
	v_mul_f32_e32 v6, v13, v8
	s_mov_b32 s7, exec_lo
	v_mul_f32_e32 v4, v4, v6
	s_delay_alu instid0(VALU_DEP_1) | instskip(SKIP_1) | instid1(VALU_DEP_2)
	v_div_scale_f32 v6, null, v14, v14, v4
	v_div_scale_f32 v12, vcc_lo, v4, v14, v4
	v_rcp_f32_e32 v7, v6
	s_waitcnt_depctr 0xfff
	v_fma_f32 v8, -v6, v7, 1.0
	s_delay_alu instid0(VALU_DEP_1) | instskip(NEXT) | instid1(VALU_DEP_1)
	v_fmac_f32_e32 v7, v8, v7
	v_mul_f32_e32 v8, v12, v7
	s_delay_alu instid0(VALU_DEP_1) | instskip(NEXT) | instid1(VALU_DEP_1)
	v_fma_f32 v15, -v6, v8, v12
	v_fmac_f32_e32 v8, v15, v7
	s_delay_alu instid0(VALU_DEP_1) | instskip(NEXT) | instid1(VALU_DEP_1)
	v_fma_f32 v6, -v6, v8, v12
	v_div_fmas_f32 v6, v6, v7, v8
	s_delay_alu instid0(VALU_DEP_1) | instskip(SKIP_1) | instid1(VALU_DEP_2)
	v_div_fixup_f32 v4, v6, v14, v4
	v_mov_b32_e32 v6, 0x7f
	v_minmax_f32 v7, v4, s5, 0xc3e00000
	v_mov_b32_e32 v4, 0x7f
	s_delay_alu instid0(VALU_DEP_2) | instskip(NEXT) | instid1(VALU_DEP_1)
	v_and_b32_e32 v8, 0x7fffffff, v7
	v_cmpx_gt_u32_e32 0x43f00000, v8
	s_cbranch_execz .LBB0_97
; %bb.92:                               ;   in Loop: Header=BB0_79 Depth=1
	s_mov_b32 s8, exec_lo
                                        ; implicit-def: $vgpr6
	v_cmpx_lt_u32_e32 0x3c7fffff, v8
	s_xor_b32 s8, exec_lo, s8
; %bb.93:                               ;   in Loop: Header=BB0_79 Depth=1
	v_bfe_u32 v6, v7, 20, 1
	s_delay_alu instid0(VALU_DEP_1) | instskip(NEXT) | instid1(VALU_DEP_1)
	v_add3_u32 v6, v7, v6, 0x407ffff
	v_lshrrev_b32_e32 v6, 20, v6
; %bb.94:                               ;   in Loop: Header=BB0_79 Depth=1
	s_and_not1_saveexec_b32 s8, s8
; %bb.95:                               ;   in Loop: Header=BB0_79 Depth=1
	v_add_f32_e64 v6, 0x46800000, |v7|
; %bb.96:                               ;   in Loop: Header=BB0_79 Depth=1
	s_or_b32 exec_lo, exec_lo, s8
.LBB0_97:                               ;   in Loop: Header=BB0_79 Depth=1
	s_delay_alu instid0(SALU_CYCLE_1) | instskip(SKIP_2) | instid1(VALU_DEP_1)
	s_or_b32 exec_lo, exec_lo, s7
	v_mul_f32_e32 v8, v13, v9
	s_mov_b32 s7, exec_lo
	v_mul_f32_e32 v5, v5, v8
	s_delay_alu instid0(VALU_DEP_1) | instskip(NEXT) | instid1(VALU_DEP_1)
	v_div_scale_f32 v8, null, v14, v14, v5
	v_rcp_f32_e32 v9, v8
	s_waitcnt_depctr 0xfff
	v_fma_f32 v12, -v8, v9, 1.0
	s_delay_alu instid0(VALU_DEP_1) | instskip(SKIP_1) | instid1(VALU_DEP_1)
	v_fmac_f32_e32 v9, v12, v9
	v_div_scale_f32 v12, vcc_lo, v5, v14, v5
	v_mul_f32_e32 v15, v12, v9
	s_delay_alu instid0(VALU_DEP_1) | instskip(NEXT) | instid1(VALU_DEP_1)
	v_fma_f32 v16, -v8, v15, v12
	v_fmac_f32_e32 v15, v16, v9
	s_delay_alu instid0(VALU_DEP_1) | instskip(NEXT) | instid1(VALU_DEP_1)
	v_fma_f32 v8, -v8, v15, v12
	v_div_fmas_f32 v8, v8, v9, v15
	s_delay_alu instid0(VALU_DEP_1) | instskip(NEXT) | instid1(VALU_DEP_1)
	v_div_fixup_f32 v5, v8, v14, v5
	v_minmax_f32 v5, v5, s5, 0xc3e00000
	s_delay_alu instid0(VALU_DEP_1) | instskip(NEXT) | instid1(VALU_DEP_1)
	v_and_b32_e32 v8, 0x7fffffff, v5
	v_cmpx_gt_u32_e32 0x43f00000, v8
	s_cbranch_execz .LBB0_103
; %bb.98:                               ;   in Loop: Header=BB0_79 Depth=1
	s_mov_b32 s8, exec_lo
                                        ; implicit-def: $vgpr4
	v_cmpx_lt_u32_e32 0x3c7fffff, v8
	s_xor_b32 s8, exec_lo, s8
; %bb.99:                               ;   in Loop: Header=BB0_79 Depth=1
	v_bfe_u32 v4, v5, 20, 1
	s_delay_alu instid0(VALU_DEP_1) | instskip(NEXT) | instid1(VALU_DEP_1)
	v_add3_u32 v4, v5, v4, 0x407ffff
	v_lshrrev_b32_e32 v4, 20, v4
; %bb.100:                              ;   in Loop: Header=BB0_79 Depth=1
	s_and_not1_saveexec_b32 s8, s8
; %bb.101:                              ;   in Loop: Header=BB0_79 Depth=1
	v_add_f32_e64 v4, 0x46800000, |v5|
; %bb.102:                              ;   in Loop: Header=BB0_79 Depth=1
	s_or_b32 exec_lo, exec_lo, s8
.LBB0_103:                              ;   in Loop: Header=BB0_79 Depth=1
	s_delay_alu instid0(SALU_CYCLE_1)
	s_or_b32 exec_lo, exec_lo, s7
	v_lshrrev_b32_e32 v7, 24, v7
	v_lshrrev_b32_e32 v3, 24, v3
	;; [unrolled: 1-line block ×3, first 2 shown]
	v_lshlrev_b32_e32 v4, 24, v4
	v_and_b32_e32 v5, 0x80000000, v5
	v_and_b32_e32 v7, 0x80, v7
	;; [unrolled: 1-line block ×3, first 2 shown]
	s_mov_b32 s8, -1
	s_mov_b32 s7, exec_lo
	s_delay_alu instid0(VALU_DEP_2)
	v_and_or_b32 v6, 0xff, v6, v7
	v_and_b32_e32 v7, 0xff, v10
	v_and_or_b32 v9, 0xff, v2, v3
	v_lshlrev_b64 v[2:3], 2, v[0:1]
	v_add_nc_u32_e32 v10, s28, v0
	v_lshlrev_b32_e32 v6, 16, v6
	v_and_or_b32 v7, 0x80, v8, v7
	v_lshlrev_b32_e32 v8, 8, v9
	v_add_co_u32 v2, vcc_lo, s0, v2
	s_delay_alu instid0(VALU_DEP_4) | instskip(SKIP_1) | instid1(VALU_DEP_2)
	v_or3_b32 v4, v5, v4, v6
	v_add_co_ci_u32_e32 v3, vcc_lo, s1, v3, vcc_lo
	v_or3_b32 v4, v4, v8, v7
	global_store_b32 v[2:3], v4, off
	v_cmpx_gt_u32_e64 s23, v10
	s_cbranch_execz .LBB0_78
; %bb.104:                              ;   in Loop: Header=BB0_79 Depth=1
	v_mov_b32_e32 v11, v1
	s_mov_b32 s8, exec_lo
	s_delay_alu instid0(VALU_DEP_1) | instskip(NEXT) | instid1(VALU_DEP_1)
	v_lshlrev_b64 v[2:3], 4, v[10:11]
	v_add_co_u32 v4, vcc_lo, s9, v2
	s_delay_alu instid0(VALU_DEP_2)
	v_add_co_ci_u32_e32 v5, vcc_lo, s16, v3, vcc_lo
	v_add_co_u32 v20, vcc_lo, s17, v2
	v_add_co_ci_u32_e32 v21, vcc_lo, s22, v3, vcc_lo
	v_add_co_u32 v2, vcc_lo, s18, v2
	global_load_b128 v[6:9], v[4:5], off
	global_load_b128 v[16:19], v[20:21], off
	v_add_co_ci_u32_e32 v3, vcc_lo, s19, v3, vcc_lo
	global_load_b128 v[2:5], v[2:3], off
	s_waitcnt vmcnt(1)
	v_add_f32_e32 v6, v6, v16
	v_dual_add_f32 v8, v8, v18 :: v_dual_add_f32 v7, v7, v17
	v_add_f32_e32 v9, v9, v19
	s_delay_alu instid0(VALU_DEP_3) | instskip(SKIP_3) | instid1(VALU_DEP_1)
	v_mul_f32_e32 v12, v13, v6
	global_store_b128 v[20:21], v[6:9], off
	s_waitcnt vmcnt(0)
	v_mul_f32_e32 v2, v2, v12
	v_div_scale_f32 v12, null, v14, v14, v2
	v_div_scale_f32 v22, vcc_lo, v2, v14, v2
	s_delay_alu instid0(VALU_DEP_2) | instskip(SKIP_2) | instid1(VALU_DEP_1)
	v_rcp_f32_e32 v15, v12
	s_waitcnt_depctr 0xfff
	v_fma_f32 v16, -v12, v15, 1.0
	v_fmac_f32_e32 v15, v16, v15
	s_delay_alu instid0(VALU_DEP_1) | instskip(NEXT) | instid1(VALU_DEP_1)
	v_mul_f32_e32 v16, v22, v15
	v_fma_f32 v23, -v12, v16, v22
	s_delay_alu instid0(VALU_DEP_1) | instskip(NEXT) | instid1(VALU_DEP_1)
	v_fmac_f32_e32 v16, v23, v15
	v_fma_f32 v12, -v12, v16, v22
	s_delay_alu instid0(VALU_DEP_1) | instskip(NEXT) | instid1(VALU_DEP_1)
	v_div_fmas_f32 v12, v12, v15, v16
	v_div_fixup_f32 v2, v12, v14, v2
	v_mov_b32_e32 v12, 0x7f
	s_delay_alu instid0(VALU_DEP_2) | instskip(SKIP_1) | instid1(VALU_DEP_2)
	v_minmax_f32 v15, v2, s5, 0xc3e00000
	v_mov_b32_e32 v2, 0x7f
	v_and_b32_e32 v16, 0x7fffffff, v15
	s_delay_alu instid0(VALU_DEP_1)
	v_cmpx_gt_u32_e32 0x43f00000, v16
	s_cbranch_execz .LBB0_110
; %bb.105:                              ;   in Loop: Header=BB0_79 Depth=1
	s_mov_b32 s10, exec_lo
                                        ; implicit-def: $vgpr12
	v_cmpx_lt_u32_e32 0x3c7fffff, v16
	s_xor_b32 s10, exec_lo, s10
; %bb.106:                              ;   in Loop: Header=BB0_79 Depth=1
	v_bfe_u32 v6, v15, 20, 1
	s_delay_alu instid0(VALU_DEP_1) | instskip(NEXT) | instid1(VALU_DEP_1)
	v_add3_u32 v6, v15, v6, 0x407ffff
	v_lshrrev_b32_e32 v12, 20, v6
; %bb.107:                              ;   in Loop: Header=BB0_79 Depth=1
	s_and_not1_saveexec_b32 s10, s10
; %bb.108:                              ;   in Loop: Header=BB0_79 Depth=1
	v_add_f32_e64 v12, 0x46800000, |v15|
; %bb.109:                              ;   in Loop: Header=BB0_79 Depth=1
	s_or_b32 exec_lo, exec_lo, s10
.LBB0_110:                              ;   in Loop: Header=BB0_79 Depth=1
	s_delay_alu instid0(SALU_CYCLE_1) | instskip(SKIP_2) | instid1(VALU_DEP_1)
	s_or_b32 exec_lo, exec_lo, s8
	v_mul_f32_e32 v6, v13, v7
	s_mov_b32 s8, exec_lo
	v_mul_f32_e32 v3, v3, v6
	s_delay_alu instid0(VALU_DEP_1) | instskip(NEXT) | instid1(VALU_DEP_1)
	v_div_scale_f32 v6, null, v14, v14, v3
	v_rcp_f32_e32 v7, v6
	s_waitcnt_depctr 0xfff
	v_fma_f32 v16, -v6, v7, 1.0
	s_delay_alu instid0(VALU_DEP_1) | instskip(SKIP_1) | instid1(VALU_DEP_1)
	v_fmac_f32_e32 v7, v16, v7
	v_div_scale_f32 v16, vcc_lo, v3, v14, v3
	v_mul_f32_e32 v17, v16, v7
	s_delay_alu instid0(VALU_DEP_1) | instskip(NEXT) | instid1(VALU_DEP_1)
	v_fma_f32 v18, -v6, v17, v16
	v_fmac_f32_e32 v17, v18, v7
	s_delay_alu instid0(VALU_DEP_1) | instskip(NEXT) | instid1(VALU_DEP_1)
	v_fma_f32 v6, -v6, v17, v16
	v_div_fmas_f32 v6, v6, v7, v17
	s_delay_alu instid0(VALU_DEP_1) | instskip(NEXT) | instid1(VALU_DEP_1)
	v_div_fixup_f32 v3, v6, v14, v3
	v_minmax_f32 v3, v3, s5, 0xc3e00000
	s_delay_alu instid0(VALU_DEP_1) | instskip(NEXT) | instid1(VALU_DEP_1)
	v_and_b32_e32 v6, 0x7fffffff, v3
	v_cmpx_gt_u32_e32 0x43f00000, v6
	s_cbranch_execz .LBB0_116
; %bb.111:                              ;   in Loop: Header=BB0_79 Depth=1
	s_mov_b32 s10, exec_lo
                                        ; implicit-def: $vgpr2
	v_cmpx_lt_u32_e32 0x3c7fffff, v6
	s_xor_b32 s10, exec_lo, s10
; %bb.112:                              ;   in Loop: Header=BB0_79 Depth=1
	v_bfe_u32 v2, v3, 20, 1
	s_delay_alu instid0(VALU_DEP_1) | instskip(NEXT) | instid1(VALU_DEP_1)
	v_add3_u32 v2, v3, v2, 0x407ffff
	v_lshrrev_b32_e32 v2, 20, v2
; %bb.113:                              ;   in Loop: Header=BB0_79 Depth=1
	s_and_not1_saveexec_b32 s10, s10
; %bb.114:                              ;   in Loop: Header=BB0_79 Depth=1
	v_add_f32_e64 v2, 0x46800000, |v3|
; %bb.115:                              ;   in Loop: Header=BB0_79 Depth=1
	s_or_b32 exec_lo, exec_lo, s10
.LBB0_116:                              ;   in Loop: Header=BB0_79 Depth=1
	s_delay_alu instid0(SALU_CYCLE_1) | instskip(SKIP_2) | instid1(VALU_DEP_1)
	s_or_b32 exec_lo, exec_lo, s8
	v_mul_f32_e32 v6, v13, v8
	s_mov_b32 s8, exec_lo
	v_mul_f32_e32 v4, v4, v6
	s_delay_alu instid0(VALU_DEP_1) | instskip(SKIP_1) | instid1(VALU_DEP_2)
	v_div_scale_f32 v6, null, v14, v14, v4
	v_div_scale_f32 v16, vcc_lo, v4, v14, v4
	v_rcp_f32_e32 v7, v6
	s_waitcnt_depctr 0xfff
	v_fma_f32 v8, -v6, v7, 1.0
	s_delay_alu instid0(VALU_DEP_1) | instskip(NEXT) | instid1(VALU_DEP_1)
	v_fmac_f32_e32 v7, v8, v7
	v_mul_f32_e32 v8, v16, v7
	s_delay_alu instid0(VALU_DEP_1) | instskip(NEXT) | instid1(VALU_DEP_1)
	v_fma_f32 v17, -v6, v8, v16
	v_fmac_f32_e32 v8, v17, v7
	s_delay_alu instid0(VALU_DEP_1) | instskip(NEXT) | instid1(VALU_DEP_1)
	v_fma_f32 v6, -v6, v8, v16
	v_div_fmas_f32 v6, v6, v7, v8
	s_delay_alu instid0(VALU_DEP_1) | instskip(SKIP_1) | instid1(VALU_DEP_2)
	v_div_fixup_f32 v4, v6, v14, v4
	v_mov_b32_e32 v6, 0x7f
	v_minmax_f32 v7, v4, s5, 0xc3e00000
	v_mov_b32_e32 v4, 0x7f
	s_delay_alu instid0(VALU_DEP_2) | instskip(NEXT) | instid1(VALU_DEP_1)
	v_and_b32_e32 v8, 0x7fffffff, v7
	v_cmpx_gt_u32_e32 0x43f00000, v8
	s_cbranch_execz .LBB0_122
; %bb.117:                              ;   in Loop: Header=BB0_79 Depth=1
	s_mov_b32 s10, exec_lo
                                        ; implicit-def: $vgpr6
	v_cmpx_lt_u32_e32 0x3c7fffff, v8
	s_xor_b32 s10, exec_lo, s10
; %bb.118:                              ;   in Loop: Header=BB0_79 Depth=1
	v_bfe_u32 v6, v7, 20, 1
	s_delay_alu instid0(VALU_DEP_1) | instskip(NEXT) | instid1(VALU_DEP_1)
	v_add3_u32 v6, v7, v6, 0x407ffff
	v_lshrrev_b32_e32 v6, 20, v6
; %bb.119:                              ;   in Loop: Header=BB0_79 Depth=1
	s_and_not1_saveexec_b32 s10, s10
; %bb.120:                              ;   in Loop: Header=BB0_79 Depth=1
	v_add_f32_e64 v6, 0x46800000, |v7|
; %bb.121:                              ;   in Loop: Header=BB0_79 Depth=1
	s_or_b32 exec_lo, exec_lo, s10
.LBB0_122:                              ;   in Loop: Header=BB0_79 Depth=1
	s_delay_alu instid0(SALU_CYCLE_1) | instskip(SKIP_2) | instid1(VALU_DEP_1)
	s_or_b32 exec_lo, exec_lo, s8
	v_mul_f32_e32 v8, v13, v9
	s_mov_b32 s8, exec_lo
	v_mul_f32_e32 v5, v5, v8
	s_delay_alu instid0(VALU_DEP_1) | instskip(NEXT) | instid1(VALU_DEP_1)
	v_div_scale_f32 v8, null, v14, v14, v5
	v_rcp_f32_e32 v9, v8
	s_waitcnt_depctr 0xfff
	v_fma_f32 v16, -v8, v9, 1.0
	s_delay_alu instid0(VALU_DEP_1) | instskip(SKIP_1) | instid1(VALU_DEP_1)
	v_fmac_f32_e32 v9, v16, v9
	v_div_scale_f32 v16, vcc_lo, v5, v14, v5
	v_mul_f32_e32 v17, v16, v9
	s_delay_alu instid0(VALU_DEP_1) | instskip(NEXT) | instid1(VALU_DEP_1)
	v_fma_f32 v18, -v8, v17, v16
	v_fmac_f32_e32 v17, v18, v9
	s_delay_alu instid0(VALU_DEP_1) | instskip(NEXT) | instid1(VALU_DEP_1)
	v_fma_f32 v8, -v8, v17, v16
	v_div_fmas_f32 v8, v8, v9, v17
	s_delay_alu instid0(VALU_DEP_1) | instskip(NEXT) | instid1(VALU_DEP_1)
	v_div_fixup_f32 v5, v8, v14, v5
	v_minmax_f32 v5, v5, s5, 0xc3e00000
	s_delay_alu instid0(VALU_DEP_1) | instskip(NEXT) | instid1(VALU_DEP_1)
	v_and_b32_e32 v8, 0x7fffffff, v5
	v_cmpx_gt_u32_e32 0x43f00000, v8
	s_cbranch_execz .LBB0_128
; %bb.123:                              ;   in Loop: Header=BB0_79 Depth=1
	s_mov_b32 s10, exec_lo
                                        ; implicit-def: $vgpr4
	v_cmpx_lt_u32_e32 0x3c7fffff, v8
	s_xor_b32 s10, exec_lo, s10
; %bb.124:                              ;   in Loop: Header=BB0_79 Depth=1
	v_bfe_u32 v4, v5, 20, 1
	s_delay_alu instid0(VALU_DEP_1) | instskip(NEXT) | instid1(VALU_DEP_1)
	v_add3_u32 v4, v5, v4, 0x407ffff
	v_lshrrev_b32_e32 v4, 20, v4
; %bb.125:                              ;   in Loop: Header=BB0_79 Depth=1
	s_and_not1_saveexec_b32 s10, s10
; %bb.126:                              ;   in Loop: Header=BB0_79 Depth=1
	v_add_f32_e64 v4, 0x46800000, |v5|
; %bb.127:                              ;   in Loop: Header=BB0_79 Depth=1
	s_or_b32 exec_lo, exec_lo, s10
.LBB0_128:                              ;   in Loop: Header=BB0_79 Depth=1
	s_delay_alu instid0(SALU_CYCLE_1)
	s_or_b32 exec_lo, exec_lo, s8
	v_lshrrev_b32_e32 v7, 24, v7
	v_lshrrev_b32_e32 v3, 24, v3
	;; [unrolled: 1-line block ×3, first 2 shown]
	v_lshlrev_b32_e32 v4, 24, v4
	v_and_b32_e32 v5, 0x80000000, v5
	v_and_b32_e32 v7, 0x80, v7
	;; [unrolled: 1-line block ×3, first 2 shown]
	s_mov_b32 s10, -1
	s_mov_b32 s8, exec_lo
	s_delay_alu instid0(VALU_DEP_2)
	v_and_or_b32 v6, 0xff, v6, v7
	v_and_b32_e32 v7, 0xff, v12
	v_and_or_b32 v9, 0xff, v2, v3
	v_lshlrev_b64 v[2:3], 2, v[10:11]
	v_add_nc_u32_e32 v11, s3, v0
	v_lshlrev_b32_e32 v6, 16, v6
	v_and_or_b32 v7, 0x80, v8, v7
	v_lshlrev_b32_e32 v8, 8, v9
	v_add_co_u32 v2, vcc_lo, s0, v2
	s_delay_alu instid0(VALU_DEP_4) | instskip(SKIP_1) | instid1(VALU_DEP_2)
	v_or3_b32 v4, v5, v4, v6
	v_add_co_ci_u32_e32 v3, vcc_lo, s1, v3, vcc_lo
	v_or3_b32 v4, v4, v8, v7
	global_store_b32 v[2:3], v4, off
	v_cmpx_gt_u32_e64 s23, v11
	s_cbranch_execz .LBB0_77
; %bb.129:                              ;   in Loop: Header=BB0_79 Depth=1
	v_mov_b32_e32 v12, v1
	s_mov_b32 s10, exec_lo
	s_delay_alu instid0(VALU_DEP_1) | instskip(NEXT) | instid1(VALU_DEP_1)
	v_lshlrev_b64 v[2:3], 4, v[11:12]
	v_add_co_u32 v4, vcc_lo, s9, v2
	s_delay_alu instid0(VALU_DEP_2)
	v_add_co_ci_u32_e32 v5, vcc_lo, s16, v3, vcc_lo
	v_add_co_u32 v21, vcc_lo, s17, v2
	v_add_co_ci_u32_e32 v22, vcc_lo, s22, v3, vcc_lo
	v_add_co_u32 v2, vcc_lo, s18, v2
	global_load_b128 v[6:9], v[4:5], off
	global_load_b128 v[17:20], v[21:22], off
	v_add_co_ci_u32_e32 v3, vcc_lo, s19, v3, vcc_lo
	global_load_b128 v[2:5], v[2:3], off
	s_waitcnt vmcnt(1)
	v_add_f32_e32 v6, v6, v17
	v_dual_add_f32 v8, v8, v19 :: v_dual_add_f32 v9, v9, v20
	v_add_f32_e32 v7, v7, v18
	s_delay_alu instid0(VALU_DEP_3) | instskip(SKIP_1) | instid1(VALU_DEP_1)
	v_mul_f32_e32 v15, v13, v6
	s_waitcnt vmcnt(0)
	v_mul_f32_e32 v2, v2, v15
	s_delay_alu instid0(VALU_DEP_1) | instskip(SKIP_1) | instid1(VALU_DEP_2)
	v_div_scale_f32 v15, null, v14, v14, v2
	v_div_scale_f32 v23, vcc_lo, v2, v14, v2
	v_rcp_f32_e32 v16, v15
	s_waitcnt_depctr 0xfff
	v_fma_f32 v17, -v15, v16, 1.0
	s_delay_alu instid0(VALU_DEP_1) | instskip(NEXT) | instid1(VALU_DEP_1)
	v_fmac_f32_e32 v16, v17, v16
	v_mul_f32_e32 v17, v23, v16
	s_delay_alu instid0(VALU_DEP_1) | instskip(NEXT) | instid1(VALU_DEP_1)
	v_fma_f32 v24, -v15, v17, v23
	v_fmac_f32_e32 v17, v24, v16
	global_store_b128 v[21:22], v[6:9], off
	v_fma_f32 v15, -v15, v17, v23
	s_delay_alu instid0(VALU_DEP_1) | instskip(NEXT) | instid1(VALU_DEP_1)
	v_div_fmas_f32 v15, v15, v16, v17
	v_div_fixup_f32 v2, v15, v14, v2
	v_mov_b32_e32 v15, 0x7f
	s_delay_alu instid0(VALU_DEP_2) | instskip(SKIP_1) | instid1(VALU_DEP_2)
	v_minmax_f32 v16, v2, s5, 0xc3e00000
	v_mov_b32_e32 v2, 0x7f
	v_and_b32_e32 v17, 0x7fffffff, v16
	s_delay_alu instid0(VALU_DEP_1)
	v_cmpx_gt_u32_e32 0x43f00000, v17
	s_cbranch_execz .LBB0_135
; %bb.130:                              ;   in Loop: Header=BB0_79 Depth=1
	s_mov_b32 s11, exec_lo
                                        ; implicit-def: $vgpr15
	v_cmpx_lt_u32_e32 0x3c7fffff, v17
	s_xor_b32 s11, exec_lo, s11
; %bb.131:                              ;   in Loop: Header=BB0_79 Depth=1
	v_bfe_u32 v6, v16, 20, 1
	s_delay_alu instid0(VALU_DEP_1) | instskip(NEXT) | instid1(VALU_DEP_1)
	v_add3_u32 v6, v16, v6, 0x407ffff
	v_lshrrev_b32_e32 v15, 20, v6
; %bb.132:                              ;   in Loop: Header=BB0_79 Depth=1
	s_and_not1_saveexec_b32 s11, s11
; %bb.133:                              ;   in Loop: Header=BB0_79 Depth=1
	v_add_f32_e64 v15, 0x46800000, |v16|
; %bb.134:                              ;   in Loop: Header=BB0_79 Depth=1
	s_or_b32 exec_lo, exec_lo, s11
.LBB0_135:                              ;   in Loop: Header=BB0_79 Depth=1
	s_delay_alu instid0(SALU_CYCLE_1) | instskip(SKIP_2) | instid1(VALU_DEP_1)
	s_or_b32 exec_lo, exec_lo, s10
	v_mul_f32_e32 v6, v13, v7
	s_mov_b32 s10, exec_lo
	v_mul_f32_e32 v3, v3, v6
	s_delay_alu instid0(VALU_DEP_1) | instskip(NEXT) | instid1(VALU_DEP_1)
	v_div_scale_f32 v6, null, v14, v14, v3
	v_rcp_f32_e32 v7, v6
	s_waitcnt_depctr 0xfff
	v_fma_f32 v17, -v6, v7, 1.0
	s_delay_alu instid0(VALU_DEP_1) | instskip(SKIP_1) | instid1(VALU_DEP_1)
	v_fmac_f32_e32 v7, v17, v7
	v_div_scale_f32 v17, vcc_lo, v3, v14, v3
	v_mul_f32_e32 v18, v17, v7
	s_delay_alu instid0(VALU_DEP_1) | instskip(NEXT) | instid1(VALU_DEP_1)
	v_fma_f32 v19, -v6, v18, v17
	v_fmac_f32_e32 v18, v19, v7
	s_delay_alu instid0(VALU_DEP_1) | instskip(NEXT) | instid1(VALU_DEP_1)
	v_fma_f32 v6, -v6, v18, v17
	v_div_fmas_f32 v6, v6, v7, v18
	s_delay_alu instid0(VALU_DEP_1) | instskip(NEXT) | instid1(VALU_DEP_1)
	v_div_fixup_f32 v3, v6, v14, v3
	v_minmax_f32 v3, v3, s5, 0xc3e00000
	s_delay_alu instid0(VALU_DEP_1) | instskip(NEXT) | instid1(VALU_DEP_1)
	v_and_b32_e32 v6, 0x7fffffff, v3
	v_cmpx_gt_u32_e32 0x43f00000, v6
	s_cbranch_execz .LBB0_141
; %bb.136:                              ;   in Loop: Header=BB0_79 Depth=1
	s_mov_b32 s11, exec_lo
                                        ; implicit-def: $vgpr2
	v_cmpx_lt_u32_e32 0x3c7fffff, v6
	s_xor_b32 s11, exec_lo, s11
; %bb.137:                              ;   in Loop: Header=BB0_79 Depth=1
	v_bfe_u32 v2, v3, 20, 1
	s_delay_alu instid0(VALU_DEP_1) | instskip(NEXT) | instid1(VALU_DEP_1)
	v_add3_u32 v2, v3, v2, 0x407ffff
	v_lshrrev_b32_e32 v2, 20, v2
; %bb.138:                              ;   in Loop: Header=BB0_79 Depth=1
	s_and_not1_saveexec_b32 s11, s11
; %bb.139:                              ;   in Loop: Header=BB0_79 Depth=1
	v_add_f32_e64 v2, 0x46800000, |v3|
; %bb.140:                              ;   in Loop: Header=BB0_79 Depth=1
	s_or_b32 exec_lo, exec_lo, s11
.LBB0_141:                              ;   in Loop: Header=BB0_79 Depth=1
	s_delay_alu instid0(SALU_CYCLE_1) | instskip(SKIP_2) | instid1(VALU_DEP_1)
	s_or_b32 exec_lo, exec_lo, s10
	v_mul_f32_e32 v6, v13, v8
	s_mov_b32 s10, exec_lo
	v_mul_f32_e32 v4, v4, v6
	s_delay_alu instid0(VALU_DEP_1) | instskip(SKIP_1) | instid1(VALU_DEP_2)
	v_div_scale_f32 v6, null, v14, v14, v4
	v_div_scale_f32 v17, vcc_lo, v4, v14, v4
	v_rcp_f32_e32 v7, v6
	s_waitcnt_depctr 0xfff
	v_fma_f32 v8, -v6, v7, 1.0
	s_delay_alu instid0(VALU_DEP_1) | instskip(NEXT) | instid1(VALU_DEP_1)
	v_fmac_f32_e32 v7, v8, v7
	v_mul_f32_e32 v8, v17, v7
	s_delay_alu instid0(VALU_DEP_1) | instskip(NEXT) | instid1(VALU_DEP_1)
	v_fma_f32 v18, -v6, v8, v17
	v_fmac_f32_e32 v8, v18, v7
	s_delay_alu instid0(VALU_DEP_1) | instskip(NEXT) | instid1(VALU_DEP_1)
	v_fma_f32 v6, -v6, v8, v17
	v_div_fmas_f32 v6, v6, v7, v8
	s_delay_alu instid0(VALU_DEP_1) | instskip(SKIP_1) | instid1(VALU_DEP_2)
	v_div_fixup_f32 v4, v6, v14, v4
	v_mov_b32_e32 v6, 0x7f
	v_minmax_f32 v7, v4, s5, 0xc3e00000
	v_mov_b32_e32 v4, 0x7f
	s_delay_alu instid0(VALU_DEP_2) | instskip(NEXT) | instid1(VALU_DEP_1)
	v_and_b32_e32 v8, 0x7fffffff, v7
	v_cmpx_gt_u32_e32 0x43f00000, v8
	s_cbranch_execz .LBB0_147
; %bb.142:                              ;   in Loop: Header=BB0_79 Depth=1
	s_mov_b32 s11, exec_lo
                                        ; implicit-def: $vgpr6
	v_cmpx_lt_u32_e32 0x3c7fffff, v8
	s_xor_b32 s11, exec_lo, s11
; %bb.143:                              ;   in Loop: Header=BB0_79 Depth=1
	v_bfe_u32 v6, v7, 20, 1
	s_delay_alu instid0(VALU_DEP_1) | instskip(NEXT) | instid1(VALU_DEP_1)
	v_add3_u32 v6, v7, v6, 0x407ffff
	v_lshrrev_b32_e32 v6, 20, v6
; %bb.144:                              ;   in Loop: Header=BB0_79 Depth=1
	s_and_not1_saveexec_b32 s11, s11
; %bb.145:                              ;   in Loop: Header=BB0_79 Depth=1
	v_add_f32_e64 v6, 0x46800000, |v7|
; %bb.146:                              ;   in Loop: Header=BB0_79 Depth=1
	s_or_b32 exec_lo, exec_lo, s11
.LBB0_147:                              ;   in Loop: Header=BB0_79 Depth=1
	s_delay_alu instid0(SALU_CYCLE_1) | instskip(SKIP_2) | instid1(VALU_DEP_1)
	s_or_b32 exec_lo, exec_lo, s10
	v_mul_f32_e32 v8, v13, v9
	s_mov_b32 s10, exec_lo
	v_mul_f32_e32 v5, v5, v8
	s_delay_alu instid0(VALU_DEP_1) | instskip(NEXT) | instid1(VALU_DEP_1)
	v_div_scale_f32 v8, null, v14, v14, v5
	v_rcp_f32_e32 v9, v8
	s_waitcnt_depctr 0xfff
	v_fma_f32 v17, -v8, v9, 1.0
	s_delay_alu instid0(VALU_DEP_1) | instskip(SKIP_1) | instid1(VALU_DEP_1)
	v_fmac_f32_e32 v9, v17, v9
	v_div_scale_f32 v17, vcc_lo, v5, v14, v5
	v_mul_f32_e32 v18, v17, v9
	s_delay_alu instid0(VALU_DEP_1) | instskip(NEXT) | instid1(VALU_DEP_1)
	v_fma_f32 v19, -v8, v18, v17
	v_fmac_f32_e32 v18, v19, v9
	s_delay_alu instid0(VALU_DEP_1) | instskip(NEXT) | instid1(VALU_DEP_1)
	v_fma_f32 v8, -v8, v18, v17
	v_div_fmas_f32 v8, v8, v9, v18
	s_delay_alu instid0(VALU_DEP_1) | instskip(NEXT) | instid1(VALU_DEP_1)
	v_div_fixup_f32 v5, v8, v14, v5
	v_minmax_f32 v5, v5, s5, 0xc3e00000
	s_delay_alu instid0(VALU_DEP_1) | instskip(NEXT) | instid1(VALU_DEP_1)
	v_and_b32_e32 v8, 0x7fffffff, v5
	v_cmpx_gt_u32_e32 0x43f00000, v8
	s_cbranch_execz .LBB0_153
; %bb.148:                              ;   in Loop: Header=BB0_79 Depth=1
	s_mov_b32 s11, exec_lo
                                        ; implicit-def: $vgpr4
	v_cmpx_lt_u32_e32 0x3c7fffff, v8
	s_xor_b32 s11, exec_lo, s11
; %bb.149:                              ;   in Loop: Header=BB0_79 Depth=1
	v_bfe_u32 v4, v5, 20, 1
	s_delay_alu instid0(VALU_DEP_1) | instskip(NEXT) | instid1(VALU_DEP_1)
	v_add3_u32 v4, v5, v4, 0x407ffff
	v_lshrrev_b32_e32 v4, 20, v4
; %bb.150:                              ;   in Loop: Header=BB0_79 Depth=1
	s_and_not1_saveexec_b32 s11, s11
; %bb.151:                              ;   in Loop: Header=BB0_79 Depth=1
	v_add_f32_e64 v4, 0x46800000, |v5|
; %bb.152:                              ;   in Loop: Header=BB0_79 Depth=1
	s_or_b32 exec_lo, exec_lo, s11
.LBB0_153:                              ;   in Loop: Header=BB0_79 Depth=1
	s_delay_alu instid0(SALU_CYCLE_1)
	s_or_b32 exec_lo, exec_lo, s10
	v_lshrrev_b32_e32 v7, 24, v7
	v_lshrrev_b32_e32 v3, 24, v3
	;; [unrolled: 1-line block ×3, first 2 shown]
	v_lshlrev_b32_e32 v4, 24, v4
	v_and_b32_e32 v5, 0x80000000, v5
	v_and_b32_e32 v7, 0x80, v7
	v_and_b32_e32 v3, 0x80, v3
	v_add_nc_u32_e32 v0, s2, v0
	s_mov_b32 s11, -1
	s_mov_b32 s10, exec_lo
	v_and_or_b32 v6, 0xff, v6, v7
	v_and_b32_e32 v7, 0xff, v15
	v_and_or_b32 v9, 0xff, v2, v3
	v_lshlrev_b64 v[2:3], 2, v[11:12]
	s_delay_alu instid0(VALU_DEP_4) | instskip(NEXT) | instid1(VALU_DEP_4)
	v_lshlrev_b32_e32 v6, 16, v6
	v_and_or_b32 v7, 0x80, v8, v7
	s_delay_alu instid0(VALU_DEP_4) | instskip(NEXT) | instid1(VALU_DEP_4)
	v_lshlrev_b32_e32 v8, 8, v9
	v_add_co_u32 v2, vcc_lo, s0, v2
	s_delay_alu instid0(VALU_DEP_4) | instskip(SKIP_1) | instid1(VALU_DEP_2)
	v_or3_b32 v4, v5, v4, v6
	v_add_co_ci_u32_e32 v3, vcc_lo, s1, v3, vcc_lo
	v_or3_b32 v4, v4, v8, v7
	global_store_b32 v[2:3], v4, off
	v_cmpx_gt_u32_e64 s23, v0
	s_cbranch_execz .LBB0_76
; %bb.154:                              ;   in Loop: Header=BB0_79 Depth=1
	v_lshlrev_b64 v[2:3], 4, v[0:1]
	s_mov_b32 s11, exec_lo
	s_delay_alu instid0(VALU_DEP_1) | instskip(NEXT) | instid1(VALU_DEP_2)
	v_add_co_u32 v4, vcc_lo, s9, v2
	v_add_co_ci_u32_e32 v5, vcc_lo, s16, v3, vcc_lo
	v_add_co_u32 v19, vcc_lo, s17, v2
	v_add_co_ci_u32_e32 v20, vcc_lo, s22, v3, vcc_lo
	v_add_co_u32 v2, vcc_lo, s18, v2
	global_load_b128 v[6:9], v[4:5], off
	global_load_b128 v[15:18], v[19:20], off
	v_add_co_ci_u32_e32 v3, vcc_lo, s19, v3, vcc_lo
	global_load_b128 v[2:5], v[2:3], off
	s_waitcnt vmcnt(1)
	v_dual_add_f32 v6, v6, v15 :: v_dual_add_f32 v7, v7, v16
	v_dual_add_f32 v8, v8, v17 :: v_dual_add_f32 v9, v9, v18
	s_delay_alu instid0(VALU_DEP_2) | instskip(SKIP_1) | instid1(VALU_DEP_1)
	v_mul_f32_e32 v11, v13, v6
	s_waitcnt vmcnt(0)
	v_mul_f32_e32 v2, v2, v11
	s_delay_alu instid0(VALU_DEP_1) | instskip(SKIP_1) | instid1(VALU_DEP_2)
	v_div_scale_f32 v11, null, v14, v14, v2
	v_div_scale_f32 v21, vcc_lo, v2, v14, v2
	v_rcp_f32_e32 v12, v11
	s_waitcnt_depctr 0xfff
	v_fma_f32 v15, -v11, v12, 1.0
	s_delay_alu instid0(VALU_DEP_1) | instskip(NEXT) | instid1(VALU_DEP_1)
	v_fmac_f32_e32 v12, v15, v12
	v_mul_f32_e32 v15, v21, v12
	global_store_b128 v[19:20], v[6:9], off
	v_fma_f32 v22, -v11, v15, v21
	s_delay_alu instid0(VALU_DEP_1) | instskip(NEXT) | instid1(VALU_DEP_1)
	v_fmac_f32_e32 v15, v22, v12
	v_fma_f32 v11, -v11, v15, v21
	s_delay_alu instid0(VALU_DEP_1) | instskip(NEXT) | instid1(VALU_DEP_1)
	v_div_fmas_f32 v11, v11, v12, v15
	v_div_fixup_f32 v2, v11, v14, v2
	v_mov_b32_e32 v11, 0x7f
	s_delay_alu instid0(VALU_DEP_2) | instskip(SKIP_1) | instid1(VALU_DEP_2)
	v_minmax_f32 v12, v2, s5, 0xc3e00000
	v_mov_b32_e32 v2, 0x7f
	v_and_b32_e32 v15, 0x7fffffff, v12
	s_delay_alu instid0(VALU_DEP_1)
	v_cmpx_gt_u32_e32 0x43f00000, v15
	s_cbranch_execz .LBB0_160
; %bb.155:                              ;   in Loop: Header=BB0_79 Depth=1
	s_mov_b32 s12, exec_lo
                                        ; implicit-def: $vgpr11
	v_cmpx_lt_u32_e32 0x3c7fffff, v15
	s_xor_b32 s12, exec_lo, s12
; %bb.156:                              ;   in Loop: Header=BB0_79 Depth=1
	v_bfe_u32 v6, v12, 20, 1
	s_delay_alu instid0(VALU_DEP_1) | instskip(NEXT) | instid1(VALU_DEP_1)
	v_add3_u32 v6, v12, v6, 0x407ffff
	v_lshrrev_b32_e32 v11, 20, v6
; %bb.157:                              ;   in Loop: Header=BB0_79 Depth=1
	s_and_not1_saveexec_b32 s12, s12
; %bb.158:                              ;   in Loop: Header=BB0_79 Depth=1
	v_add_f32_e64 v11, 0x46800000, |v12|
; %bb.159:                              ;   in Loop: Header=BB0_79 Depth=1
	s_or_b32 exec_lo, exec_lo, s12
.LBB0_160:                              ;   in Loop: Header=BB0_79 Depth=1
	s_delay_alu instid0(SALU_CYCLE_1) | instskip(SKIP_2) | instid1(VALU_DEP_1)
	s_or_b32 exec_lo, exec_lo, s11
	v_mul_f32_e32 v6, v13, v7
	s_mov_b32 s11, exec_lo
	v_mul_f32_e32 v3, v3, v6
	s_delay_alu instid0(VALU_DEP_1) | instskip(NEXT) | instid1(VALU_DEP_1)
	v_div_scale_f32 v6, null, v14, v14, v3
	v_rcp_f32_e32 v7, v6
	s_waitcnt_depctr 0xfff
	v_fma_f32 v15, -v6, v7, 1.0
	s_delay_alu instid0(VALU_DEP_1) | instskip(SKIP_1) | instid1(VALU_DEP_1)
	v_fmac_f32_e32 v7, v15, v7
	v_div_scale_f32 v15, vcc_lo, v3, v14, v3
	v_mul_f32_e32 v16, v15, v7
	s_delay_alu instid0(VALU_DEP_1) | instskip(NEXT) | instid1(VALU_DEP_1)
	v_fma_f32 v17, -v6, v16, v15
	v_fmac_f32_e32 v16, v17, v7
	s_delay_alu instid0(VALU_DEP_1) | instskip(NEXT) | instid1(VALU_DEP_1)
	v_fma_f32 v6, -v6, v16, v15
	v_div_fmas_f32 v6, v6, v7, v16
	s_delay_alu instid0(VALU_DEP_1) | instskip(NEXT) | instid1(VALU_DEP_1)
	v_div_fixup_f32 v3, v6, v14, v3
	v_minmax_f32 v3, v3, s5, 0xc3e00000
	s_delay_alu instid0(VALU_DEP_1) | instskip(NEXT) | instid1(VALU_DEP_1)
	v_and_b32_e32 v6, 0x7fffffff, v3
	v_cmpx_gt_u32_e32 0x43f00000, v6
	s_cbranch_execz .LBB0_166
; %bb.161:                              ;   in Loop: Header=BB0_79 Depth=1
	s_mov_b32 s12, exec_lo
                                        ; implicit-def: $vgpr2
	v_cmpx_lt_u32_e32 0x3c7fffff, v6
	s_xor_b32 s12, exec_lo, s12
; %bb.162:                              ;   in Loop: Header=BB0_79 Depth=1
	v_bfe_u32 v2, v3, 20, 1
	s_delay_alu instid0(VALU_DEP_1) | instskip(NEXT) | instid1(VALU_DEP_1)
	v_add3_u32 v2, v3, v2, 0x407ffff
	v_lshrrev_b32_e32 v2, 20, v2
; %bb.163:                              ;   in Loop: Header=BB0_79 Depth=1
	s_and_not1_saveexec_b32 s12, s12
; %bb.164:                              ;   in Loop: Header=BB0_79 Depth=1
	v_add_f32_e64 v2, 0x46800000, |v3|
; %bb.165:                              ;   in Loop: Header=BB0_79 Depth=1
	s_or_b32 exec_lo, exec_lo, s12
.LBB0_166:                              ;   in Loop: Header=BB0_79 Depth=1
	s_delay_alu instid0(SALU_CYCLE_1) | instskip(SKIP_2) | instid1(VALU_DEP_1)
	s_or_b32 exec_lo, exec_lo, s11
	v_mul_f32_e32 v6, v13, v8
	s_mov_b32 s11, exec_lo
	v_mul_f32_e32 v4, v4, v6
	s_delay_alu instid0(VALU_DEP_1) | instskip(SKIP_1) | instid1(VALU_DEP_2)
	v_div_scale_f32 v6, null, v14, v14, v4
	v_div_scale_f32 v15, vcc_lo, v4, v14, v4
	v_rcp_f32_e32 v7, v6
	s_waitcnt_depctr 0xfff
	v_fma_f32 v8, -v6, v7, 1.0
	s_delay_alu instid0(VALU_DEP_1) | instskip(NEXT) | instid1(VALU_DEP_1)
	v_fmac_f32_e32 v7, v8, v7
	v_mul_f32_e32 v8, v15, v7
	s_delay_alu instid0(VALU_DEP_1) | instskip(NEXT) | instid1(VALU_DEP_1)
	v_fma_f32 v16, -v6, v8, v15
	v_fmac_f32_e32 v8, v16, v7
	s_delay_alu instid0(VALU_DEP_1) | instskip(NEXT) | instid1(VALU_DEP_1)
	v_fma_f32 v6, -v6, v8, v15
	v_div_fmas_f32 v6, v6, v7, v8
	s_delay_alu instid0(VALU_DEP_1) | instskip(SKIP_1) | instid1(VALU_DEP_2)
	v_div_fixup_f32 v4, v6, v14, v4
	v_mov_b32_e32 v6, 0x7f
	v_minmax_f32 v7, v4, s5, 0xc3e00000
	v_mov_b32_e32 v4, 0x7f
	s_delay_alu instid0(VALU_DEP_2) | instskip(NEXT) | instid1(VALU_DEP_1)
	v_and_b32_e32 v8, 0x7fffffff, v7
	v_cmpx_gt_u32_e32 0x43f00000, v8
	s_cbranch_execz .LBB0_172
; %bb.167:                              ;   in Loop: Header=BB0_79 Depth=1
	s_mov_b32 s12, exec_lo
                                        ; implicit-def: $vgpr6
	v_cmpx_lt_u32_e32 0x3c7fffff, v8
	s_xor_b32 s12, exec_lo, s12
; %bb.168:                              ;   in Loop: Header=BB0_79 Depth=1
	v_bfe_u32 v6, v7, 20, 1
	s_delay_alu instid0(VALU_DEP_1) | instskip(NEXT) | instid1(VALU_DEP_1)
	v_add3_u32 v6, v7, v6, 0x407ffff
	v_lshrrev_b32_e32 v6, 20, v6
; %bb.169:                              ;   in Loop: Header=BB0_79 Depth=1
	s_and_not1_saveexec_b32 s12, s12
; %bb.170:                              ;   in Loop: Header=BB0_79 Depth=1
	v_add_f32_e64 v6, 0x46800000, |v7|
; %bb.171:                              ;   in Loop: Header=BB0_79 Depth=1
	s_or_b32 exec_lo, exec_lo, s12
.LBB0_172:                              ;   in Loop: Header=BB0_79 Depth=1
	s_delay_alu instid0(SALU_CYCLE_1) | instskip(SKIP_2) | instid1(VALU_DEP_1)
	s_or_b32 exec_lo, exec_lo, s11
	v_mul_f32_e32 v8, v13, v9
	s_mov_b32 s11, exec_lo
	v_mul_f32_e32 v5, v5, v8
	s_delay_alu instid0(VALU_DEP_1) | instskip(NEXT) | instid1(VALU_DEP_1)
	v_div_scale_f32 v8, null, v14, v14, v5
	v_rcp_f32_e32 v9, v8
	s_waitcnt_depctr 0xfff
	v_fma_f32 v15, -v8, v9, 1.0
	s_delay_alu instid0(VALU_DEP_1) | instskip(SKIP_1) | instid1(VALU_DEP_1)
	v_fmac_f32_e32 v9, v15, v9
	v_div_scale_f32 v15, vcc_lo, v5, v14, v5
	v_mul_f32_e32 v16, v15, v9
	s_delay_alu instid0(VALU_DEP_1) | instskip(NEXT) | instid1(VALU_DEP_1)
	v_fma_f32 v17, -v8, v16, v15
	v_fmac_f32_e32 v16, v17, v9
	s_delay_alu instid0(VALU_DEP_1) | instskip(NEXT) | instid1(VALU_DEP_1)
	v_fma_f32 v8, -v8, v16, v15
	v_div_fmas_f32 v8, v8, v9, v16
	s_delay_alu instid0(VALU_DEP_1) | instskip(NEXT) | instid1(VALU_DEP_1)
	v_div_fixup_f32 v5, v8, v14, v5
	v_minmax_f32 v5, v5, s5, 0xc3e00000
	s_delay_alu instid0(VALU_DEP_1) | instskip(NEXT) | instid1(VALU_DEP_1)
	v_and_b32_e32 v8, 0x7fffffff, v5
	v_cmpx_gt_u32_e32 0x43f00000, v8
	s_cbranch_execz .LBB0_75
; %bb.173:                              ;   in Loop: Header=BB0_79 Depth=1
	s_mov_b32 s12, exec_lo
                                        ; implicit-def: $vgpr4
	v_cmpx_lt_u32_e32 0x3c7fffff, v8
	s_xor_b32 s12, exec_lo, s12
; %bb.174:                              ;   in Loop: Header=BB0_79 Depth=1
	v_bfe_u32 v4, v5, 20, 1
	s_delay_alu instid0(VALU_DEP_1) | instskip(NEXT) | instid1(VALU_DEP_1)
	v_add3_u32 v4, v5, v4, 0x407ffff
	v_lshrrev_b32_e32 v4, 20, v4
; %bb.175:                              ;   in Loop: Header=BB0_79 Depth=1
	s_and_not1_saveexec_b32 s12, s12
	s_cbranch_execz .LBB0_74
; %bb.176:                              ;   in Loop: Header=BB0_79 Depth=1
	v_add_f32_e64 v4, 0x46800000, |v5|
	s_branch .LBB0_74
.LBB0_177:
	s_nop 0
	s_sendmsg sendmsg(MSG_DEALLOC_VGPRS)
	s_endpgm
	.section	.rodata,"a",@progbits
	.p2align	6, 0x0
	.amdhsa_kernel _ZN4vllm39rms_norm_dynamic_per_token_quant_kernelIfN3c1013Float8_e4m3fnELb1EEEvPT0_PfPKT_S8_PKffiiPS6_
		.amdhsa_group_segment_fixed_size 528
		.amdhsa_private_segment_fixed_size 0
		.amdhsa_kernarg_size 320
		.amdhsa_user_sgpr_count 15
		.amdhsa_user_sgpr_dispatch_ptr 0
		.amdhsa_user_sgpr_queue_ptr 0
		.amdhsa_user_sgpr_kernarg_segment_ptr 1
		.amdhsa_user_sgpr_dispatch_id 0
		.amdhsa_user_sgpr_private_segment_size 0
		.amdhsa_wavefront_size32 1
		.amdhsa_uses_dynamic_stack 0
		.amdhsa_enable_private_segment 0
		.amdhsa_system_sgpr_workgroup_id_x 1
		.amdhsa_system_sgpr_workgroup_id_y 0
		.amdhsa_system_sgpr_workgroup_id_z 0
		.amdhsa_system_sgpr_workgroup_info 0
		.amdhsa_system_vgpr_workitem_id 0
		.amdhsa_next_free_vgpr 31
		.amdhsa_next_free_sgpr 38
		.amdhsa_reserve_vcc 1
		.amdhsa_float_round_mode_32 0
		.amdhsa_float_round_mode_16_64 0
		.amdhsa_float_denorm_mode_32 3
		.amdhsa_float_denorm_mode_16_64 3
		.amdhsa_dx10_clamp 1
		.amdhsa_ieee_mode 1
		.amdhsa_fp16_overflow 0
		.amdhsa_workgroup_processor_mode 1
		.amdhsa_memory_ordered 1
		.amdhsa_forward_progress 0
		.amdhsa_shared_vgpr_count 0
		.amdhsa_exception_fp_ieee_invalid_op 0
		.amdhsa_exception_fp_denorm_src 0
		.amdhsa_exception_fp_ieee_div_zero 0
		.amdhsa_exception_fp_ieee_overflow 0
		.amdhsa_exception_fp_ieee_underflow 0
		.amdhsa_exception_fp_ieee_inexact 0
		.amdhsa_exception_int_div_zero 0
	.end_amdhsa_kernel
	.section	.text._ZN4vllm39rms_norm_dynamic_per_token_quant_kernelIfN3c1013Float8_e4m3fnELb1EEEvPT0_PfPKT_S8_PKffiiPS6_,"axG",@progbits,_ZN4vllm39rms_norm_dynamic_per_token_quant_kernelIfN3c1013Float8_e4m3fnELb1EEEvPT0_PfPKT_S8_PKffiiPS6_,comdat
.Lfunc_end0:
	.size	_ZN4vllm39rms_norm_dynamic_per_token_quant_kernelIfN3c1013Float8_e4m3fnELb1EEEvPT0_PfPKT_S8_PKffiiPS6_, .Lfunc_end0-_ZN4vllm39rms_norm_dynamic_per_token_quant_kernelIfN3c1013Float8_e4m3fnELb1EEEvPT0_PfPKT_S8_PKffiiPS6_
                                        ; -- End function
	.section	.AMDGPU.csdata,"",@progbits
; Kernel info:
; codeLenInByte = 10888
; NumSgprs: 40
; NumVgprs: 31
; ScratchSize: 0
; MemoryBound: 0
; FloatMode: 240
; IeeeMode: 1
; LDSByteSize: 528 bytes/workgroup (compile time only)
; SGPRBlocks: 4
; VGPRBlocks: 3
; NumSGPRsForWavesPerEU: 40
; NumVGPRsForWavesPerEU: 31
; Occupancy: 16
; WaveLimiterHint : 0
; COMPUTE_PGM_RSRC2:SCRATCH_EN: 0
; COMPUTE_PGM_RSRC2:USER_SGPR: 15
; COMPUTE_PGM_RSRC2:TRAP_HANDLER: 0
; COMPUTE_PGM_RSRC2:TGID_X_EN: 1
; COMPUTE_PGM_RSRC2:TGID_Y_EN: 0
; COMPUTE_PGM_RSRC2:TGID_Z_EN: 0
; COMPUTE_PGM_RSRC2:TIDIG_COMP_CNT: 0
	.section	.text._ZN4vllm39rms_norm_dynamic_per_token_quant_kernelIfN3c1015Float8_e4m3fnuzELb1EEEvPT0_PfPKT_S8_PKffiiPS6_,"axG",@progbits,_ZN4vllm39rms_norm_dynamic_per_token_quant_kernelIfN3c1015Float8_e4m3fnuzELb1EEEvPT0_PfPKT_S8_PKffiiPS6_,comdat
	.protected	_ZN4vllm39rms_norm_dynamic_per_token_quant_kernelIfN3c1015Float8_e4m3fnuzELb1EEEvPT0_PfPKT_S8_PKffiiPS6_ ; -- Begin function _ZN4vllm39rms_norm_dynamic_per_token_quant_kernelIfN3c1015Float8_e4m3fnuzELb1EEEvPT0_PfPKT_S8_PKffiiPS6_
	.globl	_ZN4vllm39rms_norm_dynamic_per_token_quant_kernelIfN3c1015Float8_e4m3fnuzELb1EEEvPT0_PfPKT_S8_PKffiiPS6_
	.p2align	8
	.type	_ZN4vllm39rms_norm_dynamic_per_token_quant_kernelIfN3c1015Float8_e4m3fnuzELb1EEEvPT0_PfPKT_S8_PKffiiPS6_,@function
_ZN4vllm39rms_norm_dynamic_per_token_quant_kernelIfN3c1015Float8_e4m3fnuzELb1EEEvPT0_PfPKT_S8_PKffiiPS6_: ; @_ZN4vllm39rms_norm_dynamic_per_token_quant_kernelIfN3c1015Float8_e4m3fnuzELb1EEEvPT0_PfPKT_S8_PKffiiPS6_
; %bb.0:
	s_mov_b32 s24, s15
	s_clause 0x3
	s_load_b128 s[20:23], s[0:1], 0x28
	s_load_b64 s[26:27], s[0:1], 0x20
	s_load_b256 s[12:19], s[0:1], 0x0
	s_load_b64 s[28:29], s[0:1], 0x38
	s_waitcnt lgkmcnt(0)
	s_or_b32 s2, s22, s21
	s_delay_alu instid0(SALU_CYCLE_1) | instskip(NEXT) | instid1(SALU_CYCLE_1)
	s_and_b32 s2, s2, 3
	s_cmp_lg_u32 s2, 0
	s_cbranch_scc0 .LBB1_39
; %bb.1:
	v_cmp_gt_u32_e64 s2, s21, v0
	v_cmp_le_u32_e64 s3, s21, v0
                                        ; implicit-def: $sgpr7
                                        ; implicit-def: $sgpr4_sgpr5
	s_delay_alu instid0(VALU_DEP_1) | instskip(NEXT) | instid1(SALU_CYCLE_1)
	s_and_saveexec_b32 s6, s3
	s_xor_b32 s6, exec_lo, s6
; %bb.2:
	s_add_u32 s4, s0, 64
	s_addc_u32 s5, s1, 0
	s_mov_b32 s7, 0
; %bb.3:
	s_or_saveexec_b32 s6, s6
	v_mov_b32_e32 v1, s4
	v_dual_mov_b32 v5, s7 :: v_dual_mov_b32 v2, s5
	v_mov_b32_e32 v3, s24
	s_xor_b32 exec_lo, exec_lo, s6
	s_cbranch_execz .LBB1_7
; %bb.4:
	s_load_b32 s23, s[0:1], 0x4c
	s_ashr_i32 s5, s22, 31
	s_ashr_i32 s4, s21, 31
	s_mul_hi_u32 s8, s22, s24
	s_mul_i32 s5, s5, s24
	s_mul_i32 s9, s4, s24
	s_add_i32 s5, s8, s5
	s_mul_i32 s4, s22, s24
	s_mul_hi_u32 s7, s21, s24
	s_lshl_b64 s[4:5], s[4:5], 2
	s_add_i32 s11, s7, s9
	s_mul_i32 s10, s21, s24
	s_add_u32 s7, s16, s4
	s_addc_u32 s8, s17, s5
	s_lshl_b64 s[4:5], s[10:11], 2
	v_dual_mov_b32 v2, 0 :: v_dual_mov_b32 v5, 0
	s_add_u32 s9, s28, s4
	v_mov_b32_e32 v1, v0
	s_addc_u32 s10, s29, s5
	s_add_u32 s4, s0, 64
	s_addc_u32 s5, s1, 0
	s_waitcnt lgkmcnt(0)
	s_and_b32 s23, s23, 0xffff
	s_mov_b32 s11, 0
	.p2align	6
.LBB1_5:                                ; =>This Inner Loop Header: Depth=1
	v_lshlrev_b64 v[3:4], 2, v[1:2]
	v_add_nc_u32_e32 v1, s23, v1
	s_delay_alu instid0(VALU_DEP_2) | instskip(NEXT) | instid1(VALU_DEP_3)
	v_add_co_u32 v6, vcc_lo, s7, v3
	v_add_co_ci_u32_e32 v7, vcc_lo, s8, v4, vcc_lo
	v_add_co_u32 v3, vcc_lo, s9, v3
	v_add_co_ci_u32_e32 v4, vcc_lo, s10, v4, vcc_lo
	v_cmp_le_u32_e32 vcc_lo, s21, v1
	global_load_b32 v6, v[6:7], off
	global_load_b32 v3, v[3:4], off
	s_or_b32 s11, vcc_lo, s11
	s_waitcnt vmcnt(0)
	v_add_f32_e32 v3, v6, v3
	s_delay_alu instid0(VALU_DEP_1)
	v_fmac_f32_e32 v5, v3, v3
	s_and_not1_b32 exec_lo, exec_lo, s11
	s_cbranch_execnz .LBB1_5
; %bb.6:
	s_or_b32 exec_lo, exec_lo, s11
	v_dual_mov_b32 v1, s4 :: v_dual_mov_b32 v2, s5
	v_mov_b32_e32 v3, s24
.LBB1_7:
	s_or_b32 exec_lo, exec_lo, s6
	global_load_b32 v4, v[1:2], off
	v_and_b32_e32 v14, 0x3e0, v0
	s_waitcnt vmcnt(0)
	v_cmp_lt_u32_e32 vcc_lo, v3, v4
	v_cndmask_b32_e64 v3, 18, 12, vcc_lo
	s_delay_alu instid0(VALU_DEP_1) | instskip(SKIP_3) | instid1(VALU_DEP_1)
	v_add_co_u32 v1, vcc_lo, v1, v3
	v_add_co_ci_u32_e32 v2, vcc_lo, 0, v2, vcc_lo
	global_load_u16 v1, v[1:2], off
	v_mbcnt_lo_u32_b32 v2, -1, 0
	v_cmp_ne_u32_e32 vcc_lo, 31, v2
	v_cmp_eq_u32_e64 s5, 0, v2
	v_add_co_ci_u32_e32 v3, vcc_lo, 0, v2, vcc_lo
	v_cmp_gt_u32_e32 vcc_lo, 30, v2
	s_delay_alu instid0(VALU_DEP_2)
	v_lshlrev_b32_e32 v3, 2, v3
	v_cndmask_b32_e64 v7, 0, 1, vcc_lo
	ds_bpermute_b32 v6, v3, v5
	s_waitcnt lgkmcnt(0)
	v_dual_add_f32 v8, v5, v6 :: v_dual_lshlrev_b32 v7, 1, v7
	v_add_nc_u32_e32 v4, 1, v2
	s_delay_alu instid0(VALU_DEP_2) | instskip(SKIP_2) | instid1(VALU_DEP_1)
	v_add_lshl_u32 v6, v7, v2, 2
	s_waitcnt vmcnt(0)
	v_sub_nc_u32_e64 v15, v1, v14 clamp
	v_cmp_lt_u32_e32 vcc_lo, v4, v15
	v_cndmask_b32_e32 v5, v5, v8, vcc_lo
	v_cmp_gt_u32_e32 vcc_lo, 28, v2
	ds_bpermute_b32 v7, v6, v5
	v_cndmask_b32_e64 v8, 0, 1, vcc_lo
	s_delay_alu instid0(VALU_DEP_1) | instskip(SKIP_1) | instid1(VALU_DEP_1)
	v_lshlrev_b32_e32 v9, 2, v8
	v_add_nc_u32_e32 v8, 2, v2
	v_cmp_lt_u32_e32 vcc_lo, v8, v15
	s_waitcnt lgkmcnt(0)
	v_add_f32_e32 v10, v5, v7
	v_add_lshl_u32 v7, v9, v2, 2
	s_delay_alu instid0(VALU_DEP_2) | instskip(SKIP_3) | instid1(VALU_DEP_1)
	v_cndmask_b32_e32 v5, v5, v10, vcc_lo
	v_cmp_gt_u32_e32 vcc_lo, 24, v2
	ds_bpermute_b32 v9, v7, v5
	v_cndmask_b32_e64 v10, 0, 1, vcc_lo
	v_lshlrev_b32_e32 v11, 3, v10
	v_add_nc_u32_e32 v10, 4, v2
	s_delay_alu instid0(VALU_DEP_1) | instskip(SKIP_3) | instid1(VALU_DEP_2)
	v_cmp_lt_u32_e32 vcc_lo, v10, v15
	s_waitcnt lgkmcnt(0)
	v_add_f32_e32 v12, v5, v9
	v_add_lshl_u32 v9, v11, v2, 2
	v_cndmask_b32_e32 v5, v5, v12, vcc_lo
	v_cmp_gt_u32_e32 vcc_lo, 16, v2
	ds_bpermute_b32 v11, v9, v5
	v_cndmask_b32_e64 v12, 0, 1, vcc_lo
	s_delay_alu instid0(VALU_DEP_1) | instskip(SKIP_1) | instid1(VALU_DEP_1)
	v_lshlrev_b32_e32 v13, 4, v12
	v_add_nc_u32_e32 v12, 8, v2
	v_cmp_lt_u32_e32 vcc_lo, v12, v15
	s_waitcnt lgkmcnt(0)
	v_add_f32_e32 v16, v5, v11
	v_add_lshl_u32 v11, v13, v2, 2
	v_add_nc_u32_e32 v13, 16, v2
	s_delay_alu instid0(VALU_DEP_3) | instskip(NEXT) | instid1(VALU_DEP_2)
	v_cndmask_b32_e32 v5, v5, v16, vcc_lo
	v_cmp_lt_u32_e32 vcc_lo, v13, v15
	ds_bpermute_b32 v16, v11, v5
	s_waitcnt lgkmcnt(0)
	v_add_f32_e32 v16, v5, v16
	s_delay_alu instid0(VALU_DEP_1)
	v_cndmask_b32_e32 v5, v5, v16, vcc_lo
	s_and_saveexec_b32 s4, s5
	s_cbranch_execz .LBB1_9
; %bb.8:
	v_lshrrev_b32_e32 v15, 3, v0
	s_delay_alu instid0(VALU_DEP_1)
	v_and_b32_e32 v15, 0x7c, v15
	ds_store_b32 v15, v5 offset:256
.LBB1_9:
	s_or_b32 exec_lo, exec_lo, s4
	v_cmp_gt_u32_e64 s6, 32, v0
	v_lshlrev_b32_e32 v15, 2, v2
	s_waitcnt lgkmcnt(0)
	s_barrier
	buffer_gl0_inv
	s_and_saveexec_b32 s4, s6
	s_cbranch_execz .LBB1_11
; %bb.10:
	ds_load_b32 v2, v15 offset:256
	v_add_nc_u32_e32 v1, 31, v1
	s_delay_alu instid0(VALU_DEP_1) | instskip(NEXT) | instid1(VALU_DEP_1)
	v_lshrrev_b32_e32 v1, 5, v1
	v_cmp_lt_u32_e32 vcc_lo, v4, v1
	s_waitcnt lgkmcnt(0)
	ds_bpermute_b32 v5, v3, v2
	s_waitcnt lgkmcnt(0)
	v_add_f32_e32 v5, v2, v5
	s_delay_alu instid0(VALU_DEP_1) | instskip(SKIP_4) | instid1(VALU_DEP_1)
	v_cndmask_b32_e32 v2, v2, v5, vcc_lo
	v_cmp_lt_u32_e32 vcc_lo, v8, v1
	ds_bpermute_b32 v5, v6, v2
	s_waitcnt lgkmcnt(0)
	v_add_f32_e32 v5, v2, v5
	v_cndmask_b32_e32 v2, v2, v5, vcc_lo
	v_cmp_lt_u32_e32 vcc_lo, v10, v1
	ds_bpermute_b32 v5, v7, v2
	s_waitcnt lgkmcnt(0)
	v_add_f32_e32 v5, v2, v5
	s_delay_alu instid0(VALU_DEP_1) | instskip(SKIP_4) | instid1(VALU_DEP_1)
	v_cndmask_b32_e32 v2, v2, v5, vcc_lo
	v_cmp_lt_u32_e32 vcc_lo, v12, v1
	ds_bpermute_b32 v5, v9, v2
	s_waitcnt lgkmcnt(0)
	v_add_f32_e32 v5, v2, v5
	v_cndmask_b32_e32 v2, v2, v5, vcc_lo
	v_cmp_lt_u32_e32 vcc_lo, v13, v1
	ds_bpermute_b32 v5, v11, v2
	s_waitcnt lgkmcnt(0)
	v_add_f32_e32 v5, v2, v5
	s_delay_alu instid0(VALU_DEP_1)
	v_cndmask_b32_e32 v5, v2, v5, vcc_lo
.LBB1_11:
	s_or_b32 exec_lo, exec_lo, s4
	v_cmp_eq_u32_e64 s4, 0, v0
	s_mov_b32 s25, 0
	s_delay_alu instid0(VALU_DEP_1)
	s_and_saveexec_b32 s7, s4
	s_cbranch_execz .LBB1_13
; %bb.12:
	v_cvt_f32_i32_e32 v1, s21
	s_delay_alu instid0(VALU_DEP_1) | instskip(SKIP_1) | instid1(VALU_DEP_2)
	v_div_scale_f32 v2, null, v1, v1, v5
	v_div_scale_f32 v18, vcc_lo, v5, v1, v5
	v_rcp_f32_e32 v16, v2
	s_waitcnt_depctr 0xfff
	v_fma_f32 v17, -v2, v16, 1.0
	s_delay_alu instid0(VALU_DEP_1) | instskip(NEXT) | instid1(VALU_DEP_1)
	v_fmac_f32_e32 v16, v17, v16
	v_mul_f32_e32 v17, v18, v16
	s_delay_alu instid0(VALU_DEP_1) | instskip(NEXT) | instid1(VALU_DEP_1)
	v_fma_f32 v19, -v2, v17, v18
	v_fmac_f32_e32 v17, v19, v16
	s_delay_alu instid0(VALU_DEP_1) | instskip(NEXT) | instid1(VALU_DEP_1)
	v_fma_f32 v2, -v2, v17, v18
	v_div_fmas_f32 v2, v2, v16, v17
	s_delay_alu instid0(VALU_DEP_1) | instskip(NEXT) | instid1(VALU_DEP_1)
	v_div_fixup_f32 v1, v2, v1, v5
	v_add_f32_e32 v1, s20, v1
	s_delay_alu instid0(VALU_DEP_1) | instskip(SKIP_1) | instid1(VALU_DEP_2)
	v_mul_f32_e32 v2, 0x4b800000, v1
	v_cmp_gt_f32_e32 vcc_lo, 0x800000, v1
	v_cndmask_b32_e32 v1, v1, v2, vcc_lo
	s_delay_alu instid0(VALU_DEP_1) | instskip(SKIP_2) | instid1(VALU_DEP_1)
	v_rsq_f32_e32 v1, v1
	s_waitcnt_depctr 0xfff
	v_mul_f32_e32 v2, 0x45800000, v1
	v_dual_cndmask_b32 v1, v1, v2 :: v_dual_mov_b32 v2, 0
	ds_store_b32 v2, v1 offset:520
.LBB1_13:
	s_or_b32 exec_lo, exec_lo, s7
	v_mov_b32_e32 v1, 0
	s_waitcnt lgkmcnt(0)
	s_barrier
	buffer_gl0_inv
                                        ; implicit-def: $sgpr7
                                        ; implicit-def: $sgpr8_sgpr9
	ds_load_b32 v5, v1 offset:520
	s_waitcnt lgkmcnt(0)
	s_barrier
	buffer_gl0_inv
	s_and_saveexec_b32 s10, s3
	s_delay_alu instid0(SALU_CYCLE_1)
	s_xor_b32 s3, exec_lo, s10
; %bb.14:
	s_add_u32 s8, s0, 64
	s_addc_u32 s9, s1, 0
	s_mov_b32 s7, 0
; %bb.15:
	s_or_saveexec_b32 s3, s3
	v_dual_mov_b32 v16, s7 :: v_dual_mov_b32 v1, s8
	v_mov_b32_e32 v2, s9
	s_mul_hi_u32 s11, s21, s24
	s_mul_i32 s30, s21, s24
	s_mul_hi_u32 s23, s22, s24
	s_mul_i32 s34, s22, s24
	s_xor_b32 exec_lo, exec_lo, s3
	s_cbranch_execz .LBB1_19
; %bb.16:
	s_load_b32 s36, s[0:1], 0x4c
	s_ashr_i32 s8, s22, 31
	s_ashr_i32 s7, s21, 31
	s_mul_i32 s8, s8, s24
	s_mul_i32 s7, s7, s24
	s_add_i32 s35, s23, s8
	s_add_i32 s31, s11, s7
	s_lshl_b64 s[8:9], s[34:35], 2
	v_dual_mov_b32 v2, 0 :: v_dual_mov_b32 v1, v0
	s_add_u32 s7, s16, s8
	s_addc_u32 s10, s17, s9
	s_lshl_b64 s[8:9], s[30:31], 2
	v_mov_b32_e32 v16, 0
	s_add_u32 s31, s28, s8
	s_addc_u32 s33, s29, s9
	s_add_u32 s8, s0, 64
	s_addc_u32 s9, s1, 0
	s_mov_b32 s35, 0
	s_waitcnt lgkmcnt(0)
	s_and_b32 s36, s36, 0xffff
	.p2align	6
.LBB1_17:                               ; =>This Inner Loop Header: Depth=1
	v_lshlrev_b64 v[17:18], 2, v[1:2]
	v_add_nc_u32_e32 v1, s36, v1
	s_delay_alu instid0(VALU_DEP_2) | instskip(NEXT) | instid1(VALU_DEP_3)
	v_add_co_u32 v19, vcc_lo, s7, v17
	v_add_co_ci_u32_e32 v20, vcc_lo, s10, v18, vcc_lo
	v_add_co_u32 v21, vcc_lo, s31, v17
	v_add_co_ci_u32_e32 v22, vcc_lo, s33, v18, vcc_lo
	global_load_b32 v19, v[19:20], off
	global_load_b32 v20, v[21:22], off
	v_add_co_u32 v17, vcc_lo, s18, v17
	v_add_co_ci_u32_e32 v18, vcc_lo, s19, v18, vcc_lo
	v_cmp_le_u32_e32 vcc_lo, s21, v1
	global_load_b32 v17, v[17:18], off
	s_or_b32 s35, vcc_lo, s35
	s_waitcnt vmcnt(1)
	v_add_f32_e32 v18, v19, v20
	s_delay_alu instid0(VALU_DEP_1) | instskip(SKIP_1) | instid1(VALU_DEP_1)
	v_mul_f32_e32 v18, v5, v18
	s_waitcnt vmcnt(0)
	v_dual_max_f32 v16, v16, v16 :: v_dual_mul_f32 v17, v17, v18
	s_delay_alu instid0(VALU_DEP_1)
	v_max_f32_e64 v16, v16, |v17|
	s_and_not1_b32 exec_lo, exec_lo, s35
	s_cbranch_execnz .LBB1_17
; %bb.18:
	s_or_b32 exec_lo, exec_lo, s35
	v_dual_mov_b32 v1, s8 :: v_dual_mov_b32 v2, s9
.LBB1_19:
	s_or_b32 exec_lo, exec_lo, s3
	global_load_b32 v17, v[1:2], off
	s_waitcnt vmcnt(0)
	v_cmp_lt_u32_e32 vcc_lo, s24, v17
	v_cndmask_b32_e64 v17, 18, 12, vcc_lo
	s_delay_alu instid0(VALU_DEP_1)
	v_add_co_u32 v1, vcc_lo, v1, v17
	v_add_co_ci_u32_e32 v2, vcc_lo, 0, v2, vcc_lo
	global_load_u16 v1, v[1:2], off
	ds_bpermute_b32 v2, v3, v16
	s_waitcnt lgkmcnt(0)
	v_cmp_lt_f32_e32 vcc_lo, v16, v2
	v_cndmask_b32_e32 v2, v16, v2, vcc_lo
	s_waitcnt vmcnt(0)
	v_sub_nc_u32_e64 v14, v1, v14 clamp
	s_delay_alu instid0(VALU_DEP_1)
	v_cmp_lt_u32_e32 vcc_lo, v4, v14
	v_cmp_lt_u32_e64 s9, v13, v14
	v_cndmask_b32_e32 v2, v16, v2, vcc_lo
	ds_bpermute_b32 v17, v6, v2
	s_waitcnt lgkmcnt(0)
	v_cmp_lt_f32_e64 s3, v2, v17
	s_delay_alu instid0(VALU_DEP_1) | instskip(SKIP_1) | instid1(VALU_DEP_1)
	v_cndmask_b32_e64 v17, v2, v17, s3
	v_cmp_lt_u32_e64 s3, v8, v14
	v_cndmask_b32_e64 v2, v2, v17, s3
	s_or_b32 s3, vcc_lo, s3
	ds_bpermute_b32 v17, v7, v2
	s_waitcnt lgkmcnt(0)
	v_cmp_lt_f32_e64 s7, v2, v17
	s_delay_alu instid0(VALU_DEP_1) | instskip(SKIP_1) | instid1(VALU_DEP_1)
	v_cndmask_b32_e64 v17, v2, v17, s7
	v_cmp_lt_u32_e64 s7, v10, v14
	v_cndmask_b32_e64 v2, v2, v17, s7
	s_or_b32 s3, s7, s3
	ds_bpermute_b32 v17, v9, v2
	s_waitcnt lgkmcnt(0)
	v_cmp_lt_f32_e64 s8, v2, v17
	s_delay_alu instid0(VALU_DEP_1) | instskip(SKIP_1) | instid1(VALU_DEP_1)
	v_cndmask_b32_e64 v17, v2, v17, s8
	v_cmp_lt_u32_e64 s8, v12, v14
	v_cndmask_b32_e64 v2, v2, v17, s8
	s_or_b32 s3, s8, s3
	ds_bpermute_b32 v17, v11, v2
	s_waitcnt lgkmcnt(0)
	v_cmp_lt_f32_e64 s10, v2, v17
	s_delay_alu instid0(VALU_DEP_1) | instskip(SKIP_2) | instid1(VALU_DEP_1)
	s_and_b32 vcc_lo, s9, s10
	v_cndmask_b32_e32 v2, v2, v17, vcc_lo
	s_or_b32 vcc_lo, s9, s3
	v_cndmask_b32_e32 v2, v16, v2, vcc_lo
	s_and_saveexec_b32 s3, s5
	s_cbranch_execz .LBB1_21
; %bb.20:
	v_lshrrev_b32_e32 v14, 3, v0
	s_delay_alu instid0(VALU_DEP_1)
	v_and_b32_e32 v14, 0x7c, v14
	ds_store_b32 v14, v2 offset:384
.LBB1_21:
	s_or_b32 exec_lo, exec_lo, s3
	s_waitcnt lgkmcnt(0)
	s_barrier
	buffer_gl0_inv
	s_and_saveexec_b32 s9, s6
	s_cbranch_execz .LBB1_23
; %bb.22:
	ds_load_b32 v2, v15 offset:384
	v_add_nc_u32_e32 v1, 31, v1
	s_delay_alu instid0(VALU_DEP_1) | instskip(NEXT) | instid1(VALU_DEP_1)
	v_lshrrev_b32_e32 v1, 5, v1
	v_cmp_lt_u32_e64 s7, v13, v1
	s_waitcnt lgkmcnt(0)
	ds_bpermute_b32 v3, v3, v2
	s_waitcnt lgkmcnt(0)
	v_cmp_lt_f32_e32 vcc_lo, v2, v3
	v_cndmask_b32_e32 v3, v2, v3, vcc_lo
	v_cmp_lt_u32_e32 vcc_lo, v4, v1
	s_delay_alu instid0(VALU_DEP_2) | instskip(SKIP_3) | instid1(VALU_DEP_1)
	v_cndmask_b32_e32 v3, v2, v3, vcc_lo
	ds_bpermute_b32 v4, v6, v3
	s_waitcnt lgkmcnt(0)
	v_cmp_lt_f32_e64 s3, v3, v4
	v_cndmask_b32_e64 v4, v3, v4, s3
	v_cmp_lt_u32_e64 s3, v8, v1
	s_delay_alu instid0(VALU_DEP_1) | instskip(SKIP_4) | instid1(VALU_DEP_1)
	v_cndmask_b32_e64 v3, v3, v4, s3
	s_or_b32 s3, vcc_lo, s3
	ds_bpermute_b32 v4, v7, v3
	s_waitcnt lgkmcnt(0)
	v_cmp_lt_f32_e64 s5, v3, v4
	v_cndmask_b32_e64 v4, v3, v4, s5
	v_cmp_lt_u32_e64 s5, v10, v1
	s_delay_alu instid0(VALU_DEP_1) | instskip(SKIP_4) | instid1(VALU_DEP_1)
	v_cndmask_b32_e64 v3, v3, v4, s5
	s_or_b32 s3, s5, s3
	ds_bpermute_b32 v4, v9, v3
	s_waitcnt lgkmcnt(0)
	v_cmp_lt_f32_e64 s6, v3, v4
	v_cndmask_b32_e64 v4, v3, v4, s6
	v_cmp_lt_u32_e64 s6, v12, v1
	s_delay_alu instid0(VALU_DEP_1) | instskip(SKIP_4) | instid1(VALU_DEP_1)
	v_cndmask_b32_e64 v3, v3, v4, s6
	s_or_b32 s3, s6, s3
	ds_bpermute_b32 v4, v11, v3
	s_waitcnt lgkmcnt(0)
	v_cmp_lt_f32_e64 s8, v3, v4
	s_and_b32 vcc_lo, s7, s8
	v_cndmask_b32_e32 v1, v3, v4, vcc_lo
	s_or_b32 vcc_lo, s7, s3
	s_delay_alu instid0(VALU_DEP_1)
	v_cndmask_b32_e32 v2, v2, v1, vcc_lo
.LBB1_23:
	s_or_b32 exec_lo, exec_lo, s9
	s_and_saveexec_b32 s3, s4
	s_cbranch_execz .LBB1_27
; %bb.24:
	s_cmp_eq_u64 s[26:27], 0
	s_cbranch_scc1 .LBB1_26
; %bb.25:
	s_load_b32 s4, s[26:27], 0x0
	v_max_f32_e32 v1, v2, v2
	s_waitcnt lgkmcnt(0)
	v_max_f32_e64 v2, s4, s4
	s_delay_alu instid0(VALU_DEP_1)
	v_min_f32_e32 v2, v1, v2
.LBB1_26:
	s_delay_alu instid0(VALU_DEP_1) | instskip(SKIP_2) | instid1(VALU_DEP_2)
	v_div_scale_f32 v1, null, 0x43600000, 0x43600000, v2
	v_div_scale_f32 v6, vcc_lo, v2, 0x43600000, v2
	s_lshl_b64 s[4:5], s[24:25], 2
	v_rcp_f32_e32 v3, v1
	s_add_u32 s4, s14, s4
	s_addc_u32 s5, s15, s5
	s_waitcnt_depctr 0xfff
	v_fma_f32 v4, -v1, v3, 1.0
	s_delay_alu instid0(VALU_DEP_1) | instskip(NEXT) | instid1(VALU_DEP_1)
	v_fmac_f32_e32 v3, v4, v3
	v_mul_f32_e32 v4, v6, v3
	s_delay_alu instid0(VALU_DEP_1) | instskip(NEXT) | instid1(VALU_DEP_1)
	v_fma_f32 v7, -v1, v4, v6
	v_fmac_f32_e32 v4, v7, v3
	s_delay_alu instid0(VALU_DEP_1) | instskip(NEXT) | instid1(VALU_DEP_1)
	v_fma_f32 v1, -v1, v4, v6
	v_div_fmas_f32 v1, v1, v3, v4
	s_delay_alu instid0(VALU_DEP_1) | instskip(NEXT) | instid1(VALU_DEP_1)
	v_div_fixup_f32 v1, v1, 0x43600000, v2
	v_dual_mov_b32 v2, 0 :: v_dual_max_f32 v1, 0x37124925, v1
	ds_store_b32 v2, v1 offset:524
	global_store_b32 v2, v1, s[4:5]
.LBB1_27:
	s_or_b32 exec_lo, exec_lo, s3
	s_waitcnt lgkmcnt(0)
	s_waitcnt_vscnt null, 0x0
	s_barrier
	buffer_gl0_inv
	s_and_saveexec_b32 s3, s2
	s_cbranch_execz .LBB1_38
; %bb.28:
	v_dual_mov_b32 v2, 0 :: v_dual_mov_b32 v1, v0
	s_load_b32 s2, s[0:1], 0x4c
	s_ashr_i32 s4, s22, 31
	s_ashr_i32 s5, s21, 31
	ds_load_b32 v6, v2 offset:524
	s_mul_i32 s4, s4, s24
	s_mul_i32 s5, s5, s24
	s_add_i32 s35, s23, s4
	s_add_i32 s4, s11, s5
	s_lshl_b64 s[6:7], s[34:35], 2
	s_mov_b32 s8, 0
	s_add_u32 s5, s16, s6
	s_addc_u32 s6, s17, s7
	s_mov_b32 s9, 0x43600000
	s_waitcnt lgkmcnt(0)
	s_and_b32 s7, s2, 0xffff
	s_branch .LBB1_31
.LBB1_29:                               ;   in Loop: Header=BB1_31 Depth=1
	s_or_b32 exec_lo, exec_lo, s11
.LBB1_30:                               ;   in Loop: Header=BB1_31 Depth=1
	s_delay_alu instid0(SALU_CYCLE_1) | instskip(SKIP_2) | instid1(VALU_DEP_1)
	s_or_b32 exec_lo, exec_lo, s2
	v_add_nc_u32_e32 v1, s7, v1
	v_add_co_u32 v3, s2, s12, v3
	v_add_co_ci_u32_e64 v4, s2, s13, v4, s2
	s_delay_alu instid0(VALU_DEP_3) | instskip(SKIP_2) | instid1(SALU_CYCLE_1)
	v_cmp_le_u32_e32 vcc_lo, s21, v1
	global_store_b8 v[3:4], v9, off
	s_or_b32 s8, vcc_lo, s8
	s_and_not1_b32 exec_lo, exec_lo, s8
	s_cbranch_execz .LBB1_38
.LBB1_31:                               ; =>This Inner Loop Header: Depth=1
	v_add_co_u32 v3, s2, s30, v1
	s_delay_alu instid0(VALU_DEP_1) | instskip(SKIP_2) | instid1(VALU_DEP_2)
	v_add_co_ci_u32_e64 v4, null, s4, 0, s2
	v_lshlrev_b64 v[7:8], 2, v[1:2]
	s_mov_b32 s2, exec_lo
	v_lshlrev_b64 v[9:10], 2, v[3:4]
	s_delay_alu instid0(VALU_DEP_2) | instskip(NEXT) | instid1(VALU_DEP_3)
	v_add_co_u32 v11, vcc_lo, s5, v7
	v_add_co_ci_u32_e32 v12, vcc_lo, s6, v8, vcc_lo
	s_delay_alu instid0(VALU_DEP_3) | instskip(NEXT) | instid1(VALU_DEP_4)
	v_add_co_u32 v13, vcc_lo, s28, v9
	v_add_co_ci_u32_e32 v14, vcc_lo, s29, v10, vcc_lo
	v_add_co_u32 v7, vcc_lo, s18, v7
	global_load_b32 v9, v[11:12], off
	global_load_b32 v10, v[13:14], off
	v_add_co_ci_u32_e32 v8, vcc_lo, s19, v8, vcc_lo
	global_load_b32 v7, v[7:8], off
	s_waitcnt vmcnt(1)
	v_add_f32_e32 v10, v9, v10
	s_delay_alu instid0(VALU_DEP_1) | instskip(SKIP_1) | instid1(VALU_DEP_1)
	v_mul_f32_e32 v8, v5, v10
	s_waitcnt vmcnt(0)
	v_mul_f32_e32 v7, v8, v7
	global_store_b32 v[13:14], v10, off
	v_div_scale_f32 v8, null, v6, v6, v7
	v_div_scale_f32 v12, vcc_lo, v7, v6, v7
	s_delay_alu instid0(VALU_DEP_2) | instskip(SKIP_2) | instid1(VALU_DEP_1)
	v_rcp_f32_e32 v9, v8
	s_waitcnt_depctr 0xfff
	v_fma_f32 v11, -v8, v9, 1.0
	v_fmac_f32_e32 v9, v11, v9
	s_delay_alu instid0(VALU_DEP_1) | instskip(NEXT) | instid1(VALU_DEP_1)
	v_mul_f32_e32 v11, v12, v9
	v_fma_f32 v15, -v8, v11, v12
	s_delay_alu instid0(VALU_DEP_1) | instskip(NEXT) | instid1(VALU_DEP_1)
	v_fmac_f32_e32 v11, v15, v9
	v_fma_f32 v8, -v8, v11, v12
	s_delay_alu instid0(VALU_DEP_1) | instskip(SKIP_1) | instid1(VALU_DEP_2)
	v_div_fmas_f32 v8, v8, v9, v11
	v_mov_b32_e32 v9, 0x80
	v_div_fixup_f32 v7, v8, v6, v7
	s_delay_alu instid0(VALU_DEP_1) | instskip(NEXT) | instid1(VALU_DEP_1)
	v_minmax_f32 v7, v7, s9, 0xc3600000
	v_and_b32_e32 v8, 0x7fffffff, v7
	s_delay_alu instid0(VALU_DEP_1)
	v_cmpx_gt_u32_e32 0x43800000, v8
	s_cbranch_execz .LBB1_30
; %bb.32:                               ;   in Loop: Header=BB1_31 Depth=1
	v_cmp_lt_u32_e32 vcc_lo, 0x3bffffff, v8
	s_mov_b32 s10, 0
                                        ; implicit-def: $vgpr8
	s_and_saveexec_b32 s11, vcc_lo
	s_delay_alu instid0(SALU_CYCLE_1)
	s_xor_b32 s11, exec_lo, s11
	s_cbranch_execnz .LBB1_35
; %bb.33:                               ;   in Loop: Header=BB1_31 Depth=1
	s_or_saveexec_b32 s11, s11
                                        ; implicit-def: $sgpr23
	s_delay_alu instid0(SALU_CYCLE_1)
	s_xor_b32 exec_lo, exec_lo, s11
	s_cbranch_execnz .LBB1_36
.LBB1_34:                               ;   in Loop: Header=BB1_31 Depth=1
	s_or_b32 exec_lo, exec_lo, s11
	v_mov_b32_e32 v9, s23
	s_and_saveexec_b32 s11, s10
	s_cbranch_execz .LBB1_29
	s_branch .LBB1_37
.LBB1_35:                               ;   in Loop: Header=BB1_31 Depth=1
	v_bfe_u32 v8, v7, 20, 1
	s_mov_b32 s10, exec_lo
	s_delay_alu instid0(VALU_DEP_1) | instskip(NEXT) | instid1(VALU_DEP_1)
	v_add3_u32 v8, v7, v8, 0x487ffff
	v_lshrrev_b32_e32 v8, 20, v8
	s_or_saveexec_b32 s11, s11
                                        ; implicit-def: $sgpr23
	s_delay_alu instid0(SALU_CYCLE_1)
	s_xor_b32 exec_lo, exec_lo, s11
	s_cbranch_execz .LBB1_34
.LBB1_36:                               ;   in Loop: Header=BB1_31 Depth=1
	v_add_f32_e64 v8, 0x46000000, |v7|
	s_and_not1_b32 s10, s10, exec_lo
	s_mov_b32 s23, 0
	s_delay_alu instid0(VALU_DEP_1) | instskip(NEXT) | instid1(VALU_DEP_1)
	v_and_b32_e32 v8, 0xff, v8
	v_cmp_ne_u32_e32 vcc_lo, 0, v8
	s_and_b32 s25, vcc_lo, exec_lo
	s_delay_alu instid0(SALU_CYCLE_1)
	s_or_b32 s10, s10, s25
	s_or_b32 exec_lo, exec_lo, s11
	v_mov_b32_e32 v9, s23
	s_and_saveexec_b32 s11, s10
	s_cbranch_execz .LBB1_29
.LBB1_37:                               ;   in Loop: Header=BB1_31 Depth=1
	v_lshrrev_b32_e32 v7, 24, v7
	s_delay_alu instid0(VALU_DEP_1)
	v_and_or_b32 v9, 0x80, v7, v8
	s_branch .LBB1_29
.LBB1_38:
	s_or_b32 exec_lo, exec_lo, s3
	s_branch .LBB1_211
.LBB1_39:
	s_cbranch_execz .LBB1_211
; %bb.40:
	s_ashr_i32 s2, s22, 31
	s_mul_hi_u32 s3, s22, s24
	s_mul_i32 s2, s2, s24
	s_ashr_i32 s4, s21, 31
	s_add_i32 s5, s3, s2
	s_load_b32 s3, s[0:1], 0x40
	s_mul_i32 s6, s4, s24
	s_mul_i32 s4, s22, s24
	s_mul_hi_u32 s2, s21, s24
	s_lshl_b64 s[4:5], s[4:5], 2
	s_add_i32 s11, s2, s6
	s_mul_i32 s10, s21, s24
	s_add_u32 s9, s16, s4
	s_addc_u32 s16, s17, s5
	s_lshl_b64 s[4:5], s[10:11], 2
	v_mov_b32_e32 v10, 0
	s_add_u32 s17, s28, s4
	s_addc_u32 s22, s29, s5
	s_ashr_i32 s23, s21, 2
	s_add_u32 s0, s0, 64
	v_cmp_gt_u32_e64 s2, s23, v0
	s_mov_b32 s25, 0
	s_addc_u32 s1, s1, 0
	s_delay_alu instid0(VALU_DEP_1)
	s_and_saveexec_b32 s4, s2
	s_cbranch_execz .LBB1_50
; %bb.41:
	s_waitcnt lgkmcnt(0)
	s_cmp_lt_u32 s24, s3
	v_mov_b32_e32 v2, 0
	s_cselect_b32 s5, 12, 18
	v_mov_b32_e32 v1, v0
	s_add_u32 s6, s0, s5
	s_addc_u32 s7, s1, 0
	s_mov_b32 s5, s25
	global_load_u16 v6, v2, s[6:7]
                                        ; implicit-def: $sgpr6
	s_waitcnt vmcnt(0)
	v_add_nc_u32_e32 v9, v6, v6
	v_mul_lo_u32 v7, v6, 3
	v_lshlrev_b32_e32 v8, 1, v6
	v_mov_b32_e32 v10, v2
	s_branch .LBB1_45
.LBB1_42:                               ;   in Loop: Header=BB1_45 Depth=1
	s_or_b32 exec_lo, exec_lo, s28
	s_delay_alu instid0(SALU_CYCLE_1)
	s_or_not1_b32 s28, s29, exec_lo
.LBB1_43:                               ;   in Loop: Header=BB1_45 Depth=1
	s_or_b32 exec_lo, exec_lo, s8
	s_delay_alu instid0(SALU_CYCLE_1) | instskip(SKIP_1) | instid1(SALU_CYCLE_1)
	s_and_not1_b32 s6, s6, exec_lo
	s_and_b32 s8, s28, exec_lo
	s_or_b32 s6, s6, s8
.LBB1_44:                               ;   in Loop: Header=BB1_45 Depth=1
	s_or_b32 exec_lo, exec_lo, s7
	s_delay_alu instid0(SALU_CYCLE_1) | instskip(NEXT) | instid1(SALU_CYCLE_1)
	s_and_b32 s7, exec_lo, s6
	s_or_b32 s5, s7, s5
	s_delay_alu instid0(SALU_CYCLE_1)
	s_and_not1_b32 exec_lo, exec_lo, s5
	s_cbranch_execz .LBB1_49
.LBB1_45:                               ; =>This Inner Loop Header: Depth=1
	v_lshlrev_b64 v[3:4], 4, v[1:2]
	s_or_b32 s6, s6, exec_lo
	s_mov_b32 s7, exec_lo
	s_delay_alu instid0(VALU_DEP_1) | instskip(NEXT) | instid1(VALU_DEP_2)
	v_add_co_u32 v11, vcc_lo, s9, v3
	v_add_co_ci_u32_e32 v12, vcc_lo, s16, v4, vcc_lo
	v_add_co_u32 v3, vcc_lo, s17, v3
	v_add_co_ci_u32_e32 v4, vcc_lo, s22, v4, vcc_lo
	global_load_b128 v[11:14], v[11:12], off
	global_load_b128 v[15:18], v[3:4], off
	s_waitcnt vmcnt(0)
	v_dual_add_f32 v3, v11, v15 :: v_dual_add_f32 v4, v12, v16
	s_delay_alu instid0(VALU_DEP_1) | instskip(NEXT) | instid1(VALU_DEP_1)
	v_dual_fmac_f32 v10, v3, v3 :: v_dual_add_f32 v3, v13, v17
	v_fmac_f32_e32 v10, v4, v4
	v_add_f32_e32 v4, v14, v18
	s_delay_alu instid0(VALU_DEP_2) | instskip(NEXT) | instid1(VALU_DEP_1)
	v_dual_fmac_f32 v10, v3, v3 :: v_dual_add_nc_u32 v3, v1, v6
	v_fmac_f32_e32 v10, v4, v4
	s_delay_alu instid0(VALU_DEP_2)
	v_cmpx_gt_u32_e64 s23, v3
	s_cbranch_execz .LBB1_44
; %bb.46:                               ;   in Loop: Header=BB1_45 Depth=1
	v_mov_b32_e32 v4, v2
	s_mov_b32 s28, -1
	s_mov_b32 s8, exec_lo
	s_delay_alu instid0(VALU_DEP_1) | instskip(NEXT) | instid1(VALU_DEP_1)
	v_lshlrev_b64 v[4:5], 4, v[3:4]
	v_add_co_u32 v11, vcc_lo, s9, v4
	s_delay_alu instid0(VALU_DEP_2)
	v_add_co_ci_u32_e32 v12, vcc_lo, s16, v5, vcc_lo
	v_add_co_u32 v4, vcc_lo, s17, v4
	v_add_co_ci_u32_e32 v5, vcc_lo, s22, v5, vcc_lo
	global_load_b128 v[11:14], v[11:12], off
	global_load_b128 v[15:18], v[4:5], off
	s_waitcnt vmcnt(0)
	v_dual_add_f32 v5, v12, v16 :: v_dual_add_f32 v4, v11, v15
	s_delay_alu instid0(VALU_DEP_1) | instskip(SKIP_1) | instid1(VALU_DEP_2)
	v_fmac_f32_e32 v10, v4, v4
	v_add_f32_e32 v4, v13, v17
	v_dual_fmac_f32 v10, v5, v5 :: v_dual_add_f32 v5, v14, v18
	s_delay_alu instid0(VALU_DEP_1) | instskip(SKIP_1) | instid1(VALU_DEP_2)
	v_fmac_f32_e32 v10, v4, v4
	v_add_nc_u32_e32 v4, v8, v1
	v_fmac_f32_e32 v10, v5, v5
	s_delay_alu instid0(VALU_DEP_2)
	v_cmpx_gt_u32_e64 s23, v4
	s_cbranch_execz .LBB1_43
; %bb.47:                               ;   in Loop: Header=BB1_45 Depth=1
	v_mov_b32_e32 v5, v2
	s_mov_b32 s29, -1
	s_mov_b32 s28, exec_lo
	v_add_nc_u32_e32 v1, v7, v1
	s_delay_alu instid0(VALU_DEP_2) | instskip(NEXT) | instid1(VALU_DEP_1)
	v_lshlrev_b64 v[4:5], 4, v[4:5]
	v_add_co_u32 v11, vcc_lo, s9, v4
	s_delay_alu instid0(VALU_DEP_2)
	v_add_co_ci_u32_e32 v12, vcc_lo, s16, v5, vcc_lo
	v_add_co_u32 v4, vcc_lo, s17, v4
	v_add_co_ci_u32_e32 v5, vcc_lo, s22, v5, vcc_lo
	global_load_b128 v[11:14], v[11:12], off
	global_load_b128 v[15:18], v[4:5], off
	s_waitcnt vmcnt(0)
	v_dual_add_f32 v4, v11, v15 :: v_dual_add_f32 v5, v12, v16
	s_delay_alu instid0(VALU_DEP_1) | instskip(SKIP_1) | instid1(VALU_DEP_2)
	v_fmac_f32_e32 v10, v4, v4
	v_add_f32_e32 v4, v13, v17
	v_dual_fmac_f32 v10, v5, v5 :: v_dual_add_f32 v5, v14, v18
	s_delay_alu instid0(VALU_DEP_1) | instskip(NEXT) | instid1(VALU_DEP_1)
	v_fmac_f32_e32 v10, v4, v4
	v_fmac_f32_e32 v10, v5, v5
	v_cmpx_gt_u32_e64 s23, v1
	s_xor_b32 s28, exec_lo, s28
	s_cbranch_execz .LBB1_42
; %bb.48:                               ;   in Loop: Header=BB1_45 Depth=1
	v_lshlrev_b64 v[4:5], 4, v[1:2]
	s_delay_alu instid0(VALU_DEP_1) | instskip(NEXT) | instid1(VALU_DEP_2)
	v_add_co_u32 v11, vcc_lo, s9, v4
	v_add_co_ci_u32_e32 v12, vcc_lo, s16, v5, vcc_lo
	v_add_co_u32 v4, vcc_lo, s17, v4
	v_add_co_ci_u32_e32 v5, vcc_lo, s22, v5, vcc_lo
	global_load_b128 v[11:14], v[11:12], off
	global_load_b128 v[15:18], v[4:5], off
	s_waitcnt vmcnt(0)
	v_dual_add_f32 v1, v11, v15 :: v_dual_add_f32 v4, v12, v16
	s_delay_alu instid0(VALU_DEP_1) | instskip(SKIP_2) | instid1(VALU_DEP_3)
	v_fmac_f32_e32 v10, v1, v1
	v_add3_u32 v1, v9, v6, v3
	v_add_f32_e32 v3, v14, v18
	v_dual_add_f32 v5, v13, v17 :: v_dual_fmac_f32 v10, v4, v4
	s_delay_alu instid0(VALU_DEP_3) | instskip(NEXT) | instid1(VALU_DEP_2)
	v_cmp_le_u32_e32 vcc_lo, s23, v1
	v_fmac_f32_e32 v10, v5, v5
	s_or_not1_b32 s29, vcc_lo, exec_lo
	s_delay_alu instid0(VALU_DEP_1)
	v_fmac_f32_e32 v10, v3, v3
	s_branch .LBB1_42
.LBB1_49:
	s_or_b32 exec_lo, exec_lo, s5
.LBB1_50:
	s_delay_alu instid0(SALU_CYCLE_1)
	s_or_b32 exec_lo, exec_lo, s4
	s_waitcnt lgkmcnt(0)
	s_cmp_lt_u32 s24, s3
	v_dual_mov_b32 v1, 0 :: v_dual_and_b32 v4, 0x3e0, v0
	s_cselect_b32 s3, 12, 18
	v_mbcnt_lo_u32_b32 v6, -1, 0
	s_add_u32 s0, s0, s3
	s_addc_u32 s1, s1, 0
	global_load_u16 v1, v1, s[0:1]
	v_cmp_ne_u32_e32 vcc_lo, 31, v6
	v_add_nc_u32_e32 v8, 1, v6
	v_add_nc_u32_e32 v11, 2, v6
	;; [unrolled: 1-line block ×3, first 2 shown]
	v_cmp_eq_u32_e64 s6, 0, v6
	v_add_co_ci_u32_e32 v2, vcc_lo, 0, v6, vcc_lo
	v_cmp_gt_u32_e32 vcc_lo, 30, v6
	s_delay_alu instid0(VALU_DEP_2)
	v_lshlrev_b32_e32 v7, 2, v2
	v_cndmask_b32_e64 v3, 0, 1, vcc_lo
	v_cmp_gt_u32_e32 vcc_lo, 28, v6
	ds_bpermute_b32 v2, v7, v10
	v_lshlrev_b32_e32 v3, 1, v3
	v_cndmask_b32_e64 v5, 0, 1, vcc_lo
	v_cmp_gt_u32_e32 vcc_lo, 24, v6
	s_waitcnt lgkmcnt(0)
	s_delay_alu instid0(VALU_DEP_2) | instskip(SKIP_4) | instid1(VALU_DEP_2)
	v_dual_add_f32 v2, v10, v2 :: v_dual_lshlrev_b32 v5, 2, v5
	v_add_lshl_u32 v9, v3, v6, 2
	s_waitcnt vmcnt(0)
	v_sub_nc_u32_e64 v4, v1, v4 clamp
	v_readfirstlane_b32 s28, v1
	v_cmp_lt_u32_e64 s0, v8, v4
	v_cmp_lt_u32_e64 s1, v11, v4
	v_cmp_lt_u32_e64 s8, v17, v4
	s_delay_alu instid0(VALU_DEP_3)
	v_cndmask_b32_e64 v2, v10, v2, s0
	v_add_lshl_u32 v10, v5, v6, 2
	v_cndmask_b32_e64 v5, 0, 1, vcc_lo
	v_cmp_gt_u32_e32 vcc_lo, 16, v6
	ds_bpermute_b32 v3, v9, v2
	v_lshlrev_b32_e32 v5, 3, v5
	s_delay_alu instid0(VALU_DEP_1) | instskip(SKIP_1) | instid1(VALU_DEP_1)
	v_add_lshl_u32 v12, v5, v6, 2
	v_cndmask_b32_e64 v5, 0, 1, vcc_lo
	v_lshlrev_b32_e32 v5, 4, v5
	s_delay_alu instid0(VALU_DEP_1) | instskip(SKIP_2) | instid1(VALU_DEP_1)
	v_add_lshl_u32 v15, v5, v6, 2
	s_waitcnt lgkmcnt(0)
	v_add_f32_e32 v3, v2, v3
	v_cndmask_b32_e64 v2, v2, v3, s1
	ds_bpermute_b32 v3, v10, v2
	s_waitcnt lgkmcnt(0)
	v_dual_add_f32 v3, v2, v3 :: v_dual_add_nc_u32 v14, 4, v6
	s_delay_alu instid0(VALU_DEP_1) | instskip(NEXT) | instid1(VALU_DEP_1)
	v_cmp_lt_u32_e64 s3, v14, v4
	v_cndmask_b32_e64 v2, v2, v3, s3
	ds_bpermute_b32 v3, v12, v2
	s_waitcnt lgkmcnt(0)
	v_dual_add_f32 v3, v2, v3 :: v_dual_add_nc_u32 v16, 8, v6
	s_delay_alu instid0(VALU_DEP_1) | instskip(NEXT) | instid1(VALU_DEP_1)
	v_cmp_lt_u32_e64 s5, v16, v4
	v_cndmask_b32_e64 v2, v2, v3, s5
	ds_bpermute_b32 v3, v15, v2
	s_waitcnt lgkmcnt(0)
	v_add_f32_e32 v3, v2, v3
	s_delay_alu instid0(VALU_DEP_1)
	v_cndmask_b32_e64 v1, v2, v3, s8
	s_and_saveexec_b32 s4, s6
	s_cbranch_execz .LBB1_52
; %bb.51:
	v_lshrrev_b32_e32 v2, 3, v0
	s_delay_alu instid0(VALU_DEP_1)
	v_and_b32_e32 v2, 0x7c, v2
	ds_store_b32 v2, v1
.LBB1_52:
	s_or_b32 exec_lo, exec_lo, s4
	v_cmp_gt_u32_e64 s7, 32, v0
	s_waitcnt lgkmcnt(0)
	s_waitcnt_vscnt null, 0x0
	s_barrier
	buffer_gl0_inv
	s_and_saveexec_b32 s4, s7
	s_cbranch_execz .LBB1_54
; %bb.53:
	v_lshlrev_b32_e32 v1, 2, v6
	s_add_i32 s29, s28, 31
	s_delay_alu instid0(SALU_CYCLE_1) | instskip(NEXT) | instid1(SALU_CYCLE_1)
	s_lshr_b32 s29, s29, 5
	v_cmp_gt_u32_e32 vcc_lo, s29, v8
	ds_load_b32 v1, v1
	s_waitcnt lgkmcnt(0)
	ds_bpermute_b32 v2, v7, v1
	s_waitcnt lgkmcnt(0)
	v_add_f32_e32 v2, v1, v2
	s_delay_alu instid0(VALU_DEP_1) | instskip(SKIP_4) | instid1(VALU_DEP_1)
	v_cndmask_b32_e32 v1, v1, v2, vcc_lo
	v_cmp_gt_u32_e32 vcc_lo, s29, v11
	ds_bpermute_b32 v2, v9, v1
	s_waitcnt lgkmcnt(0)
	v_add_f32_e32 v2, v1, v2
	v_cndmask_b32_e32 v1, v1, v2, vcc_lo
	v_cmp_gt_u32_e32 vcc_lo, s29, v14
	ds_bpermute_b32 v2, v10, v1
	s_waitcnt lgkmcnt(0)
	v_add_f32_e32 v2, v1, v2
	s_delay_alu instid0(VALU_DEP_1) | instskip(SKIP_4) | instid1(VALU_DEP_1)
	v_cndmask_b32_e32 v1, v1, v2, vcc_lo
	v_cmp_gt_u32_e32 vcc_lo, s29, v16
	ds_bpermute_b32 v2, v12, v1
	s_waitcnt lgkmcnt(0)
	v_add_f32_e32 v2, v1, v2
	v_cndmask_b32_e32 v1, v1, v2, vcc_lo
	v_cmp_gt_u32_e32 vcc_lo, s29, v17
	ds_bpermute_b32 v2, v15, v1
	s_waitcnt lgkmcnt(0)
	v_add_f32_e32 v2, v1, v2
	s_delay_alu instid0(VALU_DEP_1)
	v_cndmask_b32_e32 v1, v1, v2, vcc_lo
.LBB1_54:
	s_or_b32 exec_lo, exec_lo, s4
	v_cmp_eq_u32_e64 s4, 0, v0
	s_delay_alu instid0(VALU_DEP_1)
	s_and_saveexec_b32 s29, s4
	s_cbranch_execz .LBB1_56
; %bb.55:
	v_cvt_f32_i32_e32 v2, s21
	s_delay_alu instid0(VALU_DEP_1) | instskip(SKIP_1) | instid1(VALU_DEP_2)
	v_div_scale_f32 v3, null, v2, v2, v1
	v_div_scale_f32 v13, vcc_lo, v1, v2, v1
	v_rcp_f32_e32 v4, v3
	s_waitcnt_depctr 0xfff
	v_fma_f32 v5, -v3, v4, 1.0
	s_delay_alu instid0(VALU_DEP_1) | instskip(NEXT) | instid1(VALU_DEP_1)
	v_fmac_f32_e32 v4, v5, v4
	v_mul_f32_e32 v5, v13, v4
	s_delay_alu instid0(VALU_DEP_1) | instskip(NEXT) | instid1(VALU_DEP_1)
	v_fma_f32 v18, -v3, v5, v13
	v_fmac_f32_e32 v5, v18, v4
	s_delay_alu instid0(VALU_DEP_1) | instskip(NEXT) | instid1(VALU_DEP_1)
	v_fma_f32 v3, -v3, v5, v13
	v_div_fmas_f32 v3, v3, v4, v5
	s_delay_alu instid0(VALU_DEP_1) | instskip(NEXT) | instid1(VALU_DEP_1)
	v_div_fixup_f32 v1, v3, v2, v1
	v_add_f32_e32 v1, s20, v1
	s_delay_alu instid0(VALU_DEP_1) | instskip(SKIP_1) | instid1(VALU_DEP_2)
	v_mul_f32_e32 v2, 0x4b800000, v1
	v_cmp_gt_f32_e32 vcc_lo, 0x800000, v1
	v_cndmask_b32_e32 v1, v1, v2, vcc_lo
	s_delay_alu instid0(VALU_DEP_1) | instskip(SKIP_2) | instid1(VALU_DEP_1)
	v_rsq_f32_e32 v1, v1
	s_waitcnt_depctr 0xfff
	v_mul_f32_e32 v2, 0x45800000, v1
	v_dual_cndmask_b32 v1, v1, v2 :: v_dual_mov_b32 v2, 0
	ds_store_b32 v2, v1 offset:512
.LBB1_56:
	s_or_b32 exec_lo, exec_lo, s29
	v_mov_b32_e32 v18, 0
	s_waitcnt lgkmcnt(0)
	s_barrier
	buffer_gl0_inv
	ds_load_b32 v13, v18 offset:512
	s_and_saveexec_b32 s20, s2
	s_cbranch_execz .LBB1_66
; %bb.57:
	v_dual_mov_b32 v2, 0 :: v_dual_mov_b32 v1, v0
	v_mov_b32_e32 v18, 0
	s_mul_i32 s21, s28, 3
	s_lshl_b32 s30, s28, 1
	s_mov_b32 s29, 0
	s_add_i32 s31, s28, s28
                                        ; implicit-def: $sgpr33
	s_branch .LBB1_61
.LBB1_58:                               ;   in Loop: Header=BB1_61 Depth=1
	s_or_b32 exec_lo, exec_lo, s36
	s_delay_alu instid0(SALU_CYCLE_1)
	s_or_not1_b32 s36, s37, exec_lo
.LBB1_59:                               ;   in Loop: Header=BB1_61 Depth=1
	s_or_b32 exec_lo, exec_lo, s35
	s_delay_alu instid0(SALU_CYCLE_1) | instskip(SKIP_1) | instid1(SALU_CYCLE_1)
	s_and_not1_b32 s33, s33, exec_lo
	s_and_b32 s35, s36, exec_lo
	s_or_b32 s33, s33, s35
.LBB1_60:                               ;   in Loop: Header=BB1_61 Depth=1
	s_or_b32 exec_lo, exec_lo, s34
	s_delay_alu instid0(SALU_CYCLE_1) | instskip(NEXT) | instid1(SALU_CYCLE_1)
	s_and_b32 s34, exec_lo, s33
	s_or_b32 s29, s34, s29
	s_delay_alu instid0(SALU_CYCLE_1)
	s_and_not1_b32 exec_lo, exec_lo, s29
	s_cbranch_execz .LBB1_65
.LBB1_61:                               ; =>This Inner Loop Header: Depth=1
	v_lshlrev_b64 v[3:4], 4, v[1:2]
	s_or_b32 s33, s33, exec_lo
	s_mov_b32 s34, exec_lo
	s_delay_alu instid0(VALU_DEP_1) | instskip(NEXT) | instid1(VALU_DEP_2)
	v_add_co_u32 v19, vcc_lo, s9, v3
	v_add_co_ci_u32_e32 v20, vcc_lo, s16, v4, vcc_lo
	v_add_co_u32 v23, vcc_lo, s17, v3
	v_add_co_ci_u32_e32 v24, vcc_lo, s22, v4, vcc_lo
	v_add_co_u32 v3, vcc_lo, s18, v3
	global_load_b128 v[19:22], v[19:20], off
	global_load_b128 v[23:26], v[23:24], off
	v_add_co_ci_u32_e32 v4, vcc_lo, s19, v4, vcc_lo
	global_load_b128 v[27:30], v[3:4], off
	s_waitcnt vmcnt(1)
	v_dual_add_f32 v3, v19, v23 :: v_dual_add_f32 v4, v20, v24
	v_add_f32_e32 v19, v22, v26
	s_waitcnt lgkmcnt(0)
	s_delay_alu instid0(VALU_DEP_2) | instskip(NEXT) | instid1(VALU_DEP_3)
	v_mul_f32_e32 v3, v13, v3
	v_mul_f32_e32 v4, v13, v4
	v_add_f32_e32 v5, v21, v25
	v_mul_f32_e32 v19, v13, v19
	s_waitcnt vmcnt(0)
	s_delay_alu instid0(VALU_DEP_3) | instskip(NEXT) | instid1(VALU_DEP_3)
	v_dual_mul_f32 v3, v27, v3 :: v_dual_mul_f32 v4, v28, v4
	v_mul_f32_e32 v5, v13, v5
	s_delay_alu instid0(VALU_DEP_3) | instskip(NEXT) | instid1(VALU_DEP_3)
	v_mul_f32_e32 v19, v30, v19
	v_max3_f32 v4, v18, |v3|, |v4|
	s_delay_alu instid0(VALU_DEP_3) | instskip(SKIP_1) | instid1(VALU_DEP_2)
	v_mul_f32_e32 v5, v29, v5
	v_add_nc_u32_e32 v3, s28, v1
	v_max3_f32 v18, v4, |v5|, |v19|
	s_delay_alu instid0(VALU_DEP_2)
	v_cmpx_gt_u32_e64 s23, v3
	s_cbranch_execz .LBB1_60
; %bb.62:                               ;   in Loop: Header=BB1_61 Depth=1
	v_mov_b32_e32 v4, v2
	s_mov_b32 s36, -1
	s_mov_b32 s35, exec_lo
	s_delay_alu instid0(VALU_DEP_1) | instskip(NEXT) | instid1(VALU_DEP_1)
	v_lshlrev_b64 v[4:5], 4, v[3:4]
	v_add_co_u32 v19, vcc_lo, s9, v4
	s_delay_alu instid0(VALU_DEP_2)
	v_add_co_ci_u32_e32 v20, vcc_lo, s16, v5, vcc_lo
	v_add_co_u32 v23, vcc_lo, s17, v4
	v_add_co_ci_u32_e32 v24, vcc_lo, s22, v5, vcc_lo
	v_add_co_u32 v4, vcc_lo, s18, v4
	global_load_b128 v[19:22], v[19:20], off
	global_load_b128 v[23:26], v[23:24], off
	v_add_co_ci_u32_e32 v5, vcc_lo, s19, v5, vcc_lo
	global_load_b128 v[27:30], v[4:5], off
	s_waitcnt vmcnt(1)
	v_dual_add_f32 v5, v20, v24 :: v_dual_add_f32 v4, v19, v23
	v_dual_add_f32 v19, v21, v25 :: v_dual_add_f32 v20, v22, v26
	s_delay_alu instid0(VALU_DEP_2) | instskip(NEXT) | instid1(VALU_DEP_3)
	v_mul_f32_e32 v5, v13, v5
	v_mul_f32_e32 v4, v13, v4
	s_waitcnt vmcnt(0)
	s_delay_alu instid0(VALU_DEP_2) | instskip(NEXT) | instid1(VALU_DEP_2)
	v_dual_mul_f32 v20, v13, v20 :: v_dual_mul_f32 v5, v28, v5
	v_dual_mul_f32 v19, v13, v19 :: v_dual_mul_f32 v4, v27, v4
	s_delay_alu instid0(VALU_DEP_1) | instskip(NEXT) | instid1(VALU_DEP_2)
	v_dual_mul_f32 v20, v30, v20 :: v_dual_mul_f32 v19, v29, v19
	v_max3_f32 v5, v18, |v4|, |v5|
	v_add_nc_u32_e32 v4, s30, v1
	s_delay_alu instid0(VALU_DEP_2) | instskip(NEXT) | instid1(VALU_DEP_2)
	v_max3_f32 v18, v5, |v19|, |v20|
	v_cmpx_gt_u32_e64 s23, v4
	s_cbranch_execz .LBB1_59
; %bb.63:                               ;   in Loop: Header=BB1_61 Depth=1
	v_mov_b32_e32 v5, v2
	s_mov_b32 s37, -1
	s_mov_b32 s36, exec_lo
	v_add_nc_u32_e32 v1, s21, v1
	s_delay_alu instid0(VALU_DEP_2) | instskip(NEXT) | instid1(VALU_DEP_1)
	v_lshlrev_b64 v[4:5], 4, v[4:5]
	v_add_co_u32 v19, vcc_lo, s9, v4
	s_delay_alu instid0(VALU_DEP_2)
	v_add_co_ci_u32_e32 v20, vcc_lo, s16, v5, vcc_lo
	v_add_co_u32 v23, vcc_lo, s17, v4
	v_add_co_ci_u32_e32 v24, vcc_lo, s22, v5, vcc_lo
	global_load_b128 v[19:22], v[19:20], off
	global_load_b128 v[23:26], v[23:24], off
	v_add_co_u32 v4, vcc_lo, s18, v4
	v_add_co_ci_u32_e32 v5, vcc_lo, s19, v5, vcc_lo
	global_load_b128 v[27:30], v[4:5], off
	s_waitcnt vmcnt(1)
	v_dual_add_f32 v4, v19, v23 :: v_dual_add_f32 v5, v20, v24
	v_add_f32_e32 v20, v22, v26
	s_delay_alu instid0(VALU_DEP_1) | instskip(SKIP_1) | instid1(VALU_DEP_1)
	v_mul_f32_e32 v20, v13, v20
	s_waitcnt vmcnt(0)
	v_dual_mul_f32 v5, v13, v5 :: v_dual_mul_f32 v20, v30, v20
	s_delay_alu instid0(VALU_DEP_1) | instskip(NEXT) | instid1(VALU_DEP_1)
	v_dual_mul_f32 v4, v13, v4 :: v_dual_mul_f32 v5, v28, v5
	v_dual_add_f32 v19, v21, v25 :: v_dual_mul_f32 v4, v27, v4
	s_delay_alu instid0(VALU_DEP_1) | instskip(NEXT) | instid1(VALU_DEP_2)
	v_mul_f32_e32 v19, v13, v19
	v_max3_f32 v4, v18, |v4|, |v5|
	s_delay_alu instid0(VALU_DEP_2) | instskip(NEXT) | instid1(VALU_DEP_1)
	v_mul_f32_e32 v19, v29, v19
	v_max3_f32 v18, v4, |v19|, |v20|
	v_cmpx_gt_u32_e64 s23, v1
	s_xor_b32 s36, exec_lo, s36
	s_cbranch_execz .LBB1_58
; %bb.64:                               ;   in Loop: Header=BB1_61 Depth=1
	v_lshlrev_b64 v[4:5], 4, v[1:2]
	s_delay_alu instid0(VALU_DEP_1) | instskip(NEXT) | instid1(VALU_DEP_2)
	v_add_co_u32 v19, vcc_lo, s9, v4
	v_add_co_ci_u32_e32 v20, vcc_lo, s16, v5, vcc_lo
	v_add_co_u32 v23, vcc_lo, s17, v4
	v_add_co_ci_u32_e32 v24, vcc_lo, s22, v5, vcc_lo
	v_add_co_u32 v4, vcc_lo, s18, v4
	global_load_b128 v[19:22], v[19:20], off
	global_load_b128 v[23:26], v[23:24], off
	v_add_co_ci_u32_e32 v5, vcc_lo, s19, v5, vcc_lo
	global_load_b128 v[27:30], v[4:5], off
	s_waitcnt vmcnt(1)
	v_dual_add_f32 v1, v19, v23 :: v_dual_add_f32 v4, v20, v24
	v_add_f32_e32 v19, v22, v26
	s_delay_alu instid0(VALU_DEP_2) | instskip(NEXT) | instid1(VALU_DEP_3)
	v_mul_f32_e32 v1, v13, v1
	v_mul_f32_e32 v4, v13, v4
	v_add_f32_e32 v5, v21, v25
	s_waitcnt vmcnt(0)
	s_delay_alu instid0(VALU_DEP_3) | instskip(NEXT) | instid1(VALU_DEP_2)
	v_dual_mul_f32 v19, v13, v19 :: v_dual_mul_f32 v20, v27, v1
	v_dual_mul_f32 v4, v28, v4 :: v_dual_mul_f32 v5, v13, v5
	v_add3_u32 v1, s31, s28, v3
	s_delay_alu instid0(VALU_DEP_2) | instskip(NEXT) | instid1(VALU_DEP_3)
	v_max3_f32 v4, v18, |v20|, |v4|
	v_mul_f32_e32 v3, v29, v5
	v_mul_f32_e32 v5, v30, v19
	s_delay_alu instid0(VALU_DEP_4) | instskip(NEXT) | instid1(VALU_DEP_2)
	v_cmp_le_u32_e32 vcc_lo, s23, v1
	v_max3_f32 v18, v4, |v3|, |v5|
	s_or_not1_b32 s37, vcc_lo, exec_lo
	s_branch .LBB1_58
.LBB1_65:
	s_or_b32 exec_lo, exec_lo, s29
.LBB1_66:
	s_delay_alu instid0(SALU_CYCLE_1) | instskip(SKIP_4) | instid1(VALU_DEP_1)
	s_or_b32 exec_lo, exec_lo, s20
	ds_bpermute_b32 v1, v7, v18
	s_waitcnt lgkmcnt(0)
	v_cmp_lt_f32_e32 vcc_lo, v18, v1
	v_cndmask_b32_e32 v1, v18, v1, vcc_lo
	v_cndmask_b32_e64 v1, v18, v1, s0
	s_or_b32 s0, s0, s1
	s_delay_alu instid0(SALU_CYCLE_1) | instskip(NEXT) | instid1(SALU_CYCLE_1)
	s_or_b32 s0, s3, s0
	s_or_b32 s0, s5, s0
	ds_bpermute_b32 v2, v9, v1
	s_waitcnt lgkmcnt(0)
	v_cmp_lt_f32_e32 vcc_lo, v1, v2
	v_cndmask_b32_e32 v2, v1, v2, vcc_lo
	s_delay_alu instid0(VALU_DEP_1) | instskip(SKIP_4) | instid1(VALU_DEP_1)
	v_cndmask_b32_e64 v1, v1, v2, s1
	ds_bpermute_b32 v2, v10, v1
	s_waitcnt lgkmcnt(0)
	v_cmp_lt_f32_e32 vcc_lo, v1, v2
	v_cndmask_b32_e32 v2, v1, v2, vcc_lo
	v_cndmask_b32_e64 v1, v1, v2, s3
	ds_bpermute_b32 v2, v12, v1
	s_waitcnt lgkmcnt(0)
	v_cmp_lt_f32_e32 vcc_lo, v1, v2
	v_cndmask_b32_e32 v2, v1, v2, vcc_lo
	s_delay_alu instid0(VALU_DEP_1)
	v_cndmask_b32_e64 v1, v1, v2, s5
	ds_bpermute_b32 v2, v15, v1
	s_waitcnt lgkmcnt(0)
	v_cmp_lt_f32_e32 vcc_lo, v1, v2
	s_and_b32 vcc_lo, s8, vcc_lo
	v_cndmask_b32_e32 v1, v1, v2, vcc_lo
	s_or_b32 vcc_lo, s8, s0
	s_delay_alu instid0(VALU_DEP_1)
	v_cndmask_b32_e32 v1, v18, v1, vcc_lo
	s_and_saveexec_b32 s0, s6
	s_cbranch_execz .LBB1_68
; %bb.67:
	v_lshrrev_b32_e32 v2, 3, v0
	s_delay_alu instid0(VALU_DEP_1)
	v_and_b32_e32 v2, 0x7c, v2
	ds_store_b32 v2, v1 offset:128
.LBB1_68:
	s_or_b32 exec_lo, exec_lo, s0
	s_waitcnt lgkmcnt(0)
	s_barrier
	buffer_gl0_inv
	s_and_saveexec_b32 s8, s7
	s_cbranch_execz .LBB1_70
; %bb.69:
	v_lshlrev_b32_e32 v1, 2, v6
	s_add_i32 s0, s28, 31
	s_delay_alu instid0(SALU_CYCLE_1)
	s_lshr_b32 s5, s0, 5
	ds_load_b32 v1, v1 offset:128
	s_waitcnt lgkmcnt(0)
	ds_bpermute_b32 v2, v7, v1
	s_waitcnt lgkmcnt(0)
	v_cmp_lt_f32_e32 vcc_lo, v1, v2
	v_cndmask_b32_e32 v2, v1, v2, vcc_lo
	v_cmp_gt_u32_e32 vcc_lo, s5, v8
	s_delay_alu instid0(VALU_DEP_2) | instskip(SKIP_3) | instid1(VALU_DEP_1)
	v_cndmask_b32_e32 v2, v1, v2, vcc_lo
	ds_bpermute_b32 v3, v9, v2
	s_waitcnt lgkmcnt(0)
	v_cmp_lt_f32_e64 s0, v2, v3
	v_cndmask_b32_e64 v3, v2, v3, s0
	v_cmp_gt_u32_e64 s0, s5, v11
	s_delay_alu instid0(VALU_DEP_1) | instskip(SKIP_4) | instid1(VALU_DEP_1)
	v_cndmask_b32_e64 v2, v2, v3, s0
	s_or_b32 s0, vcc_lo, s0
	ds_bpermute_b32 v3, v10, v2
	s_waitcnt lgkmcnt(0)
	v_cmp_lt_f32_e64 s1, v2, v3
	v_cndmask_b32_e64 v3, v2, v3, s1
	v_cmp_gt_u32_e64 s1, s5, v14
	s_delay_alu instid0(VALU_DEP_1) | instskip(SKIP_4) | instid1(VALU_DEP_1)
	v_cndmask_b32_e64 v2, v2, v3, s1
	s_or_b32 s0, s1, s0
	ds_bpermute_b32 v3, v12, v2
	s_waitcnt lgkmcnt(0)
	v_cmp_lt_f32_e64 s3, v2, v3
	v_cndmask_b32_e64 v3, v2, v3, s3
	v_cmp_gt_u32_e64 s3, s5, v16
	v_cmp_gt_u32_e64 s5, s5, v17
	s_delay_alu instid0(VALU_DEP_2) | instskip(SKIP_4) | instid1(VALU_DEP_1)
	v_cndmask_b32_e64 v2, v2, v3, s3
	s_or_b32 s0, s3, s0
	ds_bpermute_b32 v3, v15, v2
	s_waitcnt lgkmcnt(0)
	v_cmp_lt_f32_e64 s6, v2, v3
	s_and_b32 vcc_lo, s5, s6
	v_cndmask_b32_e32 v2, v2, v3, vcc_lo
	s_or_b32 vcc_lo, s5, s0
	s_delay_alu instid0(VALU_DEP_1)
	v_cndmask_b32_e32 v1, v1, v2, vcc_lo
.LBB1_70:
	s_or_b32 exec_lo, exec_lo, s8
	s_and_saveexec_b32 s0, s4
	s_cbranch_execz .LBB1_74
; %bb.71:
	s_cmp_eq_u64 s[26:27], 0
	s_cbranch_scc1 .LBB1_73
; %bb.72:
	s_load_b32 s1, s[26:27], 0x0
	v_max_f32_e32 v1, v1, v1
	s_waitcnt lgkmcnt(0)
	v_max_f32_e64 v2, s1, s1
	s_delay_alu instid0(VALU_DEP_1)
	v_min_f32_e32 v1, v1, v2
.LBB1_73:
	s_delay_alu instid0(VALU_DEP_1) | instskip(SKIP_2) | instid1(VALU_DEP_2)
	v_div_scale_f32 v2, null, 0x43600000, 0x43600000, v1
	v_div_scale_f32 v5, vcc_lo, v1, 0x43600000, v1
	s_lshl_b64 s[4:5], s[24:25], 2
	v_rcp_f32_e32 v3, v2
	s_add_u32 s4, s14, s4
	s_addc_u32 s5, s15, s5
	s_waitcnt_depctr 0xfff
	v_fma_f32 v4, -v2, v3, 1.0
	s_delay_alu instid0(VALU_DEP_1) | instskip(NEXT) | instid1(VALU_DEP_1)
	v_fmac_f32_e32 v3, v4, v3
	v_mul_f32_e32 v4, v5, v3
	s_delay_alu instid0(VALU_DEP_1) | instskip(NEXT) | instid1(VALU_DEP_1)
	v_fma_f32 v6, -v2, v4, v5
	v_fmac_f32_e32 v4, v6, v3
	s_delay_alu instid0(VALU_DEP_1) | instskip(NEXT) | instid1(VALU_DEP_1)
	v_fma_f32 v2, -v2, v4, v5
	v_div_fmas_f32 v2, v2, v3, v4
	s_delay_alu instid0(VALU_DEP_1) | instskip(NEXT) | instid1(VALU_DEP_1)
	v_div_fixup_f32 v1, v2, 0x43600000, v1
	v_dual_mov_b32 v2, 0 :: v_dual_max_f32 v1, 0x37124925, v1
	ds_store_b32 v2, v1 offset:516
	global_store_b32 v2, v1, s[4:5]
.LBB1_74:
	s_or_b32 exec_lo, exec_lo, s0
	s_waitcnt lgkmcnt(0)
	s_waitcnt_vscnt null, 0x0
	s_barrier
	buffer_gl0_inv
	s_and_saveexec_b32 s0, s2
	s_cbranch_execz .LBB1_211
; %bb.75:
	v_mov_b32_e32 v1, 0
	s_add_u32 s0, s12, s10
	s_addc_u32 s1, s13, s11
	s_mul_i32 s2, s28, 3
	s_lshl_b32 s3, s28, 1
	ds_load_b32 v14, v1 offset:516
	s_mov_b32 s4, 0
	s_mov_b32 s5, 0x43600000
	s_branch .LBB1_81
.LBB1_76:                               ;   in Loop: Header=BB1_81 Depth=1
	s_or_b32 exec_lo, exec_lo, s12
.LBB1_77:                               ;   in Loop: Header=BB1_81 Depth=1
	s_delay_alu instid0(SALU_CYCLE_1)
	s_or_b32 exec_lo, exec_lo, s10
	v_lshlrev_b32_e32 v6, 16, v4
	v_lshlrev_b64 v[4:5], 2, v[0:1]
	v_lshlrev_b32_e32 v7, 8, v11
	s_add_i32 s10, s28, s28
	v_and_b32_e32 v8, 0xff, v2
	v_add3_u32 v0, s10, s28, v10
	v_perm_b32 v6, v3, v6, 0x4020c0c
	v_and_b32_e32 v7, 0xff00, v7
	v_add_co_u32 v2, vcc_lo, s0, v4
	v_add_co_ci_u32_e32 v3, vcc_lo, s1, v5, vcc_lo
	v_cmp_le_u32_e32 vcc_lo, s23, v0
	s_delay_alu instid0(VALU_DEP_4)
	v_or3_b32 v4, v6, v7, v8
	s_or_not1_b32 s10, vcc_lo, exec_lo
	global_store_b32 v[2:3], v4, off
.LBB1_78:                               ;   in Loop: Header=BB1_81 Depth=1
	s_or_b32 exec_lo, exec_lo, s8
	s_delay_alu instid0(SALU_CYCLE_1)
	s_or_not1_b32 s8, s10, exec_lo
.LBB1_79:                               ;   in Loop: Header=BB1_81 Depth=1
	s_or_b32 exec_lo, exec_lo, s7
	s_delay_alu instid0(SALU_CYCLE_1)
	s_or_not1_b32 s7, s8, exec_lo
.LBB1_80:                               ;   in Loop: Header=BB1_81 Depth=1
	s_or_b32 exec_lo, exec_lo, s6
	s_delay_alu instid0(SALU_CYCLE_1) | instskip(NEXT) | instid1(SALU_CYCLE_1)
	s_and_b32 s6, exec_lo, s7
	s_or_b32 s4, s6, s4
	s_delay_alu instid0(SALU_CYCLE_1)
	s_and_not1_b32 exec_lo, exec_lo, s4
	s_cbranch_execz .LBB1_211
.LBB1_81:                               ; =>This Inner Loop Header: Depth=1
	v_lshlrev_b64 v[2:3], 4, v[0:1]
	s_mov_b32 s6, exec_lo
	s_delay_alu instid0(VALU_DEP_1) | instskip(NEXT) | instid1(VALU_DEP_2)
	v_add_co_u32 v4, vcc_lo, s9, v2
	v_add_co_ci_u32_e32 v5, vcc_lo, s16, v3, vcc_lo
	v_add_co_u32 v19, vcc_lo, s17, v2
	v_add_co_ci_u32_e32 v20, vcc_lo, s22, v3, vcc_lo
	v_add_co_u32 v2, vcc_lo, s18, v2
	global_load_b128 v[6:9], v[4:5], off
	global_load_b128 v[15:18], v[19:20], off
	v_add_co_ci_u32_e32 v3, vcc_lo, s19, v3, vcc_lo
	global_load_b128 v[2:5], v[2:3], off
	s_waitcnt vmcnt(1)
	v_dual_add_f32 v6, v6, v15 :: v_dual_add_f32 v7, v7, v16
	v_dual_add_f32 v8, v8, v17 :: v_dual_add_f32 v9, v9, v18
	s_delay_alu instid0(VALU_DEP_2) | instskip(SKIP_4) | instid1(VALU_DEP_1)
	v_mul_f32_e32 v10, v13, v6
	global_store_b128 v[19:20], v[6:9], off
	s_waitcnt vmcnt(0)
	v_mul_f32_e32 v2, v2, v10
	s_waitcnt lgkmcnt(0)
	v_div_scale_f32 v10, null, v14, v14, v2
	v_div_scale_f32 v15, vcc_lo, v2, v14, v2
	s_delay_alu instid0(VALU_DEP_2) | instskip(SKIP_2) | instid1(VALU_DEP_1)
	v_rcp_f32_e32 v11, v10
	s_waitcnt_depctr 0xfff
	v_fma_f32 v12, -v10, v11, 1.0
	v_fmac_f32_e32 v11, v12, v11
	s_delay_alu instid0(VALU_DEP_1) | instskip(NEXT) | instid1(VALU_DEP_1)
	v_mul_f32_e32 v12, v15, v11
	v_fma_f32 v21, -v10, v12, v15
	s_delay_alu instid0(VALU_DEP_1) | instskip(NEXT) | instid1(VALU_DEP_1)
	v_fmac_f32_e32 v12, v21, v11
	v_fma_f32 v10, -v10, v12, v15
	s_delay_alu instid0(VALU_DEP_1) | instskip(NEXT) | instid1(VALU_DEP_1)
	v_div_fmas_f32 v10, v10, v11, v12
	v_div_fixup_f32 v2, v10, v14, v2
	v_mov_b32_e32 v10, 0x80
	s_delay_alu instid0(VALU_DEP_2) | instskip(SKIP_1) | instid1(VALU_DEP_2)
	v_minmax_f32 v11, v2, s5, 0xc3600000
	v_mov_b32_e32 v2, 0x80
	v_and_b32_e32 v12, 0x7fffffff, v11
	s_delay_alu instid0(VALU_DEP_1)
	v_cmpx_gt_u32_e32 0x43800000, v12
	s_cbranch_execz .LBB1_87
; %bb.82:                               ;   in Loop: Header=BB1_81 Depth=1
	s_mov_b32 s7, 0
	s_mov_b32 s8, exec_lo
                                        ; implicit-def: $vgpr6
	v_cmpx_lt_u32_e32 0x3bffffff, v12
	s_xor_b32 s8, exec_lo, s8
	s_cbranch_execnz .LBB1_178
; %bb.83:                               ;   in Loop: Header=BB1_81 Depth=1
	s_or_saveexec_b32 s8, s8
                                        ; implicit-def: $sgpr10
	s_delay_alu instid0(SALU_CYCLE_1)
	s_xor_b32 exec_lo, exec_lo, s8
	s_cbranch_execnz .LBB1_179
.LBB1_84:                               ;   in Loop: Header=BB1_81 Depth=1
	s_or_b32 exec_lo, exec_lo, s8
	v_mov_b32_e32 v10, s10
	s_and_saveexec_b32 s8, s7
.LBB1_85:                               ;   in Loop: Header=BB1_81 Depth=1
	v_lshrrev_b32_e32 v10, 24, v11
	s_delay_alu instid0(VALU_DEP_1)
	v_and_or_b32 v10, 0x80, v10, v6
.LBB1_86:                               ;   in Loop: Header=BB1_81 Depth=1
	s_or_b32 exec_lo, exec_lo, s8
.LBB1_87:                               ;   in Loop: Header=BB1_81 Depth=1
	s_delay_alu instid0(SALU_CYCLE_1) | instskip(SKIP_2) | instid1(VALU_DEP_1)
	s_or_b32 exec_lo, exec_lo, s6
	v_mul_f32_e32 v6, v13, v7
	s_mov_b32 s6, exec_lo
	v_mul_f32_e32 v3, v3, v6
	s_delay_alu instid0(VALU_DEP_1) | instskip(NEXT) | instid1(VALU_DEP_1)
	v_div_scale_f32 v6, null, v14, v14, v3
	v_rcp_f32_e32 v7, v6
	s_waitcnt_depctr 0xfff
	v_fma_f32 v11, -v6, v7, 1.0
	s_delay_alu instid0(VALU_DEP_1) | instskip(SKIP_1) | instid1(VALU_DEP_1)
	v_fmac_f32_e32 v7, v11, v7
	v_div_scale_f32 v11, vcc_lo, v3, v14, v3
	v_mul_f32_e32 v12, v11, v7
	s_delay_alu instid0(VALU_DEP_1) | instskip(NEXT) | instid1(VALU_DEP_1)
	v_fma_f32 v15, -v6, v12, v11
	v_fmac_f32_e32 v12, v15, v7
	s_delay_alu instid0(VALU_DEP_1) | instskip(NEXT) | instid1(VALU_DEP_1)
	v_fma_f32 v6, -v6, v12, v11
	v_div_fmas_f32 v6, v6, v7, v12
	s_delay_alu instid0(VALU_DEP_1) | instskip(NEXT) | instid1(VALU_DEP_1)
	v_div_fixup_f32 v3, v6, v14, v3
	v_minmax_f32 v3, v3, s5, 0xc3600000
	s_delay_alu instid0(VALU_DEP_1) | instskip(NEXT) | instid1(VALU_DEP_1)
	v_and_b32_e32 v6, 0x7fffffff, v3
	v_cmpx_gt_u32_e32 0x43800000, v6
	s_cbranch_execz .LBB1_93
; %bb.88:                               ;   in Loop: Header=BB1_81 Depth=1
	v_cmp_lt_u32_e32 vcc_lo, 0x3bffffff, v6
	s_mov_b32 s7, 0
                                        ; implicit-def: $vgpr6
	s_and_saveexec_b32 s8, vcc_lo
	s_delay_alu instid0(SALU_CYCLE_1)
	s_xor_b32 s8, exec_lo, s8
	s_cbranch_execnz .LBB1_180
; %bb.89:                               ;   in Loop: Header=BB1_81 Depth=1
	s_or_saveexec_b32 s8, s8
                                        ; implicit-def: $sgpr10
	s_delay_alu instid0(SALU_CYCLE_1)
	s_xor_b32 exec_lo, exec_lo, s8
	s_cbranch_execnz .LBB1_181
.LBB1_90:                               ;   in Loop: Header=BB1_81 Depth=1
	s_or_b32 exec_lo, exec_lo, s8
	v_mov_b32_e32 v2, s10
	s_and_saveexec_b32 s8, s7
.LBB1_91:                               ;   in Loop: Header=BB1_81 Depth=1
	v_lshrrev_b32_e32 v2, 24, v3
	s_delay_alu instid0(VALU_DEP_1)
	v_and_or_b32 v2, 0x80, v2, v6
.LBB1_92:                               ;   in Loop: Header=BB1_81 Depth=1
	s_or_b32 exec_lo, exec_lo, s8
.LBB1_93:                               ;   in Loop: Header=BB1_81 Depth=1
	s_delay_alu instid0(SALU_CYCLE_1) | instskip(SKIP_2) | instid1(VALU_DEP_1)
	s_or_b32 exec_lo, exec_lo, s6
	v_mul_f32_e32 v3, v13, v8
	s_mov_b32 s6, exec_lo
	v_mul_f32_e32 v3, v4, v3
	s_delay_alu instid0(VALU_DEP_1) | instskip(SKIP_1) | instid1(VALU_DEP_2)
	v_div_scale_f32 v4, null, v14, v14, v3
	v_div_scale_f32 v8, vcc_lo, v3, v14, v3
	v_rcp_f32_e32 v6, v4
	s_waitcnt_depctr 0xfff
	v_fma_f32 v7, -v4, v6, 1.0
	s_delay_alu instid0(VALU_DEP_1) | instskip(NEXT) | instid1(VALU_DEP_1)
	v_fmac_f32_e32 v6, v7, v6
	v_mul_f32_e32 v7, v8, v6
	s_delay_alu instid0(VALU_DEP_1) | instskip(NEXT) | instid1(VALU_DEP_1)
	v_fma_f32 v11, -v4, v7, v8
	v_fmac_f32_e32 v7, v11, v6
	s_delay_alu instid0(VALU_DEP_1) | instskip(NEXT) | instid1(VALU_DEP_1)
	v_fma_f32 v4, -v4, v7, v8
	v_div_fmas_f32 v4, v4, v6, v7
	s_delay_alu instid0(VALU_DEP_1) | instskip(SKIP_1) | instid1(VALU_DEP_2)
	v_div_fixup_f32 v3, v4, v14, v3
	v_mov_b32_e32 v4, 0x80
	v_minmax_f32 v6, v3, s5, 0xc3600000
	v_mov_b32_e32 v3, 0x80
	s_delay_alu instid0(VALU_DEP_2) | instskip(NEXT) | instid1(VALU_DEP_1)
	v_and_b32_e32 v7, 0x7fffffff, v6
	v_cmpx_gt_u32_e32 0x43800000, v7
	s_cbranch_execz .LBB1_99
; %bb.94:                               ;   in Loop: Header=BB1_81 Depth=1
	v_cmp_lt_u32_e32 vcc_lo, 0x3bffffff, v7
	s_mov_b32 s7, 0
                                        ; implicit-def: $vgpr7
	s_and_saveexec_b32 s8, vcc_lo
	s_delay_alu instid0(SALU_CYCLE_1)
	s_xor_b32 s8, exec_lo, s8
	s_cbranch_execnz .LBB1_182
; %bb.95:                               ;   in Loop: Header=BB1_81 Depth=1
	s_or_saveexec_b32 s8, s8
                                        ; implicit-def: $sgpr10
	s_delay_alu instid0(SALU_CYCLE_1)
	s_xor_b32 exec_lo, exec_lo, s8
	s_cbranch_execnz .LBB1_183
.LBB1_96:                               ;   in Loop: Header=BB1_81 Depth=1
	s_or_b32 exec_lo, exec_lo, s8
	v_mov_b32_e32 v4, s10
	s_and_saveexec_b32 s8, s7
.LBB1_97:                               ;   in Loop: Header=BB1_81 Depth=1
	v_lshrrev_b32_e32 v4, 24, v6
	s_delay_alu instid0(VALU_DEP_1)
	v_and_or_b32 v4, 0x80, v4, v7
.LBB1_98:                               ;   in Loop: Header=BB1_81 Depth=1
	s_or_b32 exec_lo, exec_lo, s8
.LBB1_99:                               ;   in Loop: Header=BB1_81 Depth=1
	s_delay_alu instid0(SALU_CYCLE_1) | instskip(SKIP_2) | instid1(VALU_DEP_1)
	s_or_b32 exec_lo, exec_lo, s6
	v_mul_f32_e32 v6, v13, v9
	s_mov_b32 s6, exec_lo
	v_mul_f32_e32 v5, v5, v6
	s_delay_alu instid0(VALU_DEP_1) | instskip(NEXT) | instid1(VALU_DEP_1)
	v_div_scale_f32 v6, null, v14, v14, v5
	v_rcp_f32_e32 v7, v6
	s_waitcnt_depctr 0xfff
	v_fma_f32 v8, -v6, v7, 1.0
	s_delay_alu instid0(VALU_DEP_1) | instskip(SKIP_1) | instid1(VALU_DEP_1)
	v_fmac_f32_e32 v7, v8, v7
	v_div_scale_f32 v8, vcc_lo, v5, v14, v5
	v_mul_f32_e32 v9, v8, v7
	s_delay_alu instid0(VALU_DEP_1) | instskip(NEXT) | instid1(VALU_DEP_1)
	v_fma_f32 v11, -v6, v9, v8
	v_fmac_f32_e32 v9, v11, v7
	s_delay_alu instid0(VALU_DEP_1) | instskip(NEXT) | instid1(VALU_DEP_1)
	v_fma_f32 v6, -v6, v9, v8
	v_div_fmas_f32 v6, v6, v7, v9
	s_delay_alu instid0(VALU_DEP_1) | instskip(NEXT) | instid1(VALU_DEP_1)
	v_div_fixup_f32 v5, v6, v14, v5
	v_minmax_f32 v5, v5, s5, 0xc3600000
	s_delay_alu instid0(VALU_DEP_1) | instskip(NEXT) | instid1(VALU_DEP_1)
	v_and_b32_e32 v6, 0x7fffffff, v5
	v_cmpx_gt_u32_e32 0x43800000, v6
	s_cbranch_execz .LBB1_105
; %bb.100:                              ;   in Loop: Header=BB1_81 Depth=1
	v_cmp_lt_u32_e32 vcc_lo, 0x3bffffff, v6
	s_mov_b32 s7, 0
                                        ; implicit-def: $vgpr6
	s_and_saveexec_b32 s8, vcc_lo
	s_delay_alu instid0(SALU_CYCLE_1)
	s_xor_b32 s8, exec_lo, s8
	s_cbranch_execnz .LBB1_184
; %bb.101:                              ;   in Loop: Header=BB1_81 Depth=1
	s_or_saveexec_b32 s8, s8
                                        ; implicit-def: $sgpr10
	s_delay_alu instid0(SALU_CYCLE_1)
	s_xor_b32 exec_lo, exec_lo, s8
	s_cbranch_execnz .LBB1_185
.LBB1_102:                              ;   in Loop: Header=BB1_81 Depth=1
	s_or_b32 exec_lo, exec_lo, s8
	v_mov_b32_e32 v3, s10
	s_and_saveexec_b32 s8, s7
.LBB1_103:                              ;   in Loop: Header=BB1_81 Depth=1
	v_lshrrev_b32_e32 v3, 24, v5
	s_delay_alu instid0(VALU_DEP_1)
	v_and_or_b32 v3, 0x80, v3, v6
.LBB1_104:                              ;   in Loop: Header=BB1_81 Depth=1
	s_or_b32 exec_lo, exec_lo, s8
.LBB1_105:                              ;   in Loop: Header=BB1_81 Depth=1
	s_delay_alu instid0(SALU_CYCLE_1)
	s_or_b32 exec_lo, exec_lo, s6
	v_lshlrev_b32_e32 v6, 16, v4
	v_lshlrev_b32_e32 v2, 8, v2
	v_lshlrev_b64 v[4:5], 2, v[0:1]
	v_and_b32_e32 v7, 0xff, v10
	v_add_nc_u32_e32 v10, s28, v0
	v_perm_b32 v6, v3, v6, 0x4020c0c
	v_and_b32_e32 v8, 0xff00, v2
	s_mov_b32 s7, -1
	v_add_co_u32 v2, vcc_lo, s0, v4
	v_add_co_ci_u32_e32 v3, vcc_lo, s1, v5, vcc_lo
	s_delay_alu instid0(VALU_DEP_3)
	v_or3_b32 v4, v6, v8, v7
	s_mov_b32 s6, exec_lo
	global_store_b32 v[2:3], v4, off
	v_cmpx_gt_u32_e64 s23, v10
	s_cbranch_execz .LBB1_80
; %bb.106:                              ;   in Loop: Header=BB1_81 Depth=1
	v_mov_b32_e32 v11, v1
	s_mov_b32 s7, exec_lo
	s_delay_alu instid0(VALU_DEP_1) | instskip(NEXT) | instid1(VALU_DEP_1)
	v_lshlrev_b64 v[2:3], 4, v[10:11]
	v_add_co_u32 v4, vcc_lo, s9, v2
	s_delay_alu instid0(VALU_DEP_2)
	v_add_co_ci_u32_e32 v5, vcc_lo, s16, v3, vcc_lo
	v_add_co_u32 v20, vcc_lo, s17, v2
	v_add_co_ci_u32_e32 v21, vcc_lo, s22, v3, vcc_lo
	v_add_co_u32 v2, vcc_lo, s18, v2
	global_load_b128 v[6:9], v[4:5], off
	global_load_b128 v[16:19], v[20:21], off
	v_add_co_ci_u32_e32 v3, vcc_lo, s19, v3, vcc_lo
	global_load_b128 v[2:5], v[2:3], off
	s_waitcnt vmcnt(1)
	v_add_f32_e32 v6, v6, v16
	v_dual_add_f32 v8, v8, v18 :: v_dual_add_f32 v7, v7, v17
	v_add_f32_e32 v9, v9, v19
	s_delay_alu instid0(VALU_DEP_3) | instskip(SKIP_3) | instid1(VALU_DEP_1)
	v_mul_f32_e32 v12, v13, v6
	global_store_b128 v[20:21], v[6:9], off
	s_waitcnt vmcnt(0)
	v_mul_f32_e32 v2, v2, v12
	v_div_scale_f32 v12, null, v14, v14, v2
	v_div_scale_f32 v22, vcc_lo, v2, v14, v2
	s_delay_alu instid0(VALU_DEP_2) | instskip(SKIP_2) | instid1(VALU_DEP_1)
	v_rcp_f32_e32 v15, v12
	s_waitcnt_depctr 0xfff
	v_fma_f32 v16, -v12, v15, 1.0
	v_fmac_f32_e32 v15, v16, v15
	s_delay_alu instid0(VALU_DEP_1) | instskip(NEXT) | instid1(VALU_DEP_1)
	v_mul_f32_e32 v16, v22, v15
	v_fma_f32 v23, -v12, v16, v22
	s_delay_alu instid0(VALU_DEP_1) | instskip(NEXT) | instid1(VALU_DEP_1)
	v_fmac_f32_e32 v16, v23, v15
	v_fma_f32 v12, -v12, v16, v22
	s_delay_alu instid0(VALU_DEP_1) | instskip(NEXT) | instid1(VALU_DEP_1)
	v_div_fmas_f32 v12, v12, v15, v16
	v_div_fixup_f32 v2, v12, v14, v2
	v_mov_b32_e32 v12, 0x80
	s_delay_alu instid0(VALU_DEP_2) | instskip(SKIP_1) | instid1(VALU_DEP_2)
	v_minmax_f32 v15, v2, s5, 0xc3600000
	v_mov_b32_e32 v2, 0x80
	v_and_b32_e32 v16, 0x7fffffff, v15
	s_delay_alu instid0(VALU_DEP_1)
	v_cmpx_gt_u32_e32 0x43800000, v16
	s_cbranch_execz .LBB1_112
; %bb.107:                              ;   in Loop: Header=BB1_81 Depth=1
	s_mov_b32 s8, 0
	s_mov_b32 s10, exec_lo
                                        ; implicit-def: $vgpr6
	v_cmpx_lt_u32_e32 0x3bffffff, v16
	s_xor_b32 s10, exec_lo, s10
	s_cbranch_execnz .LBB1_186
; %bb.108:                              ;   in Loop: Header=BB1_81 Depth=1
	s_or_saveexec_b32 s10, s10
                                        ; implicit-def: $sgpr11
	s_delay_alu instid0(SALU_CYCLE_1)
	s_xor_b32 exec_lo, exec_lo, s10
	s_cbranch_execnz .LBB1_187
.LBB1_109:                              ;   in Loop: Header=BB1_81 Depth=1
	s_or_b32 exec_lo, exec_lo, s10
	v_mov_b32_e32 v12, s11
	s_and_saveexec_b32 s10, s8
.LBB1_110:                              ;   in Loop: Header=BB1_81 Depth=1
	v_lshrrev_b32_e32 v12, 24, v15
	s_delay_alu instid0(VALU_DEP_1)
	v_and_or_b32 v12, 0x80, v12, v6
.LBB1_111:                              ;   in Loop: Header=BB1_81 Depth=1
	s_or_b32 exec_lo, exec_lo, s10
.LBB1_112:                              ;   in Loop: Header=BB1_81 Depth=1
	s_delay_alu instid0(SALU_CYCLE_1) | instskip(SKIP_2) | instid1(VALU_DEP_1)
	s_or_b32 exec_lo, exec_lo, s7
	v_mul_f32_e32 v6, v13, v7
	s_mov_b32 s7, exec_lo
	v_mul_f32_e32 v3, v3, v6
	s_delay_alu instid0(VALU_DEP_1) | instskip(NEXT) | instid1(VALU_DEP_1)
	v_div_scale_f32 v6, null, v14, v14, v3
	v_rcp_f32_e32 v7, v6
	s_waitcnt_depctr 0xfff
	v_fma_f32 v15, -v6, v7, 1.0
	s_delay_alu instid0(VALU_DEP_1) | instskip(SKIP_1) | instid1(VALU_DEP_1)
	v_fmac_f32_e32 v7, v15, v7
	v_div_scale_f32 v15, vcc_lo, v3, v14, v3
	v_mul_f32_e32 v16, v15, v7
	s_delay_alu instid0(VALU_DEP_1) | instskip(NEXT) | instid1(VALU_DEP_1)
	v_fma_f32 v17, -v6, v16, v15
	v_fmac_f32_e32 v16, v17, v7
	s_delay_alu instid0(VALU_DEP_1) | instskip(NEXT) | instid1(VALU_DEP_1)
	v_fma_f32 v6, -v6, v16, v15
	v_div_fmas_f32 v6, v6, v7, v16
	s_delay_alu instid0(VALU_DEP_1) | instskip(NEXT) | instid1(VALU_DEP_1)
	v_div_fixup_f32 v3, v6, v14, v3
	v_minmax_f32 v3, v3, s5, 0xc3600000
	s_delay_alu instid0(VALU_DEP_1) | instskip(NEXT) | instid1(VALU_DEP_1)
	v_and_b32_e32 v6, 0x7fffffff, v3
	v_cmpx_gt_u32_e32 0x43800000, v6
	s_cbranch_execz .LBB1_118
; %bb.113:                              ;   in Loop: Header=BB1_81 Depth=1
	v_cmp_lt_u32_e32 vcc_lo, 0x3bffffff, v6
	s_mov_b32 s8, 0
                                        ; implicit-def: $vgpr6
	s_and_saveexec_b32 s10, vcc_lo
	s_delay_alu instid0(SALU_CYCLE_1)
	s_xor_b32 s10, exec_lo, s10
	s_cbranch_execnz .LBB1_188
; %bb.114:                              ;   in Loop: Header=BB1_81 Depth=1
	s_or_saveexec_b32 s10, s10
                                        ; implicit-def: $sgpr11
	s_delay_alu instid0(SALU_CYCLE_1)
	s_xor_b32 exec_lo, exec_lo, s10
	s_cbranch_execnz .LBB1_189
.LBB1_115:                              ;   in Loop: Header=BB1_81 Depth=1
	s_or_b32 exec_lo, exec_lo, s10
	v_mov_b32_e32 v2, s11
	s_and_saveexec_b32 s10, s8
.LBB1_116:                              ;   in Loop: Header=BB1_81 Depth=1
	v_lshrrev_b32_e32 v2, 24, v3
	s_delay_alu instid0(VALU_DEP_1)
	v_and_or_b32 v2, 0x80, v2, v6
.LBB1_117:                              ;   in Loop: Header=BB1_81 Depth=1
	s_or_b32 exec_lo, exec_lo, s10
.LBB1_118:                              ;   in Loop: Header=BB1_81 Depth=1
	s_delay_alu instid0(SALU_CYCLE_1) | instskip(SKIP_2) | instid1(VALU_DEP_1)
	s_or_b32 exec_lo, exec_lo, s7
	v_mul_f32_e32 v3, v13, v8
	s_mov_b32 s7, exec_lo
	v_mul_f32_e32 v3, v4, v3
	s_delay_alu instid0(VALU_DEP_1) | instskip(SKIP_1) | instid1(VALU_DEP_2)
	v_div_scale_f32 v4, null, v14, v14, v3
	v_div_scale_f32 v8, vcc_lo, v3, v14, v3
	v_rcp_f32_e32 v6, v4
	s_waitcnt_depctr 0xfff
	v_fma_f32 v7, -v4, v6, 1.0
	s_delay_alu instid0(VALU_DEP_1) | instskip(NEXT) | instid1(VALU_DEP_1)
	v_fmac_f32_e32 v6, v7, v6
	v_mul_f32_e32 v7, v8, v6
	s_delay_alu instid0(VALU_DEP_1) | instskip(NEXT) | instid1(VALU_DEP_1)
	v_fma_f32 v15, -v4, v7, v8
	v_fmac_f32_e32 v7, v15, v6
	s_delay_alu instid0(VALU_DEP_1) | instskip(NEXT) | instid1(VALU_DEP_1)
	v_fma_f32 v4, -v4, v7, v8
	v_div_fmas_f32 v4, v4, v6, v7
	s_delay_alu instid0(VALU_DEP_1) | instskip(SKIP_1) | instid1(VALU_DEP_2)
	v_div_fixup_f32 v3, v4, v14, v3
	v_mov_b32_e32 v4, 0x80
	v_minmax_f32 v6, v3, s5, 0xc3600000
	v_mov_b32_e32 v3, 0x80
	s_delay_alu instid0(VALU_DEP_2) | instskip(NEXT) | instid1(VALU_DEP_1)
	v_and_b32_e32 v7, 0x7fffffff, v6
	v_cmpx_gt_u32_e32 0x43800000, v7
	s_cbranch_execz .LBB1_124
; %bb.119:                              ;   in Loop: Header=BB1_81 Depth=1
	v_cmp_lt_u32_e32 vcc_lo, 0x3bffffff, v7
	s_mov_b32 s8, 0
                                        ; implicit-def: $vgpr7
	s_and_saveexec_b32 s10, vcc_lo
	s_delay_alu instid0(SALU_CYCLE_1)
	s_xor_b32 s10, exec_lo, s10
	s_cbranch_execnz .LBB1_190
; %bb.120:                              ;   in Loop: Header=BB1_81 Depth=1
	s_or_saveexec_b32 s10, s10
                                        ; implicit-def: $sgpr11
	s_delay_alu instid0(SALU_CYCLE_1)
	s_xor_b32 exec_lo, exec_lo, s10
	s_cbranch_execnz .LBB1_191
.LBB1_121:                              ;   in Loop: Header=BB1_81 Depth=1
	s_or_b32 exec_lo, exec_lo, s10
	v_mov_b32_e32 v4, s11
	s_and_saveexec_b32 s10, s8
.LBB1_122:                              ;   in Loop: Header=BB1_81 Depth=1
	v_lshrrev_b32_e32 v4, 24, v6
	s_delay_alu instid0(VALU_DEP_1)
	v_and_or_b32 v4, 0x80, v4, v7
.LBB1_123:                              ;   in Loop: Header=BB1_81 Depth=1
	s_or_b32 exec_lo, exec_lo, s10
.LBB1_124:                              ;   in Loop: Header=BB1_81 Depth=1
	s_delay_alu instid0(SALU_CYCLE_1) | instskip(SKIP_2) | instid1(VALU_DEP_1)
	s_or_b32 exec_lo, exec_lo, s7
	v_mul_f32_e32 v6, v13, v9
	s_mov_b32 s7, exec_lo
	v_mul_f32_e32 v5, v5, v6
	s_delay_alu instid0(VALU_DEP_1) | instskip(NEXT) | instid1(VALU_DEP_1)
	v_div_scale_f32 v6, null, v14, v14, v5
	v_rcp_f32_e32 v7, v6
	s_waitcnt_depctr 0xfff
	v_fma_f32 v8, -v6, v7, 1.0
	s_delay_alu instid0(VALU_DEP_1) | instskip(SKIP_1) | instid1(VALU_DEP_1)
	v_fmac_f32_e32 v7, v8, v7
	v_div_scale_f32 v8, vcc_lo, v5, v14, v5
	v_mul_f32_e32 v9, v8, v7
	s_delay_alu instid0(VALU_DEP_1) | instskip(NEXT) | instid1(VALU_DEP_1)
	v_fma_f32 v15, -v6, v9, v8
	v_fmac_f32_e32 v9, v15, v7
	s_delay_alu instid0(VALU_DEP_1) | instskip(NEXT) | instid1(VALU_DEP_1)
	v_fma_f32 v6, -v6, v9, v8
	v_div_fmas_f32 v6, v6, v7, v9
	s_delay_alu instid0(VALU_DEP_1) | instskip(NEXT) | instid1(VALU_DEP_1)
	v_div_fixup_f32 v5, v6, v14, v5
	v_minmax_f32 v5, v5, s5, 0xc3600000
	s_delay_alu instid0(VALU_DEP_1) | instskip(NEXT) | instid1(VALU_DEP_1)
	v_and_b32_e32 v6, 0x7fffffff, v5
	v_cmpx_gt_u32_e32 0x43800000, v6
	s_cbranch_execz .LBB1_130
; %bb.125:                              ;   in Loop: Header=BB1_81 Depth=1
	v_cmp_lt_u32_e32 vcc_lo, 0x3bffffff, v6
	s_mov_b32 s8, 0
                                        ; implicit-def: $vgpr6
	s_and_saveexec_b32 s10, vcc_lo
	s_delay_alu instid0(SALU_CYCLE_1)
	s_xor_b32 s10, exec_lo, s10
	s_cbranch_execnz .LBB1_192
; %bb.126:                              ;   in Loop: Header=BB1_81 Depth=1
	s_or_saveexec_b32 s10, s10
                                        ; implicit-def: $sgpr11
	s_delay_alu instid0(SALU_CYCLE_1)
	s_xor_b32 exec_lo, exec_lo, s10
	s_cbranch_execnz .LBB1_193
.LBB1_127:                              ;   in Loop: Header=BB1_81 Depth=1
	s_or_b32 exec_lo, exec_lo, s10
	v_mov_b32_e32 v3, s11
	s_and_saveexec_b32 s10, s8
.LBB1_128:                              ;   in Loop: Header=BB1_81 Depth=1
	v_lshrrev_b32_e32 v3, 24, v5
	s_delay_alu instid0(VALU_DEP_1)
	v_and_or_b32 v3, 0x80, v3, v6
.LBB1_129:                              ;   in Loop: Header=BB1_81 Depth=1
	s_or_b32 exec_lo, exec_lo, s10
.LBB1_130:                              ;   in Loop: Header=BB1_81 Depth=1
	s_delay_alu instid0(SALU_CYCLE_1)
	s_or_b32 exec_lo, exec_lo, s7
	v_lshlrev_b32_e32 v6, 16, v4
	v_lshlrev_b32_e32 v2, 8, v2
	v_lshlrev_b64 v[4:5], 2, v[10:11]
	v_and_b32_e32 v7, 0xff, v12
	v_add_nc_u32_e32 v11, s3, v0
	v_perm_b32 v6, v3, v6, 0x4020c0c
	v_and_b32_e32 v8, 0xff00, v2
	s_mov_b32 s8, -1
	v_add_co_u32 v2, vcc_lo, s0, v4
	v_add_co_ci_u32_e32 v3, vcc_lo, s1, v5, vcc_lo
	s_delay_alu instid0(VALU_DEP_3)
	v_or3_b32 v4, v6, v8, v7
	s_mov_b32 s7, exec_lo
	global_store_b32 v[2:3], v4, off
	v_cmpx_gt_u32_e64 s23, v11
	s_cbranch_execz .LBB1_79
; %bb.131:                              ;   in Loop: Header=BB1_81 Depth=1
	v_mov_b32_e32 v12, v1
	s_mov_b32 s8, exec_lo
	s_delay_alu instid0(VALU_DEP_1) | instskip(NEXT) | instid1(VALU_DEP_1)
	v_lshlrev_b64 v[2:3], 4, v[11:12]
	v_add_co_u32 v4, vcc_lo, s9, v2
	s_delay_alu instid0(VALU_DEP_2)
	v_add_co_ci_u32_e32 v5, vcc_lo, s16, v3, vcc_lo
	v_add_co_u32 v21, vcc_lo, s17, v2
	v_add_co_ci_u32_e32 v22, vcc_lo, s22, v3, vcc_lo
	v_add_co_u32 v2, vcc_lo, s18, v2
	global_load_b128 v[6:9], v[4:5], off
	global_load_b128 v[17:20], v[21:22], off
	v_add_co_ci_u32_e32 v3, vcc_lo, s19, v3, vcc_lo
	global_load_b128 v[2:5], v[2:3], off
	s_waitcnt vmcnt(1)
	v_add_f32_e32 v6, v6, v17
	v_dual_add_f32 v8, v8, v19 :: v_dual_add_f32 v9, v9, v20
	v_add_f32_e32 v7, v7, v18
	s_delay_alu instid0(VALU_DEP_3) | instskip(SKIP_1) | instid1(VALU_DEP_1)
	v_mul_f32_e32 v15, v13, v6
	s_waitcnt vmcnt(0)
	v_mul_f32_e32 v2, v2, v15
	s_delay_alu instid0(VALU_DEP_1) | instskip(SKIP_1) | instid1(VALU_DEP_2)
	v_div_scale_f32 v15, null, v14, v14, v2
	v_div_scale_f32 v23, vcc_lo, v2, v14, v2
	v_rcp_f32_e32 v16, v15
	s_waitcnt_depctr 0xfff
	v_fma_f32 v17, -v15, v16, 1.0
	s_delay_alu instid0(VALU_DEP_1) | instskip(NEXT) | instid1(VALU_DEP_1)
	v_fmac_f32_e32 v16, v17, v16
	v_mul_f32_e32 v17, v23, v16
	s_delay_alu instid0(VALU_DEP_1) | instskip(NEXT) | instid1(VALU_DEP_1)
	v_fma_f32 v24, -v15, v17, v23
	v_fmac_f32_e32 v17, v24, v16
	global_store_b128 v[21:22], v[6:9], off
	v_fma_f32 v15, -v15, v17, v23
	s_delay_alu instid0(VALU_DEP_1) | instskip(NEXT) | instid1(VALU_DEP_1)
	v_div_fmas_f32 v15, v15, v16, v17
	v_div_fixup_f32 v2, v15, v14, v2
	v_mov_b32_e32 v15, 0x80
	s_delay_alu instid0(VALU_DEP_2) | instskip(SKIP_1) | instid1(VALU_DEP_2)
	v_minmax_f32 v16, v2, s5, 0xc3600000
	v_mov_b32_e32 v2, 0x80
	v_and_b32_e32 v17, 0x7fffffff, v16
	s_delay_alu instid0(VALU_DEP_1)
	v_cmpx_gt_u32_e32 0x43800000, v17
	s_cbranch_execz .LBB1_137
; %bb.132:                              ;   in Loop: Header=BB1_81 Depth=1
	s_mov_b32 s10, 0
	s_mov_b32 s11, exec_lo
                                        ; implicit-def: $vgpr6
	v_cmpx_lt_u32_e32 0x3bffffff, v17
	s_xor_b32 s11, exec_lo, s11
	s_cbranch_execnz .LBB1_194
; %bb.133:                              ;   in Loop: Header=BB1_81 Depth=1
	s_or_saveexec_b32 s11, s11
                                        ; implicit-def: $sgpr12
	s_delay_alu instid0(SALU_CYCLE_1)
	s_xor_b32 exec_lo, exec_lo, s11
	s_cbranch_execnz .LBB1_195
.LBB1_134:                              ;   in Loop: Header=BB1_81 Depth=1
	s_or_b32 exec_lo, exec_lo, s11
	v_mov_b32_e32 v15, s12
	s_and_saveexec_b32 s11, s10
.LBB1_135:                              ;   in Loop: Header=BB1_81 Depth=1
	v_lshrrev_b32_e32 v15, 24, v16
	s_delay_alu instid0(VALU_DEP_1)
	v_and_or_b32 v15, 0x80, v15, v6
.LBB1_136:                              ;   in Loop: Header=BB1_81 Depth=1
	s_or_b32 exec_lo, exec_lo, s11
.LBB1_137:                              ;   in Loop: Header=BB1_81 Depth=1
	s_delay_alu instid0(SALU_CYCLE_1) | instskip(SKIP_2) | instid1(VALU_DEP_1)
	s_or_b32 exec_lo, exec_lo, s8
	v_mul_f32_e32 v6, v13, v7
	s_mov_b32 s8, exec_lo
	v_mul_f32_e32 v3, v3, v6
	s_delay_alu instid0(VALU_DEP_1) | instskip(NEXT) | instid1(VALU_DEP_1)
	v_div_scale_f32 v6, null, v14, v14, v3
	v_rcp_f32_e32 v7, v6
	s_waitcnt_depctr 0xfff
	v_fma_f32 v16, -v6, v7, 1.0
	s_delay_alu instid0(VALU_DEP_1) | instskip(SKIP_1) | instid1(VALU_DEP_1)
	v_fmac_f32_e32 v7, v16, v7
	v_div_scale_f32 v16, vcc_lo, v3, v14, v3
	v_mul_f32_e32 v17, v16, v7
	s_delay_alu instid0(VALU_DEP_1) | instskip(NEXT) | instid1(VALU_DEP_1)
	v_fma_f32 v18, -v6, v17, v16
	v_fmac_f32_e32 v17, v18, v7
	s_delay_alu instid0(VALU_DEP_1) | instskip(NEXT) | instid1(VALU_DEP_1)
	v_fma_f32 v6, -v6, v17, v16
	v_div_fmas_f32 v6, v6, v7, v17
	s_delay_alu instid0(VALU_DEP_1) | instskip(NEXT) | instid1(VALU_DEP_1)
	v_div_fixup_f32 v3, v6, v14, v3
	v_minmax_f32 v3, v3, s5, 0xc3600000
	s_delay_alu instid0(VALU_DEP_1) | instskip(NEXT) | instid1(VALU_DEP_1)
	v_and_b32_e32 v6, 0x7fffffff, v3
	v_cmpx_gt_u32_e32 0x43800000, v6
	s_cbranch_execz .LBB1_143
; %bb.138:                              ;   in Loop: Header=BB1_81 Depth=1
	v_cmp_lt_u32_e32 vcc_lo, 0x3bffffff, v6
	s_mov_b32 s10, 0
                                        ; implicit-def: $vgpr6
	s_and_saveexec_b32 s11, vcc_lo
	s_delay_alu instid0(SALU_CYCLE_1)
	s_xor_b32 s11, exec_lo, s11
	s_cbranch_execnz .LBB1_196
; %bb.139:                              ;   in Loop: Header=BB1_81 Depth=1
	s_or_saveexec_b32 s11, s11
                                        ; implicit-def: $sgpr12
	s_delay_alu instid0(SALU_CYCLE_1)
	s_xor_b32 exec_lo, exec_lo, s11
	s_cbranch_execnz .LBB1_197
.LBB1_140:                              ;   in Loop: Header=BB1_81 Depth=1
	s_or_b32 exec_lo, exec_lo, s11
	v_mov_b32_e32 v2, s12
	s_and_saveexec_b32 s11, s10
.LBB1_141:                              ;   in Loop: Header=BB1_81 Depth=1
	v_lshrrev_b32_e32 v2, 24, v3
	s_delay_alu instid0(VALU_DEP_1)
	v_and_or_b32 v2, 0x80, v2, v6
.LBB1_142:                              ;   in Loop: Header=BB1_81 Depth=1
	s_or_b32 exec_lo, exec_lo, s11
.LBB1_143:                              ;   in Loop: Header=BB1_81 Depth=1
	s_delay_alu instid0(SALU_CYCLE_1) | instskip(SKIP_2) | instid1(VALU_DEP_1)
	s_or_b32 exec_lo, exec_lo, s8
	v_mul_f32_e32 v3, v13, v8
	s_mov_b32 s8, exec_lo
	v_mul_f32_e32 v3, v4, v3
	s_delay_alu instid0(VALU_DEP_1) | instskip(SKIP_1) | instid1(VALU_DEP_2)
	v_div_scale_f32 v4, null, v14, v14, v3
	v_div_scale_f32 v8, vcc_lo, v3, v14, v3
	v_rcp_f32_e32 v6, v4
	s_waitcnt_depctr 0xfff
	v_fma_f32 v7, -v4, v6, 1.0
	s_delay_alu instid0(VALU_DEP_1) | instskip(NEXT) | instid1(VALU_DEP_1)
	v_fmac_f32_e32 v6, v7, v6
	v_mul_f32_e32 v7, v8, v6
	s_delay_alu instid0(VALU_DEP_1) | instskip(NEXT) | instid1(VALU_DEP_1)
	v_fma_f32 v16, -v4, v7, v8
	v_fmac_f32_e32 v7, v16, v6
	s_delay_alu instid0(VALU_DEP_1) | instskip(NEXT) | instid1(VALU_DEP_1)
	v_fma_f32 v4, -v4, v7, v8
	v_div_fmas_f32 v4, v4, v6, v7
	s_delay_alu instid0(VALU_DEP_1) | instskip(SKIP_1) | instid1(VALU_DEP_2)
	v_div_fixup_f32 v3, v4, v14, v3
	v_mov_b32_e32 v4, 0x80
	v_minmax_f32 v6, v3, s5, 0xc3600000
	v_mov_b32_e32 v3, 0x80
	s_delay_alu instid0(VALU_DEP_2) | instskip(NEXT) | instid1(VALU_DEP_1)
	v_and_b32_e32 v7, 0x7fffffff, v6
	v_cmpx_gt_u32_e32 0x43800000, v7
	s_cbranch_execz .LBB1_149
; %bb.144:                              ;   in Loop: Header=BB1_81 Depth=1
	v_cmp_lt_u32_e32 vcc_lo, 0x3bffffff, v7
	s_mov_b32 s10, 0
                                        ; implicit-def: $vgpr7
	s_and_saveexec_b32 s11, vcc_lo
	s_delay_alu instid0(SALU_CYCLE_1)
	s_xor_b32 s11, exec_lo, s11
	s_cbranch_execnz .LBB1_198
; %bb.145:                              ;   in Loop: Header=BB1_81 Depth=1
	s_or_saveexec_b32 s11, s11
                                        ; implicit-def: $sgpr12
	s_delay_alu instid0(SALU_CYCLE_1)
	s_xor_b32 exec_lo, exec_lo, s11
	s_cbranch_execnz .LBB1_199
.LBB1_146:                              ;   in Loop: Header=BB1_81 Depth=1
	s_or_b32 exec_lo, exec_lo, s11
	v_mov_b32_e32 v4, s12
	s_and_saveexec_b32 s11, s10
.LBB1_147:                              ;   in Loop: Header=BB1_81 Depth=1
	v_lshrrev_b32_e32 v4, 24, v6
	s_delay_alu instid0(VALU_DEP_1)
	v_and_or_b32 v4, 0x80, v4, v7
.LBB1_148:                              ;   in Loop: Header=BB1_81 Depth=1
	s_or_b32 exec_lo, exec_lo, s11
.LBB1_149:                              ;   in Loop: Header=BB1_81 Depth=1
	s_delay_alu instid0(SALU_CYCLE_1) | instskip(SKIP_2) | instid1(VALU_DEP_1)
	s_or_b32 exec_lo, exec_lo, s8
	v_mul_f32_e32 v6, v13, v9
	s_mov_b32 s8, exec_lo
	v_mul_f32_e32 v5, v5, v6
	s_delay_alu instid0(VALU_DEP_1) | instskip(NEXT) | instid1(VALU_DEP_1)
	v_div_scale_f32 v6, null, v14, v14, v5
	v_rcp_f32_e32 v7, v6
	s_waitcnt_depctr 0xfff
	v_fma_f32 v8, -v6, v7, 1.0
	s_delay_alu instid0(VALU_DEP_1) | instskip(SKIP_1) | instid1(VALU_DEP_1)
	v_fmac_f32_e32 v7, v8, v7
	v_div_scale_f32 v8, vcc_lo, v5, v14, v5
	v_mul_f32_e32 v9, v8, v7
	s_delay_alu instid0(VALU_DEP_1) | instskip(NEXT) | instid1(VALU_DEP_1)
	v_fma_f32 v16, -v6, v9, v8
	v_fmac_f32_e32 v9, v16, v7
	s_delay_alu instid0(VALU_DEP_1) | instskip(NEXT) | instid1(VALU_DEP_1)
	v_fma_f32 v6, -v6, v9, v8
	v_div_fmas_f32 v6, v6, v7, v9
	s_delay_alu instid0(VALU_DEP_1) | instskip(NEXT) | instid1(VALU_DEP_1)
	v_div_fixup_f32 v5, v6, v14, v5
	v_minmax_f32 v5, v5, s5, 0xc3600000
	s_delay_alu instid0(VALU_DEP_1) | instskip(NEXT) | instid1(VALU_DEP_1)
	v_and_b32_e32 v6, 0x7fffffff, v5
	v_cmpx_gt_u32_e32 0x43800000, v6
	s_cbranch_execz .LBB1_155
; %bb.150:                              ;   in Loop: Header=BB1_81 Depth=1
	v_cmp_lt_u32_e32 vcc_lo, 0x3bffffff, v6
	s_mov_b32 s10, 0
                                        ; implicit-def: $vgpr6
	s_and_saveexec_b32 s11, vcc_lo
	s_delay_alu instid0(SALU_CYCLE_1)
	s_xor_b32 s11, exec_lo, s11
	s_cbranch_execnz .LBB1_200
; %bb.151:                              ;   in Loop: Header=BB1_81 Depth=1
	s_or_saveexec_b32 s11, s11
                                        ; implicit-def: $sgpr12
	s_delay_alu instid0(SALU_CYCLE_1)
	s_xor_b32 exec_lo, exec_lo, s11
	s_cbranch_execnz .LBB1_201
.LBB1_152:                              ;   in Loop: Header=BB1_81 Depth=1
	s_or_b32 exec_lo, exec_lo, s11
	v_mov_b32_e32 v3, s12
	s_and_saveexec_b32 s11, s10
.LBB1_153:                              ;   in Loop: Header=BB1_81 Depth=1
	v_lshrrev_b32_e32 v3, 24, v5
	s_delay_alu instid0(VALU_DEP_1)
	v_and_or_b32 v3, 0x80, v3, v6
.LBB1_154:                              ;   in Loop: Header=BB1_81 Depth=1
	s_or_b32 exec_lo, exec_lo, s11
.LBB1_155:                              ;   in Loop: Header=BB1_81 Depth=1
	s_delay_alu instid0(SALU_CYCLE_1)
	s_or_b32 exec_lo, exec_lo, s8
	v_lshlrev_b32_e32 v6, 16, v4
	v_lshlrev_b32_e32 v2, 8, v2
	v_lshlrev_b64 v[4:5], 2, v[11:12]
	v_and_b32_e32 v7, 0xff, v15
	v_add_nc_u32_e32 v0, s2, v0
	v_perm_b32 v6, v3, v6, 0x4020c0c
	v_and_b32_e32 v8, 0xff00, v2
	s_mov_b32 s10, -1
	v_add_co_u32 v2, vcc_lo, s0, v4
	v_add_co_ci_u32_e32 v3, vcc_lo, s1, v5, vcc_lo
	s_delay_alu instid0(VALU_DEP_3)
	v_or3_b32 v4, v6, v8, v7
	s_mov_b32 s8, exec_lo
	global_store_b32 v[2:3], v4, off
	v_cmpx_gt_u32_e64 s23, v0
	s_cbranch_execz .LBB1_78
; %bb.156:                              ;   in Loop: Header=BB1_81 Depth=1
	v_lshlrev_b64 v[2:3], 4, v[0:1]
	s_mov_b32 s10, exec_lo
	s_delay_alu instid0(VALU_DEP_1) | instskip(NEXT) | instid1(VALU_DEP_2)
	v_add_co_u32 v4, vcc_lo, s9, v2
	v_add_co_ci_u32_e32 v5, vcc_lo, s16, v3, vcc_lo
	v_add_co_u32 v19, vcc_lo, s17, v2
	v_add_co_ci_u32_e32 v20, vcc_lo, s22, v3, vcc_lo
	v_add_co_u32 v2, vcc_lo, s18, v2
	global_load_b128 v[6:9], v[4:5], off
	global_load_b128 v[15:18], v[19:20], off
	v_add_co_ci_u32_e32 v3, vcc_lo, s19, v3, vcc_lo
	global_load_b128 v[2:5], v[2:3], off
	s_waitcnt vmcnt(1)
	v_dual_add_f32 v6, v6, v15 :: v_dual_add_f32 v7, v7, v16
	v_dual_add_f32 v9, v9, v18 :: v_dual_add_f32 v8, v8, v17
	s_delay_alu instid0(VALU_DEP_2) | instskip(SKIP_1) | instid1(VALU_DEP_1)
	v_mul_f32_e32 v11, v13, v6
	s_waitcnt vmcnt(0)
	v_mul_f32_e32 v2, v2, v11
	s_delay_alu instid0(VALU_DEP_1) | instskip(SKIP_1) | instid1(VALU_DEP_2)
	v_div_scale_f32 v11, null, v14, v14, v2
	v_div_scale_f32 v21, vcc_lo, v2, v14, v2
	v_rcp_f32_e32 v12, v11
	s_waitcnt_depctr 0xfff
	v_fma_f32 v15, -v11, v12, 1.0
	s_delay_alu instid0(VALU_DEP_1) | instskip(NEXT) | instid1(VALU_DEP_1)
	v_fmac_f32_e32 v12, v15, v12
	v_mul_f32_e32 v15, v21, v12
	global_store_b128 v[19:20], v[6:9], off
	v_fma_f32 v22, -v11, v15, v21
	s_delay_alu instid0(VALU_DEP_1) | instskip(NEXT) | instid1(VALU_DEP_1)
	v_fmac_f32_e32 v15, v22, v12
	v_fma_f32 v11, -v11, v15, v21
	s_delay_alu instid0(VALU_DEP_1) | instskip(NEXT) | instid1(VALU_DEP_1)
	v_div_fmas_f32 v11, v11, v12, v15
	v_div_fixup_f32 v2, v11, v14, v2
	v_mov_b32_e32 v11, 0x80
	s_delay_alu instid0(VALU_DEP_2) | instskip(SKIP_1) | instid1(VALU_DEP_2)
	v_minmax_f32 v12, v2, s5, 0xc3600000
	v_mov_b32_e32 v2, 0x80
	v_and_b32_e32 v15, 0x7fffffff, v12
	s_delay_alu instid0(VALU_DEP_1)
	v_cmpx_gt_u32_e32 0x43800000, v15
	s_cbranch_execz .LBB1_162
; %bb.157:                              ;   in Loop: Header=BB1_81 Depth=1
	s_mov_b32 s11, 0
	s_mov_b32 s12, exec_lo
                                        ; implicit-def: $vgpr6
	v_cmpx_lt_u32_e32 0x3bffffff, v15
	s_xor_b32 s12, exec_lo, s12
	s_cbranch_execnz .LBB1_202
; %bb.158:                              ;   in Loop: Header=BB1_81 Depth=1
	s_or_saveexec_b32 s12, s12
                                        ; implicit-def: $sgpr13
	s_delay_alu instid0(SALU_CYCLE_1)
	s_xor_b32 exec_lo, exec_lo, s12
	s_cbranch_execnz .LBB1_203
.LBB1_159:                              ;   in Loop: Header=BB1_81 Depth=1
	s_or_b32 exec_lo, exec_lo, s12
	v_mov_b32_e32 v2, s13
	s_and_saveexec_b32 s12, s11
.LBB1_160:                              ;   in Loop: Header=BB1_81 Depth=1
	v_lshrrev_b32_e32 v2, 24, v12
	s_delay_alu instid0(VALU_DEP_1)
	v_and_or_b32 v2, 0x80, v2, v6
.LBB1_161:                              ;   in Loop: Header=BB1_81 Depth=1
	s_or_b32 exec_lo, exec_lo, s12
.LBB1_162:                              ;   in Loop: Header=BB1_81 Depth=1
	s_delay_alu instid0(SALU_CYCLE_1) | instskip(SKIP_2) | instid1(VALU_DEP_1)
	s_or_b32 exec_lo, exec_lo, s10
	v_mul_f32_e32 v6, v13, v7
	s_mov_b32 s10, exec_lo
	v_mul_f32_e32 v3, v3, v6
	s_delay_alu instid0(VALU_DEP_1) | instskip(NEXT) | instid1(VALU_DEP_1)
	v_div_scale_f32 v6, null, v14, v14, v3
	v_rcp_f32_e32 v7, v6
	s_waitcnt_depctr 0xfff
	v_fma_f32 v12, -v6, v7, 1.0
	s_delay_alu instid0(VALU_DEP_1) | instskip(SKIP_1) | instid1(VALU_DEP_1)
	v_fmac_f32_e32 v7, v12, v7
	v_div_scale_f32 v12, vcc_lo, v3, v14, v3
	v_mul_f32_e32 v15, v12, v7
	s_delay_alu instid0(VALU_DEP_1) | instskip(NEXT) | instid1(VALU_DEP_1)
	v_fma_f32 v16, -v6, v15, v12
	v_fmac_f32_e32 v15, v16, v7
	s_delay_alu instid0(VALU_DEP_1) | instskip(NEXT) | instid1(VALU_DEP_1)
	v_fma_f32 v6, -v6, v15, v12
	v_div_fmas_f32 v6, v6, v7, v15
	s_delay_alu instid0(VALU_DEP_1) | instskip(NEXT) | instid1(VALU_DEP_1)
	v_div_fixup_f32 v3, v6, v14, v3
	v_minmax_f32 v3, v3, s5, 0xc3600000
	s_delay_alu instid0(VALU_DEP_1) | instskip(NEXT) | instid1(VALU_DEP_1)
	v_and_b32_e32 v6, 0x7fffffff, v3
	v_cmpx_gt_u32_e32 0x43800000, v6
	s_cbranch_execz .LBB1_168
; %bb.163:                              ;   in Loop: Header=BB1_81 Depth=1
	v_cmp_lt_u32_e32 vcc_lo, 0x3bffffff, v6
	s_mov_b32 s11, 0
                                        ; implicit-def: $vgpr6
	s_and_saveexec_b32 s12, vcc_lo
	s_delay_alu instid0(SALU_CYCLE_1)
	s_xor_b32 s12, exec_lo, s12
	s_cbranch_execnz .LBB1_204
; %bb.164:                              ;   in Loop: Header=BB1_81 Depth=1
	s_or_saveexec_b32 s12, s12
                                        ; implicit-def: $sgpr13
	s_delay_alu instid0(SALU_CYCLE_1)
	s_xor_b32 exec_lo, exec_lo, s12
	s_cbranch_execnz .LBB1_205
.LBB1_165:                              ;   in Loop: Header=BB1_81 Depth=1
	s_or_b32 exec_lo, exec_lo, s12
	v_mov_b32_e32 v11, s13
	s_and_saveexec_b32 s12, s11
.LBB1_166:                              ;   in Loop: Header=BB1_81 Depth=1
	v_lshrrev_b32_e32 v3, 24, v3
	s_delay_alu instid0(VALU_DEP_1)
	v_and_or_b32 v11, 0x80, v3, v6
.LBB1_167:                              ;   in Loop: Header=BB1_81 Depth=1
	s_or_b32 exec_lo, exec_lo, s12
.LBB1_168:                              ;   in Loop: Header=BB1_81 Depth=1
	s_delay_alu instid0(SALU_CYCLE_1) | instskip(SKIP_2) | instid1(VALU_DEP_1)
	s_or_b32 exec_lo, exec_lo, s10
	v_mul_f32_e32 v3, v13, v8
	s_mov_b32 s10, exec_lo
	v_mul_f32_e32 v3, v4, v3
	s_delay_alu instid0(VALU_DEP_1) | instskip(SKIP_1) | instid1(VALU_DEP_2)
	v_div_scale_f32 v4, null, v14, v14, v3
	v_div_scale_f32 v8, vcc_lo, v3, v14, v3
	v_rcp_f32_e32 v6, v4
	s_waitcnt_depctr 0xfff
	v_fma_f32 v7, -v4, v6, 1.0
	s_delay_alu instid0(VALU_DEP_1) | instskip(NEXT) | instid1(VALU_DEP_1)
	v_fmac_f32_e32 v6, v7, v6
	v_mul_f32_e32 v7, v8, v6
	s_delay_alu instid0(VALU_DEP_1) | instskip(NEXT) | instid1(VALU_DEP_1)
	v_fma_f32 v12, -v4, v7, v8
	v_fmac_f32_e32 v7, v12, v6
	s_delay_alu instid0(VALU_DEP_1) | instskip(NEXT) | instid1(VALU_DEP_1)
	v_fma_f32 v4, -v4, v7, v8
	v_div_fmas_f32 v4, v4, v6, v7
	s_delay_alu instid0(VALU_DEP_1) | instskip(SKIP_1) | instid1(VALU_DEP_2)
	v_div_fixup_f32 v3, v4, v14, v3
	v_mov_b32_e32 v4, 0x80
	v_minmax_f32 v6, v3, s5, 0xc3600000
	v_mov_b32_e32 v3, 0x80
	s_delay_alu instid0(VALU_DEP_2) | instskip(NEXT) | instid1(VALU_DEP_1)
	v_and_b32_e32 v7, 0x7fffffff, v6
	v_cmpx_gt_u32_e32 0x43800000, v7
	s_cbranch_execz .LBB1_174
; %bb.169:                              ;   in Loop: Header=BB1_81 Depth=1
	v_cmp_lt_u32_e32 vcc_lo, 0x3bffffff, v7
	s_mov_b32 s11, 0
                                        ; implicit-def: $vgpr7
	s_and_saveexec_b32 s12, vcc_lo
	s_delay_alu instid0(SALU_CYCLE_1)
	s_xor_b32 s12, exec_lo, s12
	s_cbranch_execnz .LBB1_206
; %bb.170:                              ;   in Loop: Header=BB1_81 Depth=1
	s_or_saveexec_b32 s12, s12
                                        ; implicit-def: $sgpr13
	s_delay_alu instid0(SALU_CYCLE_1)
	s_xor_b32 exec_lo, exec_lo, s12
	s_cbranch_execnz .LBB1_207
.LBB1_171:                              ;   in Loop: Header=BB1_81 Depth=1
	s_or_b32 exec_lo, exec_lo, s12
	v_mov_b32_e32 v4, s13
	s_and_saveexec_b32 s12, s11
.LBB1_172:                              ;   in Loop: Header=BB1_81 Depth=1
	v_lshrrev_b32_e32 v4, 24, v6
	s_delay_alu instid0(VALU_DEP_1)
	v_and_or_b32 v4, 0x80, v4, v7
.LBB1_173:                              ;   in Loop: Header=BB1_81 Depth=1
	s_or_b32 exec_lo, exec_lo, s12
.LBB1_174:                              ;   in Loop: Header=BB1_81 Depth=1
	s_delay_alu instid0(SALU_CYCLE_1) | instskip(SKIP_2) | instid1(VALU_DEP_1)
	s_or_b32 exec_lo, exec_lo, s10
	v_mul_f32_e32 v6, v13, v9
	s_mov_b32 s10, exec_lo
	v_mul_f32_e32 v5, v5, v6
	s_delay_alu instid0(VALU_DEP_1) | instskip(NEXT) | instid1(VALU_DEP_1)
	v_div_scale_f32 v6, null, v14, v14, v5
	v_rcp_f32_e32 v7, v6
	s_waitcnt_depctr 0xfff
	v_fma_f32 v8, -v6, v7, 1.0
	s_delay_alu instid0(VALU_DEP_1) | instskip(SKIP_1) | instid1(VALU_DEP_1)
	v_fmac_f32_e32 v7, v8, v7
	v_div_scale_f32 v8, vcc_lo, v5, v14, v5
	v_mul_f32_e32 v9, v8, v7
	s_delay_alu instid0(VALU_DEP_1) | instskip(NEXT) | instid1(VALU_DEP_1)
	v_fma_f32 v12, -v6, v9, v8
	v_fmac_f32_e32 v9, v12, v7
	s_delay_alu instid0(VALU_DEP_1) | instskip(NEXT) | instid1(VALU_DEP_1)
	v_fma_f32 v6, -v6, v9, v8
	v_div_fmas_f32 v6, v6, v7, v9
	s_delay_alu instid0(VALU_DEP_1) | instskip(NEXT) | instid1(VALU_DEP_1)
	v_div_fixup_f32 v5, v6, v14, v5
	v_minmax_f32 v5, v5, s5, 0xc3600000
	s_delay_alu instid0(VALU_DEP_1) | instskip(NEXT) | instid1(VALU_DEP_1)
	v_and_b32_e32 v6, 0x7fffffff, v5
	v_cmpx_gt_u32_e32 0x43800000, v6
	s_cbranch_execz .LBB1_77
; %bb.175:                              ;   in Loop: Header=BB1_81 Depth=1
	v_cmp_lt_u32_e32 vcc_lo, 0x3bffffff, v6
	s_mov_b32 s11, 0
                                        ; implicit-def: $vgpr6
	s_and_saveexec_b32 s12, vcc_lo
	s_delay_alu instid0(SALU_CYCLE_1)
	s_xor_b32 s12, exec_lo, s12
	s_cbranch_execnz .LBB1_208
; %bb.176:                              ;   in Loop: Header=BB1_81 Depth=1
	s_or_saveexec_b32 s12, s12
                                        ; implicit-def: $sgpr13
	s_delay_alu instid0(SALU_CYCLE_1)
	s_xor_b32 exec_lo, exec_lo, s12
	s_cbranch_execnz .LBB1_209
.LBB1_177:                              ;   in Loop: Header=BB1_81 Depth=1
	s_or_b32 exec_lo, exec_lo, s12
	v_mov_b32_e32 v3, s13
	s_and_saveexec_b32 s12, s11
	s_cbranch_execz .LBB1_76
	s_branch .LBB1_210
.LBB1_178:                              ;   in Loop: Header=BB1_81 Depth=1
	v_bfe_u32 v6, v11, 20, 1
	s_mov_b32 s7, exec_lo
	s_delay_alu instid0(VALU_DEP_1) | instskip(NEXT) | instid1(VALU_DEP_1)
	v_add3_u32 v6, v11, v6, 0x487ffff
	v_lshrrev_b32_e32 v6, 20, v6
	s_or_saveexec_b32 s8, s8
                                        ; implicit-def: $sgpr10
	s_delay_alu instid0(SALU_CYCLE_1)
	s_xor_b32 exec_lo, exec_lo, s8
	s_cbranch_execz .LBB1_84
.LBB1_179:                              ;   in Loop: Header=BB1_81 Depth=1
	v_add_f32_e64 v6, 0x46000000, |v11|
	s_and_not1_b32 s7, s7, exec_lo
	s_mov_b32 s10, 0
	s_delay_alu instid0(VALU_DEP_1) | instskip(NEXT) | instid1(VALU_DEP_1)
	v_and_b32_e32 v6, 0xff, v6
	v_cmp_ne_u32_e32 vcc_lo, 0, v6
	s_and_b32 s11, vcc_lo, exec_lo
	s_delay_alu instid0(SALU_CYCLE_1)
	s_or_b32 s7, s7, s11
	s_or_b32 exec_lo, exec_lo, s8
	v_mov_b32_e32 v10, s10
	s_and_saveexec_b32 s8, s7
	s_cbranch_execnz .LBB1_85
	s_branch .LBB1_86
.LBB1_180:                              ;   in Loop: Header=BB1_81 Depth=1
	v_bfe_u32 v2, v3, 20, 1
	s_mov_b32 s7, exec_lo
	s_delay_alu instid0(VALU_DEP_1) | instskip(NEXT) | instid1(VALU_DEP_1)
	v_add3_u32 v2, v3, v2, 0x487ffff
	v_lshrrev_b32_e32 v6, 20, v2
	s_or_saveexec_b32 s8, s8
                                        ; implicit-def: $sgpr10
	s_delay_alu instid0(SALU_CYCLE_1)
	s_xor_b32 exec_lo, exec_lo, s8
	s_cbranch_execz .LBB1_90
.LBB1_181:                              ;   in Loop: Header=BB1_81 Depth=1
	v_add_f32_e64 v2, 0x46000000, |v3|
	s_and_not1_b32 s7, s7, exec_lo
	s_mov_b32 s10, 0
	s_delay_alu instid0(VALU_DEP_1) | instskip(NEXT) | instid1(VALU_DEP_1)
	v_and_b32_e32 v6, 0xff, v2
	v_cmp_ne_u32_e32 vcc_lo, 0, v6
	s_and_b32 s11, vcc_lo, exec_lo
	s_delay_alu instid0(SALU_CYCLE_1)
	s_or_b32 s7, s7, s11
	s_or_b32 exec_lo, exec_lo, s8
	v_mov_b32_e32 v2, s10
	s_and_saveexec_b32 s8, s7
	s_cbranch_execnz .LBB1_91
	s_branch .LBB1_92
.LBB1_182:                              ;   in Loop: Header=BB1_81 Depth=1
	v_bfe_u32 v4, v6, 20, 1
	s_mov_b32 s7, exec_lo
	s_delay_alu instid0(VALU_DEP_1) | instskip(NEXT) | instid1(VALU_DEP_1)
	v_add3_u32 v4, v6, v4, 0x487ffff
	v_lshrrev_b32_e32 v7, 20, v4
	s_or_saveexec_b32 s8, s8
                                        ; implicit-def: $sgpr10
	s_delay_alu instid0(SALU_CYCLE_1)
	s_xor_b32 exec_lo, exec_lo, s8
	s_cbranch_execz .LBB1_96
.LBB1_183:                              ;   in Loop: Header=BB1_81 Depth=1
	v_add_f32_e64 v4, 0x46000000, |v6|
	s_and_not1_b32 s7, s7, exec_lo
	s_mov_b32 s10, 0
	s_delay_alu instid0(VALU_DEP_1) | instskip(NEXT) | instid1(VALU_DEP_1)
	v_and_b32_e32 v7, 0xff, v4
	v_cmp_ne_u32_e32 vcc_lo, 0, v7
	s_and_b32 s11, vcc_lo, exec_lo
	s_delay_alu instid0(SALU_CYCLE_1)
	s_or_b32 s7, s7, s11
	s_or_b32 exec_lo, exec_lo, s8
	v_mov_b32_e32 v4, s10
	s_and_saveexec_b32 s8, s7
	s_cbranch_execnz .LBB1_97
	s_branch .LBB1_98
.LBB1_184:                              ;   in Loop: Header=BB1_81 Depth=1
	v_bfe_u32 v3, v5, 20, 1
	s_mov_b32 s7, exec_lo
	s_delay_alu instid0(VALU_DEP_1) | instskip(NEXT) | instid1(VALU_DEP_1)
	v_add3_u32 v3, v5, v3, 0x487ffff
	v_lshrrev_b32_e32 v6, 20, v3
	s_or_saveexec_b32 s8, s8
                                        ; implicit-def: $sgpr10
	s_delay_alu instid0(SALU_CYCLE_1)
	s_xor_b32 exec_lo, exec_lo, s8
	s_cbranch_execz .LBB1_102
.LBB1_185:                              ;   in Loop: Header=BB1_81 Depth=1
	v_add_f32_e64 v3, 0x46000000, |v5|
	s_and_not1_b32 s7, s7, exec_lo
	s_mov_b32 s10, 0
	s_delay_alu instid0(VALU_DEP_1) | instskip(NEXT) | instid1(VALU_DEP_1)
	v_and_b32_e32 v6, 0xff, v3
	v_cmp_ne_u32_e32 vcc_lo, 0, v6
	s_and_b32 s11, vcc_lo, exec_lo
	s_delay_alu instid0(SALU_CYCLE_1)
	s_or_b32 s7, s7, s11
	s_or_b32 exec_lo, exec_lo, s8
	v_mov_b32_e32 v3, s10
	s_and_saveexec_b32 s8, s7
	s_cbranch_execnz .LBB1_103
	s_branch .LBB1_104
.LBB1_186:                              ;   in Loop: Header=BB1_81 Depth=1
	v_bfe_u32 v6, v15, 20, 1
	s_mov_b32 s8, exec_lo
	s_delay_alu instid0(VALU_DEP_1) | instskip(NEXT) | instid1(VALU_DEP_1)
	v_add3_u32 v6, v15, v6, 0x487ffff
	v_lshrrev_b32_e32 v6, 20, v6
	s_or_saveexec_b32 s10, s10
                                        ; implicit-def: $sgpr11
	s_delay_alu instid0(SALU_CYCLE_1)
	s_xor_b32 exec_lo, exec_lo, s10
	s_cbranch_execz .LBB1_109
.LBB1_187:                              ;   in Loop: Header=BB1_81 Depth=1
	v_add_f32_e64 v6, 0x46000000, |v15|
	s_and_not1_b32 s8, s8, exec_lo
	s_mov_b32 s11, 0
	s_delay_alu instid0(VALU_DEP_1) | instskip(NEXT) | instid1(VALU_DEP_1)
	v_and_b32_e32 v6, 0xff, v6
	v_cmp_ne_u32_e32 vcc_lo, 0, v6
	s_and_b32 s12, vcc_lo, exec_lo
	s_delay_alu instid0(SALU_CYCLE_1)
	s_or_b32 s8, s8, s12
	s_or_b32 exec_lo, exec_lo, s10
	v_mov_b32_e32 v12, s11
	s_and_saveexec_b32 s10, s8
	s_cbranch_execnz .LBB1_110
	s_branch .LBB1_111
.LBB1_188:                              ;   in Loop: Header=BB1_81 Depth=1
	v_bfe_u32 v2, v3, 20, 1
	s_mov_b32 s8, exec_lo
	s_delay_alu instid0(VALU_DEP_1) | instskip(NEXT) | instid1(VALU_DEP_1)
	v_add3_u32 v2, v3, v2, 0x487ffff
	v_lshrrev_b32_e32 v6, 20, v2
	s_or_saveexec_b32 s10, s10
                                        ; implicit-def: $sgpr11
	s_delay_alu instid0(SALU_CYCLE_1)
	s_xor_b32 exec_lo, exec_lo, s10
	s_cbranch_execz .LBB1_115
.LBB1_189:                              ;   in Loop: Header=BB1_81 Depth=1
	v_add_f32_e64 v2, 0x46000000, |v3|
	s_and_not1_b32 s8, s8, exec_lo
	s_mov_b32 s11, 0
	s_delay_alu instid0(VALU_DEP_1) | instskip(NEXT) | instid1(VALU_DEP_1)
	v_and_b32_e32 v6, 0xff, v2
	v_cmp_ne_u32_e32 vcc_lo, 0, v6
	s_and_b32 s12, vcc_lo, exec_lo
	s_delay_alu instid0(SALU_CYCLE_1)
	s_or_b32 s8, s8, s12
	s_or_b32 exec_lo, exec_lo, s10
	v_mov_b32_e32 v2, s11
	s_and_saveexec_b32 s10, s8
	s_cbranch_execnz .LBB1_116
	s_branch .LBB1_117
.LBB1_190:                              ;   in Loop: Header=BB1_81 Depth=1
	v_bfe_u32 v4, v6, 20, 1
	s_mov_b32 s8, exec_lo
	s_delay_alu instid0(VALU_DEP_1) | instskip(NEXT) | instid1(VALU_DEP_1)
	v_add3_u32 v4, v6, v4, 0x487ffff
	v_lshrrev_b32_e32 v7, 20, v4
	s_or_saveexec_b32 s10, s10
                                        ; implicit-def: $sgpr11
	s_delay_alu instid0(SALU_CYCLE_1)
	s_xor_b32 exec_lo, exec_lo, s10
	s_cbranch_execz .LBB1_121
.LBB1_191:                              ;   in Loop: Header=BB1_81 Depth=1
	v_add_f32_e64 v4, 0x46000000, |v6|
	s_and_not1_b32 s8, s8, exec_lo
	s_mov_b32 s11, 0
	s_delay_alu instid0(VALU_DEP_1) | instskip(NEXT) | instid1(VALU_DEP_1)
	v_and_b32_e32 v7, 0xff, v4
	v_cmp_ne_u32_e32 vcc_lo, 0, v7
	s_and_b32 s12, vcc_lo, exec_lo
	s_delay_alu instid0(SALU_CYCLE_1)
	s_or_b32 s8, s8, s12
	s_or_b32 exec_lo, exec_lo, s10
	v_mov_b32_e32 v4, s11
	s_and_saveexec_b32 s10, s8
	s_cbranch_execnz .LBB1_122
	s_branch .LBB1_123
.LBB1_192:                              ;   in Loop: Header=BB1_81 Depth=1
	v_bfe_u32 v3, v5, 20, 1
	s_mov_b32 s8, exec_lo
	s_delay_alu instid0(VALU_DEP_1) | instskip(NEXT) | instid1(VALU_DEP_1)
	v_add3_u32 v3, v5, v3, 0x487ffff
	v_lshrrev_b32_e32 v6, 20, v3
	s_or_saveexec_b32 s10, s10
                                        ; implicit-def: $sgpr11
	s_delay_alu instid0(SALU_CYCLE_1)
	s_xor_b32 exec_lo, exec_lo, s10
	s_cbranch_execz .LBB1_127
.LBB1_193:                              ;   in Loop: Header=BB1_81 Depth=1
	v_add_f32_e64 v3, 0x46000000, |v5|
	s_and_not1_b32 s8, s8, exec_lo
	s_mov_b32 s11, 0
	s_delay_alu instid0(VALU_DEP_1) | instskip(NEXT) | instid1(VALU_DEP_1)
	v_and_b32_e32 v6, 0xff, v3
	v_cmp_ne_u32_e32 vcc_lo, 0, v6
	s_and_b32 s12, vcc_lo, exec_lo
	s_delay_alu instid0(SALU_CYCLE_1)
	s_or_b32 s8, s8, s12
	s_or_b32 exec_lo, exec_lo, s10
	v_mov_b32_e32 v3, s11
	s_and_saveexec_b32 s10, s8
	s_cbranch_execnz .LBB1_128
	s_branch .LBB1_129
.LBB1_194:                              ;   in Loop: Header=BB1_81 Depth=1
	v_bfe_u32 v6, v16, 20, 1
	s_mov_b32 s10, exec_lo
	s_delay_alu instid0(VALU_DEP_1) | instskip(NEXT) | instid1(VALU_DEP_1)
	v_add3_u32 v6, v16, v6, 0x487ffff
	v_lshrrev_b32_e32 v6, 20, v6
	s_or_saveexec_b32 s11, s11
                                        ; implicit-def: $sgpr12
	s_delay_alu instid0(SALU_CYCLE_1)
	s_xor_b32 exec_lo, exec_lo, s11
	s_cbranch_execz .LBB1_134
.LBB1_195:                              ;   in Loop: Header=BB1_81 Depth=1
	v_add_f32_e64 v6, 0x46000000, |v16|
	s_and_not1_b32 s10, s10, exec_lo
	s_mov_b32 s12, 0
	s_delay_alu instid0(VALU_DEP_1) | instskip(NEXT) | instid1(VALU_DEP_1)
	v_and_b32_e32 v6, 0xff, v6
	v_cmp_ne_u32_e32 vcc_lo, 0, v6
	s_and_b32 s13, vcc_lo, exec_lo
	s_delay_alu instid0(SALU_CYCLE_1)
	s_or_b32 s10, s10, s13
	s_or_b32 exec_lo, exec_lo, s11
	v_mov_b32_e32 v15, s12
	s_and_saveexec_b32 s11, s10
	s_cbranch_execnz .LBB1_135
	s_branch .LBB1_136
.LBB1_196:                              ;   in Loop: Header=BB1_81 Depth=1
	v_bfe_u32 v2, v3, 20, 1
	s_mov_b32 s10, exec_lo
	s_delay_alu instid0(VALU_DEP_1) | instskip(NEXT) | instid1(VALU_DEP_1)
	v_add3_u32 v2, v3, v2, 0x487ffff
	v_lshrrev_b32_e32 v6, 20, v2
	s_or_saveexec_b32 s11, s11
                                        ; implicit-def: $sgpr12
	s_delay_alu instid0(SALU_CYCLE_1)
	s_xor_b32 exec_lo, exec_lo, s11
	s_cbranch_execz .LBB1_140
.LBB1_197:                              ;   in Loop: Header=BB1_81 Depth=1
	v_add_f32_e64 v2, 0x46000000, |v3|
	s_and_not1_b32 s10, s10, exec_lo
	s_mov_b32 s12, 0
	s_delay_alu instid0(VALU_DEP_1) | instskip(NEXT) | instid1(VALU_DEP_1)
	v_and_b32_e32 v6, 0xff, v2
	v_cmp_ne_u32_e32 vcc_lo, 0, v6
	s_and_b32 s13, vcc_lo, exec_lo
	s_delay_alu instid0(SALU_CYCLE_1)
	s_or_b32 s10, s10, s13
	s_or_b32 exec_lo, exec_lo, s11
	v_mov_b32_e32 v2, s12
	s_and_saveexec_b32 s11, s10
	s_cbranch_execnz .LBB1_141
	s_branch .LBB1_142
.LBB1_198:                              ;   in Loop: Header=BB1_81 Depth=1
	v_bfe_u32 v4, v6, 20, 1
	s_mov_b32 s10, exec_lo
	s_delay_alu instid0(VALU_DEP_1) | instskip(NEXT) | instid1(VALU_DEP_1)
	v_add3_u32 v4, v6, v4, 0x487ffff
	v_lshrrev_b32_e32 v7, 20, v4
	s_or_saveexec_b32 s11, s11
                                        ; implicit-def: $sgpr12
	s_delay_alu instid0(SALU_CYCLE_1)
	s_xor_b32 exec_lo, exec_lo, s11
	s_cbranch_execz .LBB1_146
.LBB1_199:                              ;   in Loop: Header=BB1_81 Depth=1
	v_add_f32_e64 v4, 0x46000000, |v6|
	s_and_not1_b32 s10, s10, exec_lo
	s_mov_b32 s12, 0
	s_delay_alu instid0(VALU_DEP_1) | instskip(NEXT) | instid1(VALU_DEP_1)
	v_and_b32_e32 v7, 0xff, v4
	v_cmp_ne_u32_e32 vcc_lo, 0, v7
	s_and_b32 s13, vcc_lo, exec_lo
	s_delay_alu instid0(SALU_CYCLE_1)
	s_or_b32 s10, s10, s13
	s_or_b32 exec_lo, exec_lo, s11
	v_mov_b32_e32 v4, s12
	s_and_saveexec_b32 s11, s10
	s_cbranch_execnz .LBB1_147
	s_branch .LBB1_148
.LBB1_200:                              ;   in Loop: Header=BB1_81 Depth=1
	v_bfe_u32 v3, v5, 20, 1
	s_mov_b32 s10, exec_lo
	s_delay_alu instid0(VALU_DEP_1) | instskip(NEXT) | instid1(VALU_DEP_1)
	v_add3_u32 v3, v5, v3, 0x487ffff
	v_lshrrev_b32_e32 v6, 20, v3
	s_or_saveexec_b32 s11, s11
                                        ; implicit-def: $sgpr12
	s_delay_alu instid0(SALU_CYCLE_1)
	s_xor_b32 exec_lo, exec_lo, s11
	s_cbranch_execz .LBB1_152
.LBB1_201:                              ;   in Loop: Header=BB1_81 Depth=1
	v_add_f32_e64 v3, 0x46000000, |v5|
	s_and_not1_b32 s10, s10, exec_lo
	s_mov_b32 s12, 0
	s_delay_alu instid0(VALU_DEP_1) | instskip(NEXT) | instid1(VALU_DEP_1)
	v_and_b32_e32 v6, 0xff, v3
	v_cmp_ne_u32_e32 vcc_lo, 0, v6
	s_and_b32 s13, vcc_lo, exec_lo
	s_delay_alu instid0(SALU_CYCLE_1)
	s_or_b32 s10, s10, s13
	s_or_b32 exec_lo, exec_lo, s11
	v_mov_b32_e32 v3, s12
	s_and_saveexec_b32 s11, s10
	s_cbranch_execnz .LBB1_153
	s_branch .LBB1_154
.LBB1_202:                              ;   in Loop: Header=BB1_81 Depth=1
	v_bfe_u32 v2, v12, 20, 1
	s_mov_b32 s11, exec_lo
	s_delay_alu instid0(VALU_DEP_1) | instskip(NEXT) | instid1(VALU_DEP_1)
	v_add3_u32 v2, v12, v2, 0x487ffff
	v_lshrrev_b32_e32 v6, 20, v2
	s_or_saveexec_b32 s12, s12
                                        ; implicit-def: $sgpr13
	s_delay_alu instid0(SALU_CYCLE_1)
	s_xor_b32 exec_lo, exec_lo, s12
	s_cbranch_execz .LBB1_159
.LBB1_203:                              ;   in Loop: Header=BB1_81 Depth=1
	v_add_f32_e64 v2, 0x46000000, |v12|
	s_and_not1_b32 s11, s11, exec_lo
	s_mov_b32 s13, 0
	s_delay_alu instid0(VALU_DEP_1) | instskip(NEXT) | instid1(VALU_DEP_1)
	v_and_b32_e32 v6, 0xff, v2
	v_cmp_ne_u32_e32 vcc_lo, 0, v6
	s_and_b32 s14, vcc_lo, exec_lo
	s_delay_alu instid0(SALU_CYCLE_1)
	s_or_b32 s11, s11, s14
	s_or_b32 exec_lo, exec_lo, s12
	v_mov_b32_e32 v2, s13
	s_and_saveexec_b32 s12, s11
	s_cbranch_execnz .LBB1_160
	s_branch .LBB1_161
.LBB1_204:                              ;   in Loop: Header=BB1_81 Depth=1
	v_bfe_u32 v6, v3, 20, 1
	s_mov_b32 s11, exec_lo
	s_delay_alu instid0(VALU_DEP_1) | instskip(NEXT) | instid1(VALU_DEP_1)
	v_add3_u32 v6, v3, v6, 0x487ffff
	v_lshrrev_b32_e32 v6, 20, v6
	s_or_saveexec_b32 s12, s12
                                        ; implicit-def: $sgpr13
	s_delay_alu instid0(SALU_CYCLE_1)
	s_xor_b32 exec_lo, exec_lo, s12
	s_cbranch_execz .LBB1_165
.LBB1_205:                              ;   in Loop: Header=BB1_81 Depth=1
	v_add_f32_e64 v6, 0x46000000, |v3|
	s_and_not1_b32 s11, s11, exec_lo
	s_mov_b32 s13, 0
	s_delay_alu instid0(VALU_DEP_1) | instskip(NEXT) | instid1(VALU_DEP_1)
	v_and_b32_e32 v6, 0xff, v6
	v_cmp_ne_u32_e32 vcc_lo, 0, v6
	s_and_b32 s14, vcc_lo, exec_lo
	s_delay_alu instid0(SALU_CYCLE_1)
	s_or_b32 s11, s11, s14
	s_or_b32 exec_lo, exec_lo, s12
	v_mov_b32_e32 v11, s13
	s_and_saveexec_b32 s12, s11
	s_cbranch_execnz .LBB1_166
	s_branch .LBB1_167
.LBB1_206:                              ;   in Loop: Header=BB1_81 Depth=1
	v_bfe_u32 v4, v6, 20, 1
	s_mov_b32 s11, exec_lo
	s_delay_alu instid0(VALU_DEP_1) | instskip(NEXT) | instid1(VALU_DEP_1)
	v_add3_u32 v4, v6, v4, 0x487ffff
	v_lshrrev_b32_e32 v7, 20, v4
	s_or_saveexec_b32 s12, s12
                                        ; implicit-def: $sgpr13
	s_delay_alu instid0(SALU_CYCLE_1)
	s_xor_b32 exec_lo, exec_lo, s12
	s_cbranch_execz .LBB1_171
.LBB1_207:                              ;   in Loop: Header=BB1_81 Depth=1
	v_add_f32_e64 v4, 0x46000000, |v6|
	s_and_not1_b32 s11, s11, exec_lo
	s_mov_b32 s13, 0
	s_delay_alu instid0(VALU_DEP_1) | instskip(NEXT) | instid1(VALU_DEP_1)
	v_and_b32_e32 v7, 0xff, v4
	v_cmp_ne_u32_e32 vcc_lo, 0, v7
	s_and_b32 s14, vcc_lo, exec_lo
	s_delay_alu instid0(SALU_CYCLE_1)
	s_or_b32 s11, s11, s14
	s_or_b32 exec_lo, exec_lo, s12
	v_mov_b32_e32 v4, s13
	s_and_saveexec_b32 s12, s11
	s_cbranch_execnz .LBB1_172
	s_branch .LBB1_173
.LBB1_208:                              ;   in Loop: Header=BB1_81 Depth=1
	v_bfe_u32 v3, v5, 20, 1
	s_mov_b32 s11, exec_lo
	s_delay_alu instid0(VALU_DEP_1) | instskip(NEXT) | instid1(VALU_DEP_1)
	v_add3_u32 v3, v5, v3, 0x487ffff
	v_lshrrev_b32_e32 v6, 20, v3
	s_or_saveexec_b32 s12, s12
                                        ; implicit-def: $sgpr13
	s_delay_alu instid0(SALU_CYCLE_1)
	s_xor_b32 exec_lo, exec_lo, s12
	s_cbranch_execz .LBB1_177
.LBB1_209:                              ;   in Loop: Header=BB1_81 Depth=1
	v_add_f32_e64 v3, 0x46000000, |v5|
	s_and_not1_b32 s11, s11, exec_lo
	s_mov_b32 s13, 0
	s_delay_alu instid0(VALU_DEP_1) | instskip(NEXT) | instid1(VALU_DEP_1)
	v_and_b32_e32 v6, 0xff, v3
	v_cmp_ne_u32_e32 vcc_lo, 0, v6
	s_and_b32 s14, vcc_lo, exec_lo
	s_delay_alu instid0(SALU_CYCLE_1)
	s_or_b32 s11, s11, s14
	s_or_b32 exec_lo, exec_lo, s12
	v_mov_b32_e32 v3, s13
	s_and_saveexec_b32 s12, s11
	s_cbranch_execz .LBB1_76
.LBB1_210:                              ;   in Loop: Header=BB1_81 Depth=1
	v_lshrrev_b32_e32 v3, 24, v5
	s_delay_alu instid0(VALU_DEP_1)
	v_and_or_b32 v3, 0x80, v3, v6
	s_branch .LBB1_76
.LBB1_211:
	s_nop 0
	s_sendmsg sendmsg(MSG_DEALLOC_VGPRS)
	s_endpgm
	.section	.rodata,"a",@progbits
	.p2align	6, 0x0
	.amdhsa_kernel _ZN4vllm39rms_norm_dynamic_per_token_quant_kernelIfN3c1015Float8_e4m3fnuzELb1EEEvPT0_PfPKT_S8_PKffiiPS6_
		.amdhsa_group_segment_fixed_size 528
		.amdhsa_private_segment_fixed_size 0
		.amdhsa_kernarg_size 320
		.amdhsa_user_sgpr_count 15
		.amdhsa_user_sgpr_dispatch_ptr 0
		.amdhsa_user_sgpr_queue_ptr 0
		.amdhsa_user_sgpr_kernarg_segment_ptr 1
		.amdhsa_user_sgpr_dispatch_id 0
		.amdhsa_user_sgpr_private_segment_size 0
		.amdhsa_wavefront_size32 1
		.amdhsa_uses_dynamic_stack 0
		.amdhsa_enable_private_segment 0
		.amdhsa_system_sgpr_workgroup_id_x 1
		.amdhsa_system_sgpr_workgroup_id_y 0
		.amdhsa_system_sgpr_workgroup_id_z 0
		.amdhsa_system_sgpr_workgroup_info 0
		.amdhsa_system_vgpr_workitem_id 0
		.amdhsa_next_free_vgpr 31
		.amdhsa_next_free_sgpr 38
		.amdhsa_reserve_vcc 1
		.amdhsa_float_round_mode_32 0
		.amdhsa_float_round_mode_16_64 0
		.amdhsa_float_denorm_mode_32 3
		.amdhsa_float_denorm_mode_16_64 3
		.amdhsa_dx10_clamp 1
		.amdhsa_ieee_mode 1
		.amdhsa_fp16_overflow 0
		.amdhsa_workgroup_processor_mode 1
		.amdhsa_memory_ordered 1
		.amdhsa_forward_progress 0
		.amdhsa_shared_vgpr_count 0
		.amdhsa_exception_fp_ieee_invalid_op 0
		.amdhsa_exception_fp_denorm_src 0
		.amdhsa_exception_fp_ieee_div_zero 0
		.amdhsa_exception_fp_ieee_overflow 0
		.amdhsa_exception_fp_ieee_underflow 0
		.amdhsa_exception_fp_ieee_inexact 0
		.amdhsa_exception_int_div_zero 0
	.end_amdhsa_kernel
	.section	.text._ZN4vllm39rms_norm_dynamic_per_token_quant_kernelIfN3c1015Float8_e4m3fnuzELb1EEEvPT0_PfPKT_S8_PKffiiPS6_,"axG",@progbits,_ZN4vllm39rms_norm_dynamic_per_token_quant_kernelIfN3c1015Float8_e4m3fnuzELb1EEEvPT0_PfPKT_S8_PKffiiPS6_,comdat
.Lfunc_end1:
	.size	_ZN4vllm39rms_norm_dynamic_per_token_quant_kernelIfN3c1015Float8_e4m3fnuzELb1EEEvPT0_PfPKT_S8_PKffiiPS6_, .Lfunc_end1-_ZN4vllm39rms_norm_dynamic_per_token_quant_kernelIfN3c1015Float8_e4m3fnuzELb1EEEvPT0_PfPKT_S8_PKffiiPS6_
                                        ; -- End function
	.section	.AMDGPU.csdata,"",@progbits
; Kernel info:
; codeLenInByte = 12820
; NumSgprs: 40
; NumVgprs: 31
; ScratchSize: 0
; MemoryBound: 0
; FloatMode: 240
; IeeeMode: 1
; LDSByteSize: 528 bytes/workgroup (compile time only)
; SGPRBlocks: 4
; VGPRBlocks: 3
; NumSGPRsForWavesPerEU: 40
; NumVGPRsForWavesPerEU: 31
; Occupancy: 16
; WaveLimiterHint : 0
; COMPUTE_PGM_RSRC2:SCRATCH_EN: 0
; COMPUTE_PGM_RSRC2:USER_SGPR: 15
; COMPUTE_PGM_RSRC2:TRAP_HANDLER: 0
; COMPUTE_PGM_RSRC2:TGID_X_EN: 1
; COMPUTE_PGM_RSRC2:TGID_Y_EN: 0
; COMPUTE_PGM_RSRC2:TGID_Z_EN: 0
; COMPUTE_PGM_RSRC2:TIDIG_COMP_CNT: 0
	.section	.text._ZN4vllm39rms_norm_dynamic_per_token_quant_kernelIfaLb1EEEvPT0_PfPKT_S6_PKffiiPS4_,"axG",@progbits,_ZN4vllm39rms_norm_dynamic_per_token_quant_kernelIfaLb1EEEvPT0_PfPKT_S6_PKffiiPS4_,comdat
	.protected	_ZN4vllm39rms_norm_dynamic_per_token_quant_kernelIfaLb1EEEvPT0_PfPKT_S6_PKffiiPS4_ ; -- Begin function _ZN4vllm39rms_norm_dynamic_per_token_quant_kernelIfaLb1EEEvPT0_PfPKT_S6_PKffiiPS4_
	.globl	_ZN4vllm39rms_norm_dynamic_per_token_quant_kernelIfaLb1EEEvPT0_PfPKT_S6_PKffiiPS4_
	.p2align	8
	.type	_ZN4vllm39rms_norm_dynamic_per_token_quant_kernelIfaLb1EEEvPT0_PfPKT_S6_PKffiiPS4_,@function
_ZN4vllm39rms_norm_dynamic_per_token_quant_kernelIfaLb1EEEvPT0_PfPKT_S6_PKffiiPS4_: ; @_ZN4vllm39rms_norm_dynamic_per_token_quant_kernelIfaLb1EEEvPT0_PfPKT_S6_PKffiiPS4_
; %bb.0:
	s_mov_b32 s24, s15
	s_clause 0x3
	s_load_b128 s[20:23], s[0:1], 0x28
	s_load_b64 s[26:27], s[0:1], 0x20
	s_load_b256 s[12:19], s[0:1], 0x0
	s_load_b64 s[28:29], s[0:1], 0x38
	s_waitcnt lgkmcnt(0)
	s_or_b32 s2, s22, s21
	s_delay_alu instid0(SALU_CYCLE_1) | instskip(NEXT) | instid1(SALU_CYCLE_1)
	s_and_b32 s2, s2, 3
	s_cmp_lg_u32 s2, 0
	s_cbranch_scc0 .LBB2_31
; %bb.1:
	v_cmp_gt_u32_e64 s2, s21, v0
	v_cmp_le_u32_e64 s3, s21, v0
                                        ; implicit-def: $sgpr7
                                        ; implicit-def: $sgpr4_sgpr5
	s_delay_alu instid0(VALU_DEP_1) | instskip(NEXT) | instid1(SALU_CYCLE_1)
	s_and_saveexec_b32 s6, s3
	s_xor_b32 s6, exec_lo, s6
; %bb.2:
	s_add_u32 s4, s0, 64
	s_addc_u32 s5, s1, 0
	s_mov_b32 s7, 0
; %bb.3:
	s_or_saveexec_b32 s6, s6
	v_dual_mov_b32 v1, s4 :: v_dual_mov_b32 v4, s24
	v_dual_mov_b32 v3, s7 :: v_dual_mov_b32 v2, s5
	s_xor_b32 exec_lo, exec_lo, s6
	s_cbranch_execz .LBB2_7
; %bb.4:
	s_load_b32 s23, s[0:1], 0x4c
	s_ashr_i32 s5, s22, 31
	s_ashr_i32 s4, s21, 31
	s_mul_hi_u32 s8, s22, s24
	s_mul_i32 s5, s5, s24
	s_mul_i32 s9, s4, s24
	s_add_i32 s5, s8, s5
	s_mul_i32 s4, s22, s24
	s_mul_hi_u32 s7, s21, s24
	s_lshl_b64 s[4:5], s[4:5], 2
	s_add_i32 s11, s7, s9
	s_mul_i32 s10, s21, s24
	s_add_u32 s7, s16, s4
	s_addc_u32 s8, s17, s5
	s_lshl_b64 s[4:5], s[10:11], 2
	v_dual_mov_b32 v2, 0 :: v_dual_mov_b32 v3, 0
	s_add_u32 s9, s28, s4
	v_mov_b32_e32 v1, v0
	s_addc_u32 s10, s29, s5
	s_add_u32 s4, s0, 64
	s_addc_u32 s5, s1, 0
	s_waitcnt lgkmcnt(0)
	s_and_b32 s23, s23, 0xffff
	s_mov_b32 s11, 0
	.p2align	6
.LBB2_5:                                ; =>This Inner Loop Header: Depth=1
	v_lshlrev_b64 v[4:5], 2, v[1:2]
	s_delay_alu instid0(VALU_DEP_1) | instskip(NEXT) | instid1(VALU_DEP_2)
	v_add_co_u32 v6, vcc_lo, s7, v4
	v_add_co_ci_u32_e32 v7, vcc_lo, s8, v5, vcc_lo
	v_add_co_u32 v4, vcc_lo, s9, v4
	v_add_co_ci_u32_e32 v5, vcc_lo, s10, v5, vcc_lo
	global_load_b32 v6, v[6:7], off
	global_load_b32 v4, v[4:5], off
	s_waitcnt vmcnt(0)
	v_dual_add_f32 v4, v6, v4 :: v_dual_add_nc_u32 v1, s23, v1
	s_delay_alu instid0(VALU_DEP_1) | instskip(NEXT) | instid1(VALU_DEP_2)
	v_cmp_le_u32_e32 vcc_lo, s21, v1
	v_fmac_f32_e32 v3, v4, v4
	s_or_b32 s11, vcc_lo, s11
	s_delay_alu instid0(SALU_CYCLE_1)
	s_and_not1_b32 exec_lo, exec_lo, s11
	s_cbranch_execnz .LBB2_5
; %bb.6:
	s_or_b32 exec_lo, exec_lo, s11
	v_dual_mov_b32 v1, s4 :: v_dual_mov_b32 v2, s5
	v_mov_b32_e32 v4, s24
.LBB2_7:
	s_or_b32 exec_lo, exec_lo, s6
	global_load_b32 v5, v[1:2], off
	v_and_b32_e32 v14, 0x3e0, v0
	s_waitcnt vmcnt(0)
	v_cmp_lt_u32_e32 vcc_lo, v4, v5
	v_cndmask_b32_e64 v4, 18, 12, vcc_lo
	s_delay_alu instid0(VALU_DEP_1) | instskip(SKIP_3) | instid1(VALU_DEP_1)
	v_add_co_u32 v1, vcc_lo, v1, v4
	v_add_co_ci_u32_e32 v2, vcc_lo, 0, v2, vcc_lo
	global_load_u16 v1, v[1:2], off
	v_mbcnt_lo_u32_b32 v2, -1, 0
	v_cmp_ne_u32_e32 vcc_lo, 31, v2
	v_add_nc_u32_e32 v5, 1, v2
	v_cmp_eq_u32_e64 s5, 0, v2
	v_add_co_ci_u32_e32 v4, vcc_lo, 0, v2, vcc_lo
	v_cmp_gt_u32_e32 vcc_lo, 30, v2
	s_delay_alu instid0(VALU_DEP_2) | instskip(SKIP_4) | instid1(VALU_DEP_1)
	v_lshlrev_b32_e32 v4, 2, v4
	v_cndmask_b32_e64 v7, 0, 1, vcc_lo
	ds_bpermute_b32 v6, v4, v3
	s_waitcnt lgkmcnt(0)
	v_dual_add_f32 v8, v3, v6 :: v_dual_lshlrev_b32 v7, 1, v7
	v_add_lshl_u32 v6, v7, v2, 2
	s_waitcnt vmcnt(0)
	v_sub_nc_u32_e64 v15, v1, v14 clamp
	s_delay_alu instid0(VALU_DEP_1) | instskip(SKIP_3) | instid1(VALU_DEP_1)
	v_cmp_lt_u32_e32 vcc_lo, v5, v15
	v_cndmask_b32_e32 v3, v3, v8, vcc_lo
	v_cmp_gt_u32_e32 vcc_lo, 28, v2
	v_cndmask_b32_e64 v8, 0, 1, vcc_lo
	v_lshlrev_b32_e32 v9, 2, v8
	v_add_nc_u32_e32 v8, 2, v2
	ds_bpermute_b32 v7, v6, v3
	v_cmp_lt_u32_e32 vcc_lo, v8, v15
	s_waitcnt lgkmcnt(0)
	v_add_f32_e32 v10, v3, v7
	v_add_lshl_u32 v7, v9, v2, 2
	s_delay_alu instid0(VALU_DEP_2) | instskip(SKIP_4) | instid1(VALU_DEP_1)
	v_cndmask_b32_e32 v3, v3, v10, vcc_lo
	v_cmp_gt_u32_e32 vcc_lo, 24, v2
	ds_bpermute_b32 v9, v7, v3
	v_cndmask_b32_e64 v10, 0, 1, vcc_lo
	s_waitcnt lgkmcnt(0)
	v_dual_add_f32 v12, v3, v9 :: v_dual_lshlrev_b32 v11, 3, v10
	v_add_nc_u32_e32 v10, 4, v2
	s_delay_alu instid0(VALU_DEP_2) | instskip(NEXT) | instid1(VALU_DEP_2)
	v_add_lshl_u32 v9, v11, v2, 2
	v_cmp_lt_u32_e32 vcc_lo, v10, v15
	s_delay_alu instid0(VALU_DEP_4) | instskip(SKIP_4) | instid1(VALU_DEP_1)
	v_cndmask_b32_e32 v3, v3, v12, vcc_lo
	v_cmp_gt_u32_e32 vcc_lo, 16, v2
	ds_bpermute_b32 v11, v9, v3
	v_cndmask_b32_e64 v12, 0, 1, vcc_lo
	s_waitcnt lgkmcnt(0)
	v_dual_add_f32 v16, v3, v11 :: v_dual_lshlrev_b32 v13, 4, v12
	v_add_nc_u32_e32 v12, 8, v2
	s_delay_alu instid0(VALU_DEP_2) | instskip(NEXT) | instid1(VALU_DEP_2)
	v_add_lshl_u32 v11, v13, v2, 2
	v_cmp_lt_u32_e32 vcc_lo, v12, v15
	s_delay_alu instid0(VALU_DEP_4) | instskip(SKIP_3) | instid1(VALU_DEP_1)
	v_cndmask_b32_e32 v3, v3, v16, vcc_lo
	ds_bpermute_b32 v16, v11, v3
	s_waitcnt lgkmcnt(0)
	v_dual_add_f32 v16, v3, v16 :: v_dual_add_nc_u32 v13, 16, v2
	v_cmp_lt_u32_e32 vcc_lo, v13, v15
	s_delay_alu instid0(VALU_DEP_2)
	v_cndmask_b32_e32 v3, v3, v16, vcc_lo
	s_and_saveexec_b32 s4, s5
	s_cbranch_execz .LBB2_9
; %bb.8:
	v_lshrrev_b32_e32 v15, 3, v0
	s_delay_alu instid0(VALU_DEP_1)
	v_and_b32_e32 v15, 0x7c, v15
	ds_store_b32 v15, v3 offset:256
.LBB2_9:
	s_or_b32 exec_lo, exec_lo, s4
	v_cmp_gt_u32_e64 s6, 32, v0
	v_lshlrev_b32_e32 v15, 2, v2
	s_waitcnt lgkmcnt(0)
	s_barrier
	buffer_gl0_inv
	s_and_saveexec_b32 s4, s6
	s_cbranch_execz .LBB2_11
; %bb.10:
	ds_load_b32 v2, v15 offset:256
	s_waitcnt lgkmcnt(0)
	ds_bpermute_b32 v3, v4, v2
	s_waitcnt lgkmcnt(0)
	v_add_f32_e32 v3, v2, v3
	v_add_nc_u32_e32 v1, 31, v1
	s_delay_alu instid0(VALU_DEP_1) | instskip(NEXT) | instid1(VALU_DEP_1)
	v_lshrrev_b32_e32 v1, 5, v1
	v_cmp_lt_u32_e32 vcc_lo, v5, v1
	s_delay_alu instid0(VALU_DEP_4) | instskip(SKIP_4) | instid1(VALU_DEP_1)
	v_cndmask_b32_e32 v2, v2, v3, vcc_lo
	v_cmp_lt_u32_e32 vcc_lo, v8, v1
	ds_bpermute_b32 v3, v6, v2
	s_waitcnt lgkmcnt(0)
	v_add_f32_e32 v3, v2, v3
	v_cndmask_b32_e32 v2, v2, v3, vcc_lo
	v_cmp_lt_u32_e32 vcc_lo, v10, v1
	ds_bpermute_b32 v3, v7, v2
	s_waitcnt lgkmcnt(0)
	v_add_f32_e32 v3, v2, v3
	s_delay_alu instid0(VALU_DEP_1) | instskip(SKIP_4) | instid1(VALU_DEP_1)
	v_cndmask_b32_e32 v2, v2, v3, vcc_lo
	v_cmp_lt_u32_e32 vcc_lo, v12, v1
	ds_bpermute_b32 v3, v9, v2
	s_waitcnt lgkmcnt(0)
	v_add_f32_e32 v3, v2, v3
	v_cndmask_b32_e32 v2, v2, v3, vcc_lo
	v_cmp_lt_u32_e32 vcc_lo, v13, v1
	ds_bpermute_b32 v3, v11, v2
	s_waitcnt lgkmcnt(0)
	v_add_f32_e32 v3, v2, v3
	s_delay_alu instid0(VALU_DEP_1)
	v_cndmask_b32_e32 v3, v2, v3, vcc_lo
.LBB2_11:
	s_or_b32 exec_lo, exec_lo, s4
	v_cmp_eq_u32_e64 s4, 0, v0
	s_mov_b32 s25, 0
	s_delay_alu instid0(VALU_DEP_1)
	s_and_saveexec_b32 s7, s4
	s_cbranch_execz .LBB2_13
; %bb.12:
	v_cvt_f32_i32_e32 v1, s21
	s_delay_alu instid0(VALU_DEP_1) | instskip(SKIP_1) | instid1(VALU_DEP_2)
	v_div_scale_f32 v2, null, v1, v1, v3
	v_div_scale_f32 v18, vcc_lo, v3, v1, v3
	v_rcp_f32_e32 v16, v2
	s_waitcnt_depctr 0xfff
	v_fma_f32 v17, -v2, v16, 1.0
	s_delay_alu instid0(VALU_DEP_1) | instskip(NEXT) | instid1(VALU_DEP_1)
	v_fmac_f32_e32 v16, v17, v16
	v_mul_f32_e32 v17, v18, v16
	s_delay_alu instid0(VALU_DEP_1) | instskip(NEXT) | instid1(VALU_DEP_1)
	v_fma_f32 v19, -v2, v17, v18
	v_fmac_f32_e32 v17, v19, v16
	s_delay_alu instid0(VALU_DEP_1) | instskip(NEXT) | instid1(VALU_DEP_1)
	v_fma_f32 v2, -v2, v17, v18
	v_div_fmas_f32 v2, v2, v16, v17
	s_delay_alu instid0(VALU_DEP_1) | instskip(NEXT) | instid1(VALU_DEP_1)
	v_div_fixup_f32 v1, v2, v1, v3
	v_add_f32_e32 v1, s20, v1
	s_delay_alu instid0(VALU_DEP_1) | instskip(SKIP_1) | instid1(VALU_DEP_2)
	v_mul_f32_e32 v2, 0x4b800000, v1
	v_cmp_gt_f32_e32 vcc_lo, 0x800000, v1
	v_cndmask_b32_e32 v1, v1, v2, vcc_lo
	s_delay_alu instid0(VALU_DEP_1) | instskip(SKIP_2) | instid1(VALU_DEP_1)
	v_rsq_f32_e32 v1, v1
	s_waitcnt_depctr 0xfff
	v_mul_f32_e32 v2, 0x45800000, v1
	v_dual_cndmask_b32 v1, v1, v2 :: v_dual_mov_b32 v2, 0
	ds_store_b32 v2, v1 offset:520
.LBB2_13:
	s_or_b32 exec_lo, exec_lo, s7
	v_mov_b32_e32 v1, 0
	s_waitcnt lgkmcnt(0)
	s_barrier
	buffer_gl0_inv
                                        ; implicit-def: $sgpr7
                                        ; implicit-def: $sgpr8_sgpr9
	ds_load_b32 v3, v1 offset:520
	s_waitcnt lgkmcnt(0)
	s_barrier
	buffer_gl0_inv
	s_and_saveexec_b32 s10, s3
	s_delay_alu instid0(SALU_CYCLE_1)
	s_xor_b32 s3, exec_lo, s10
; %bb.14:
	s_add_u32 s8, s0, 64
	s_addc_u32 s9, s1, 0
	s_mov_b32 s7, 0
; %bb.15:
	s_or_saveexec_b32 s3, s3
	v_dual_mov_b32 v16, s7 :: v_dual_mov_b32 v1, s8
	v_mov_b32_e32 v2, s9
	s_mul_hi_u32 s11, s21, s24
	s_mul_i32 s30, s21, s24
	s_mul_hi_u32 s23, s22, s24
	s_mul_i32 s34, s22, s24
	s_xor_b32 exec_lo, exec_lo, s3
	s_cbranch_execz .LBB2_19
; %bb.16:
	s_load_b32 s36, s[0:1], 0x4c
	s_ashr_i32 s8, s22, 31
	s_ashr_i32 s7, s21, 31
	s_mul_i32 s8, s8, s24
	s_mul_i32 s7, s7, s24
	s_add_i32 s35, s23, s8
	s_add_i32 s31, s11, s7
	s_lshl_b64 s[8:9], s[34:35], 2
	v_dual_mov_b32 v2, 0 :: v_dual_mov_b32 v1, v0
	s_add_u32 s7, s16, s8
	s_addc_u32 s10, s17, s9
	s_lshl_b64 s[8:9], s[30:31], 2
	v_mov_b32_e32 v16, 0
	s_add_u32 s31, s28, s8
	s_addc_u32 s33, s29, s9
	s_add_u32 s8, s0, 64
	s_addc_u32 s9, s1, 0
	s_mov_b32 s35, 0
	s_waitcnt lgkmcnt(0)
	s_and_b32 s36, s36, 0xffff
	.p2align	6
.LBB2_17:                               ; =>This Inner Loop Header: Depth=1
	v_lshlrev_b64 v[17:18], 2, v[1:2]
	v_add_nc_u32_e32 v1, s36, v1
	s_delay_alu instid0(VALU_DEP_2) | instskip(NEXT) | instid1(VALU_DEP_3)
	v_add_co_u32 v19, vcc_lo, s7, v17
	v_add_co_ci_u32_e32 v20, vcc_lo, s10, v18, vcc_lo
	v_add_co_u32 v21, vcc_lo, s31, v17
	v_add_co_ci_u32_e32 v22, vcc_lo, s33, v18, vcc_lo
	global_load_b32 v19, v[19:20], off
	global_load_b32 v20, v[21:22], off
	v_add_co_u32 v17, vcc_lo, s18, v17
	v_add_co_ci_u32_e32 v18, vcc_lo, s19, v18, vcc_lo
	v_cmp_le_u32_e32 vcc_lo, s21, v1
	global_load_b32 v17, v[17:18], off
	s_or_b32 s35, vcc_lo, s35
	s_waitcnt vmcnt(1)
	v_add_f32_e32 v18, v19, v20
	s_delay_alu instid0(VALU_DEP_1) | instskip(SKIP_1) | instid1(VALU_DEP_1)
	v_mul_f32_e32 v18, v3, v18
	s_waitcnt vmcnt(0)
	v_dual_max_f32 v16, v16, v16 :: v_dual_mul_f32 v17, v17, v18
	s_delay_alu instid0(VALU_DEP_1)
	v_max_f32_e64 v16, v16, |v17|
	s_and_not1_b32 exec_lo, exec_lo, s35
	s_cbranch_execnz .LBB2_17
; %bb.18:
	s_or_b32 exec_lo, exec_lo, s35
	v_dual_mov_b32 v1, s8 :: v_dual_mov_b32 v2, s9
.LBB2_19:
	s_or_b32 exec_lo, exec_lo, s3
	global_load_b32 v17, v[1:2], off
	s_waitcnt vmcnt(0)
	v_cmp_lt_u32_e32 vcc_lo, s24, v17
	v_cndmask_b32_e64 v17, 18, 12, vcc_lo
	s_delay_alu instid0(VALU_DEP_1)
	v_add_co_u32 v1, vcc_lo, v1, v17
	v_add_co_ci_u32_e32 v2, vcc_lo, 0, v2, vcc_lo
	global_load_u16 v1, v[1:2], off
	ds_bpermute_b32 v2, v4, v16
	s_waitcnt lgkmcnt(0)
	v_cmp_lt_f32_e32 vcc_lo, v16, v2
	v_cndmask_b32_e32 v2, v16, v2, vcc_lo
	s_waitcnt vmcnt(0)
	v_sub_nc_u32_e64 v14, v1, v14 clamp
	s_delay_alu instid0(VALU_DEP_1)
	v_cmp_lt_u32_e32 vcc_lo, v5, v14
	v_cmp_lt_u32_e64 s9, v13, v14
	v_cndmask_b32_e32 v2, v16, v2, vcc_lo
	ds_bpermute_b32 v17, v6, v2
	s_waitcnt lgkmcnt(0)
	v_cmp_lt_f32_e64 s3, v2, v17
	s_delay_alu instid0(VALU_DEP_1) | instskip(SKIP_1) | instid1(VALU_DEP_1)
	v_cndmask_b32_e64 v17, v2, v17, s3
	v_cmp_lt_u32_e64 s3, v8, v14
	v_cndmask_b32_e64 v2, v2, v17, s3
	s_or_b32 s3, vcc_lo, s3
	ds_bpermute_b32 v17, v7, v2
	s_waitcnt lgkmcnt(0)
	v_cmp_lt_f32_e64 s7, v2, v17
	s_delay_alu instid0(VALU_DEP_1) | instskip(SKIP_1) | instid1(VALU_DEP_1)
	v_cndmask_b32_e64 v17, v2, v17, s7
	v_cmp_lt_u32_e64 s7, v10, v14
	v_cndmask_b32_e64 v2, v2, v17, s7
	s_or_b32 s3, s7, s3
	ds_bpermute_b32 v17, v9, v2
	s_waitcnt lgkmcnt(0)
	v_cmp_lt_f32_e64 s8, v2, v17
	s_delay_alu instid0(VALU_DEP_1) | instskip(SKIP_1) | instid1(VALU_DEP_1)
	v_cndmask_b32_e64 v17, v2, v17, s8
	v_cmp_lt_u32_e64 s8, v12, v14
	v_cndmask_b32_e64 v2, v2, v17, s8
	s_or_b32 s3, s8, s3
	ds_bpermute_b32 v17, v11, v2
	s_waitcnt lgkmcnt(0)
	v_cmp_lt_f32_e64 s10, v2, v17
	s_delay_alu instid0(VALU_DEP_1) | instskip(SKIP_2) | instid1(VALU_DEP_1)
	s_and_b32 vcc_lo, s9, s10
	v_cndmask_b32_e32 v2, v2, v17, vcc_lo
	s_or_b32 vcc_lo, s9, s3
	v_cndmask_b32_e32 v2, v16, v2, vcc_lo
	s_and_saveexec_b32 s3, s5
	s_cbranch_execz .LBB2_21
; %bb.20:
	v_lshrrev_b32_e32 v14, 3, v0
	s_delay_alu instid0(VALU_DEP_1)
	v_and_b32_e32 v14, 0x7c, v14
	ds_store_b32 v14, v2 offset:384
.LBB2_21:
	s_or_b32 exec_lo, exec_lo, s3
	s_waitcnt lgkmcnt(0)
	s_barrier
	buffer_gl0_inv
	s_and_saveexec_b32 s9, s6
	s_cbranch_execz .LBB2_23
; %bb.22:
	ds_load_b32 v2, v15 offset:384
	s_waitcnt lgkmcnt(0)
	ds_bpermute_b32 v4, v4, v2
	s_waitcnt lgkmcnt(0)
	v_cmp_lt_f32_e32 vcc_lo, v2, v4
	v_dual_cndmask_b32 v4, v2, v4 :: v_dual_add_nc_u32 v1, 31, v1
	s_delay_alu instid0(VALU_DEP_1) | instskip(NEXT) | instid1(VALU_DEP_1)
	v_lshrrev_b32_e32 v1, 5, v1
	v_cmp_lt_u32_e32 vcc_lo, v5, v1
	v_cmp_lt_u32_e64 s7, v13, v1
	s_delay_alu instid0(VALU_DEP_4) | instskip(SKIP_3) | instid1(VALU_DEP_1)
	v_cndmask_b32_e32 v4, v2, v4, vcc_lo
	ds_bpermute_b32 v5, v6, v4
	s_waitcnt lgkmcnt(0)
	v_cmp_lt_f32_e64 s3, v4, v5
	v_cndmask_b32_e64 v5, v4, v5, s3
	v_cmp_lt_u32_e64 s3, v8, v1
	s_delay_alu instid0(VALU_DEP_1) | instskip(SKIP_4) | instid1(VALU_DEP_1)
	v_cndmask_b32_e64 v4, v4, v5, s3
	s_or_b32 s3, vcc_lo, s3
	ds_bpermute_b32 v5, v7, v4
	s_waitcnt lgkmcnt(0)
	v_cmp_lt_f32_e64 s5, v4, v5
	v_cndmask_b32_e64 v5, v4, v5, s5
	v_cmp_lt_u32_e64 s5, v10, v1
	s_delay_alu instid0(VALU_DEP_1) | instskip(SKIP_4) | instid1(VALU_DEP_1)
	v_cndmask_b32_e64 v4, v4, v5, s5
	s_or_b32 s3, s5, s3
	ds_bpermute_b32 v5, v9, v4
	s_waitcnt lgkmcnt(0)
	v_cmp_lt_f32_e64 s6, v4, v5
	v_cndmask_b32_e64 v5, v4, v5, s6
	v_cmp_lt_u32_e64 s6, v12, v1
	s_delay_alu instid0(VALU_DEP_1) | instskip(SKIP_4) | instid1(VALU_DEP_1)
	v_cndmask_b32_e64 v4, v4, v5, s6
	s_or_b32 s3, s6, s3
	ds_bpermute_b32 v5, v11, v4
	s_waitcnt lgkmcnt(0)
	v_cmp_lt_f32_e64 s8, v4, v5
	s_and_b32 vcc_lo, s7, s8
	v_cndmask_b32_e32 v1, v4, v5, vcc_lo
	s_or_b32 vcc_lo, s7, s3
	s_delay_alu instid0(VALU_DEP_1)
	v_cndmask_b32_e32 v2, v2, v1, vcc_lo
.LBB2_23:
	s_or_b32 exec_lo, exec_lo, s9
	s_and_saveexec_b32 s3, s4
	s_cbranch_execz .LBB2_27
; %bb.24:
	s_cmp_eq_u64 s[26:27], 0
	s_cbranch_scc1 .LBB2_26
; %bb.25:
	s_load_b32 s4, s[26:27], 0x0
	v_max_f32_e32 v1, v2, v2
	s_waitcnt lgkmcnt(0)
	v_max_f32_e64 v2, s4, s4
	s_delay_alu instid0(VALU_DEP_1)
	v_min_f32_e32 v2, v1, v2
.LBB2_26:
	s_delay_alu instid0(VALU_DEP_1) | instskip(SKIP_2) | instid1(VALU_DEP_2)
	v_div_scale_f32 v1, null, 0x42fe0000, 0x42fe0000, v2
	v_div_scale_f32 v6, vcc_lo, v2, 0x42fe0000, v2
	s_lshl_b64 s[4:5], s[24:25], 2
	v_rcp_f32_e32 v4, v1
	s_add_u32 s4, s14, s4
	s_addc_u32 s5, s15, s5
	s_waitcnt_depctr 0xfff
	v_fma_f32 v5, -v1, v4, 1.0
	s_delay_alu instid0(VALU_DEP_1) | instskip(NEXT) | instid1(VALU_DEP_1)
	v_fmac_f32_e32 v4, v5, v4
	v_mul_f32_e32 v5, v6, v4
	s_delay_alu instid0(VALU_DEP_1) | instskip(NEXT) | instid1(VALU_DEP_1)
	v_fma_f32 v7, -v1, v5, v6
	v_fmac_f32_e32 v5, v7, v4
	s_delay_alu instid0(VALU_DEP_1) | instskip(NEXT) | instid1(VALU_DEP_1)
	v_fma_f32 v1, -v1, v5, v6
	v_div_fmas_f32 v1, v1, v4, v5
	s_delay_alu instid0(VALU_DEP_1) | instskip(NEXT) | instid1(VALU_DEP_1)
	v_div_fixup_f32 v1, v1, 0x42fe0000, v2
	v_dual_mov_b32 v2, 0 :: v_dual_max_f32 v1, 0x34000000, v1
	ds_store_b32 v2, v1 offset:524
	global_store_b32 v2, v1, s[4:5]
.LBB2_27:
	s_or_b32 exec_lo, exec_lo, s3
	s_waitcnt lgkmcnt(0)
	s_waitcnt_vscnt null, 0x0
	s_barrier
	buffer_gl0_inv
	s_and_saveexec_b32 s3, s2
	s_cbranch_execz .LBB2_30
; %bb.28:
	v_mov_b32_e32 v2, 0
	s_load_b32 s2, s[0:1], 0x4c
	s_ashr_i32 s4, s22, 31
	s_ashr_i32 s5, s21, 31
	s_mul_i32 s4, s4, s24
	ds_load_b32 v1, v2 offset:524
	s_add_i32 s35, s23, s4
	s_mul_i32 s5, s5, s24
	s_lshl_b64 s[6:7], s[34:35], 2
	s_add_i32 s4, s11, s5
	s_add_u32 s5, s16, s6
	s_addc_u32 s6, s17, s7
	s_mov_b32 s8, 0
	s_waitcnt lgkmcnt(0)
	s_and_b32 s7, s2, 0xffff
	v_div_scale_f32 v4, null, v1, v1, 1.0
	v_div_scale_f32 v7, vcc_lo, 1.0, v1, 1.0
	s_delay_alu instid0(VALU_DEP_2) | instskip(SKIP_2) | instid1(VALU_DEP_1)
	v_rcp_f32_e32 v5, v4
	s_waitcnt_depctr 0xfff
	v_fma_f32 v6, -v4, v5, 1.0
	v_fmac_f32_e32 v5, v6, v5
	s_delay_alu instid0(VALU_DEP_1) | instskip(NEXT) | instid1(VALU_DEP_1)
	v_mul_f32_e32 v6, v7, v5
	v_fma_f32 v8, -v4, v6, v7
	s_delay_alu instid0(VALU_DEP_1) | instskip(NEXT) | instid1(VALU_DEP_1)
	v_fmac_f32_e32 v6, v8, v5
	v_fma_f32 v4, -v4, v6, v7
	s_delay_alu instid0(VALU_DEP_1) | instskip(NEXT) | instid1(VALU_DEP_1)
	v_div_fmas_f32 v4, v4, v5, v6
	v_div_fixup_f32 v4, v4, v1, 1.0
	v_mov_b32_e32 v1, v0
.LBB2_29:                               ; =>This Inner Loop Header: Depth=1
	s_delay_alu instid0(VALU_DEP_1) | instskip(NEXT) | instid1(VALU_DEP_1)
	v_add_co_u32 v5, s2, s30, v1
	v_add_co_ci_u32_e64 v6, null, s4, 0, s2
	v_lshlrev_b64 v[7:8], 2, v[1:2]
	v_add_nc_u32_e32 v1, s7, v1
	s_delay_alu instid0(VALU_DEP_3) | instskip(NEXT) | instid1(VALU_DEP_3)
	v_lshlrev_b64 v[9:10], 2, v[5:6]
	v_add_co_u32 v11, vcc_lo, s5, v7
	s_delay_alu instid0(VALU_DEP_4) | instskip(NEXT) | instid1(VALU_DEP_3)
	v_add_co_ci_u32_e32 v12, vcc_lo, s6, v8, vcc_lo
	v_add_co_u32 v9, s2, s28, v9
	s_delay_alu instid0(VALU_DEP_1)
	v_add_co_ci_u32_e64 v10, s2, s29, v10, s2
	v_add_co_u32 v7, vcc_lo, s18, v7
	global_load_b32 v11, v[11:12], off
	global_load_b32 v12, v[9:10], off
	v_add_co_ci_u32_e32 v8, vcc_lo, s19, v8, vcc_lo
	global_load_b32 v7, v[7:8], off
	s_waitcnt vmcnt(1)
	v_add_f32_e32 v8, v11, v12
	s_delay_alu instid0(VALU_DEP_1) | instskip(SKIP_1) | instid1(VALU_DEP_1)
	v_mul_f32_e32 v11, v3, v8
	s_waitcnt vmcnt(0)
	v_mul_f32_e32 v7, v11, v7
	s_delay_alu instid0(VALU_DEP_1) | instskip(NEXT) | instid1(VALU_DEP_1)
	v_mul_f32_e32 v7, v4, v7
	v_rndne_f32_e32 v7, v7
	s_delay_alu instid0(VALU_DEP_1) | instskip(SKIP_3) | instid1(VALU_DEP_2)
	v_cmp_nlt_f32_e32 vcc_lo, 0x42fe0000, v7
	v_cmp_ngt_f32_e64 s2, 0xc3000000, v7
	v_cndmask_b32_e32 v11, 0x42fe0000, v7, vcc_lo
	v_cmp_le_u32_e32 vcc_lo, s21, v1
	v_cndmask_b32_e64 v7, 0xc3000000, v11, s2
	v_add_co_u32 v5, s2, s12, v5
	s_delay_alu instid0(VALU_DEP_1) | instskip(NEXT) | instid1(VALU_DEP_3)
	v_add_co_ci_u32_e64 v6, s2, s13, v6, s2
	v_cvt_i32_f32_e32 v7, v7
	s_or_b32 s8, vcc_lo, s8
	global_store_b32 v[9:10], v8, off
	global_store_b8 v[5:6], v7, off
	s_and_not1_b32 exec_lo, exec_lo, s8
	s_cbranch_execnz .LBB2_29
.LBB2_30:
	s_or_b32 exec_lo, exec_lo, s3
	s_branch .LBB2_75
.LBB2_31:
	s_cbranch_execz .LBB2_75
; %bb.32:
	s_ashr_i32 s2, s22, 31
	s_mul_hi_u32 s3, s22, s24
	s_mul_i32 s2, s2, s24
	s_ashr_i32 s4, s21, 31
	s_add_i32 s5, s3, s2
	s_load_b32 s3, s[0:1], 0x40
	s_mul_i32 s6, s4, s24
	s_mul_i32 s4, s22, s24
	s_mul_hi_u32 s2, s21, s24
	s_lshl_b64 s[4:5], s[4:5], 2
	s_add_i32 s11, s2, s6
	s_mul_i32 s10, s21, s24
	s_add_u32 s9, s16, s4
	s_addc_u32 s16, s17, s5
	s_lshl_b64 s[4:5], s[10:11], 2
	v_mov_b32_e32 v6, 0
	s_add_u32 s17, s28, s4
	s_addc_u32 s22, s29, s5
	s_ashr_i32 s23, s21, 2
	s_add_u32 s0, s0, 64
	v_cmp_gt_u32_e64 s2, s23, v0
	s_mov_b32 s25, 0
	s_addc_u32 s1, s1, 0
	s_delay_alu instid0(VALU_DEP_1)
	s_and_saveexec_b32 s4, s2
	s_cbranch_execz .LBB2_42
; %bb.33:
	s_waitcnt lgkmcnt(0)
	s_cmp_lt_u32 s24, s3
	v_mov_b32_e32 v2, 0
	s_cselect_b32 s5, 12, 18
	v_mov_b32_e32 v1, v0
	s_add_u32 s6, s0, s5
	s_addc_u32 s7, s1, 0
	s_mov_b32 s5, s25
	global_load_u16 v7, v2, s[6:7]
                                        ; implicit-def: $sgpr6
	s_waitcnt vmcnt(0)
	v_lshlrev_b32_e32 v9, 1, v7
	v_mul_lo_u32 v8, v7, 3
	v_add_nc_u32_e32 v10, v7, v7
	v_mov_b32_e32 v6, v2
	s_branch .LBB2_37
.LBB2_34:                               ;   in Loop: Header=BB2_37 Depth=1
	s_or_b32 exec_lo, exec_lo, s28
	s_delay_alu instid0(SALU_CYCLE_1)
	s_or_not1_b32 s28, s29, exec_lo
.LBB2_35:                               ;   in Loop: Header=BB2_37 Depth=1
	s_or_b32 exec_lo, exec_lo, s8
	s_delay_alu instid0(SALU_CYCLE_1) | instskip(SKIP_1) | instid1(SALU_CYCLE_1)
	s_and_not1_b32 s6, s6, exec_lo
	s_and_b32 s8, s28, exec_lo
	s_or_b32 s6, s6, s8
.LBB2_36:                               ;   in Loop: Header=BB2_37 Depth=1
	s_or_b32 exec_lo, exec_lo, s7
	s_delay_alu instid0(SALU_CYCLE_1) | instskip(NEXT) | instid1(SALU_CYCLE_1)
	s_and_b32 s7, exec_lo, s6
	s_or_b32 s5, s7, s5
	s_delay_alu instid0(SALU_CYCLE_1)
	s_and_not1_b32 exec_lo, exec_lo, s5
	s_cbranch_execz .LBB2_41
.LBB2_37:                               ; =>This Inner Loop Header: Depth=1
	v_lshlrev_b64 v[3:4], 4, v[1:2]
	s_or_b32 s6, s6, exec_lo
	s_mov_b32 s7, exec_lo
	s_delay_alu instid0(VALU_DEP_1) | instskip(NEXT) | instid1(VALU_DEP_2)
	v_add_co_u32 v11, vcc_lo, s9, v3
	v_add_co_ci_u32_e32 v12, vcc_lo, s16, v4, vcc_lo
	v_add_co_u32 v3, vcc_lo, s17, v3
	v_add_co_ci_u32_e32 v4, vcc_lo, s22, v4, vcc_lo
	global_load_b128 v[11:14], v[11:12], off
	global_load_b128 v[15:18], v[3:4], off
	s_waitcnt vmcnt(0)
	v_dual_add_f32 v3, v11, v15 :: v_dual_add_f32 v4, v12, v16
	s_delay_alu instid0(VALU_DEP_1) | instskip(NEXT) | instid1(VALU_DEP_1)
	v_dual_fmac_f32 v6, v3, v3 :: v_dual_add_f32 v3, v13, v17
	v_fmac_f32_e32 v6, v4, v4
	v_add_f32_e32 v4, v14, v18
	s_delay_alu instid0(VALU_DEP_2) | instskip(NEXT) | instid1(VALU_DEP_1)
	v_fmac_f32_e32 v6, v3, v3
	v_dual_fmac_f32 v6, v4, v4 :: v_dual_add_nc_u32 v3, v1, v7
	s_delay_alu instid0(VALU_DEP_1)
	v_cmpx_gt_u32_e64 s23, v3
	s_cbranch_execz .LBB2_36
; %bb.38:                               ;   in Loop: Header=BB2_37 Depth=1
	v_mov_b32_e32 v4, v2
	s_mov_b32 s28, -1
	s_mov_b32 s8, exec_lo
	s_delay_alu instid0(VALU_DEP_1) | instskip(NEXT) | instid1(VALU_DEP_1)
	v_lshlrev_b64 v[4:5], 4, v[3:4]
	v_add_co_u32 v11, vcc_lo, s9, v4
	s_delay_alu instid0(VALU_DEP_2)
	v_add_co_ci_u32_e32 v12, vcc_lo, s16, v5, vcc_lo
	v_add_co_u32 v4, vcc_lo, s17, v4
	v_add_co_ci_u32_e32 v5, vcc_lo, s22, v5, vcc_lo
	global_load_b128 v[11:14], v[11:12], off
	global_load_b128 v[15:18], v[4:5], off
	s_waitcnt vmcnt(0)
	v_dual_add_f32 v5, v12, v16 :: v_dual_add_f32 v4, v11, v15
	s_delay_alu instid0(VALU_DEP_1) | instskip(SKIP_1) | instid1(VALU_DEP_2)
	v_fmac_f32_e32 v6, v4, v4
	v_add_f32_e32 v4, v13, v17
	v_dual_fmac_f32 v6, v5, v5 :: v_dual_add_f32 v5, v14, v18
	s_delay_alu instid0(VALU_DEP_1) | instskip(SKIP_1) | instid1(VALU_DEP_2)
	v_fmac_f32_e32 v6, v4, v4
	v_add_nc_u32_e32 v4, v9, v1
	v_fmac_f32_e32 v6, v5, v5
	s_delay_alu instid0(VALU_DEP_2)
	v_cmpx_gt_u32_e64 s23, v4
	s_cbranch_execz .LBB2_35
; %bb.39:                               ;   in Loop: Header=BB2_37 Depth=1
	v_mov_b32_e32 v5, v2
	v_add_nc_u32_e32 v1, v8, v1
	s_mov_b32 s29, -1
	s_mov_b32 s28, exec_lo
	s_delay_alu instid0(VALU_DEP_2) | instskip(NEXT) | instid1(VALU_DEP_1)
	v_lshlrev_b64 v[4:5], 4, v[4:5]
	v_add_co_u32 v11, vcc_lo, s9, v4
	s_delay_alu instid0(VALU_DEP_2)
	v_add_co_ci_u32_e32 v12, vcc_lo, s16, v5, vcc_lo
	v_add_co_u32 v4, vcc_lo, s17, v4
	v_add_co_ci_u32_e32 v5, vcc_lo, s22, v5, vcc_lo
	global_load_b128 v[11:14], v[11:12], off
	global_load_b128 v[15:18], v[4:5], off
	s_waitcnt vmcnt(0)
	v_dual_add_f32 v4, v11, v15 :: v_dual_add_f32 v5, v12, v16
	s_delay_alu instid0(VALU_DEP_1) | instskip(SKIP_1) | instid1(VALU_DEP_2)
	v_fmac_f32_e32 v6, v4, v4
	v_add_f32_e32 v4, v13, v17
	v_dual_fmac_f32 v6, v5, v5 :: v_dual_add_f32 v5, v14, v18
	s_delay_alu instid0(VALU_DEP_1) | instskip(NEXT) | instid1(VALU_DEP_1)
	v_fmac_f32_e32 v6, v4, v4
	v_fmac_f32_e32 v6, v5, v5
	v_cmpx_gt_u32_e64 s23, v1
	s_xor_b32 s28, exec_lo, s28
	s_cbranch_execz .LBB2_34
; %bb.40:                               ;   in Loop: Header=BB2_37 Depth=1
	v_lshlrev_b64 v[4:5], 4, v[1:2]
	s_delay_alu instid0(VALU_DEP_1) | instskip(NEXT) | instid1(VALU_DEP_2)
	v_add_co_u32 v11, vcc_lo, s9, v4
	v_add_co_ci_u32_e32 v12, vcc_lo, s16, v5, vcc_lo
	v_add_co_u32 v4, vcc_lo, s17, v4
	v_add_co_ci_u32_e32 v5, vcc_lo, s22, v5, vcc_lo
	global_load_b128 v[11:14], v[11:12], off
	global_load_b128 v[15:18], v[4:5], off
	s_waitcnt vmcnt(0)
	v_dual_add_f32 v1, v11, v15 :: v_dual_add_f32 v4, v12, v16
	s_delay_alu instid0(VALU_DEP_1) | instskip(SKIP_2) | instid1(VALU_DEP_3)
	v_fmac_f32_e32 v6, v1, v1
	v_add3_u32 v1, v10, v7, v3
	v_add_f32_e32 v3, v14, v18
	v_dual_add_f32 v5, v13, v17 :: v_dual_fmac_f32 v6, v4, v4
	s_delay_alu instid0(VALU_DEP_3) | instskip(NEXT) | instid1(VALU_DEP_2)
	v_cmp_le_u32_e32 vcc_lo, s23, v1
	v_fmac_f32_e32 v6, v5, v5
	s_or_not1_b32 s29, vcc_lo, exec_lo
	s_delay_alu instid0(VALU_DEP_1)
	v_fmac_f32_e32 v6, v3, v3
	s_branch .LBB2_34
.LBB2_41:
	s_or_b32 exec_lo, exec_lo, s5
.LBB2_42:
	s_delay_alu instid0(SALU_CYCLE_1)
	s_or_b32 exec_lo, exec_lo, s4
	v_mbcnt_lo_u32_b32 v7, -1, 0
	s_waitcnt lgkmcnt(0)
	s_cmp_lt_u32 s24, s3
	v_and_b32_e32 v4, 0x3e0, v0
	s_cselect_b32 s3, 12, 18
	s_delay_alu instid0(SALU_CYCLE_1)
	s_add_u32 s0, s0, s3
	v_cmp_ne_u32_e32 vcc_lo, 31, v7
	s_addc_u32 s1, s1, 0
	v_add_nc_u32_e32 v12, 2, v7
	v_add_nc_u32_e32 v14, 4, v7
	;; [unrolled: 1-line block ×3, first 2 shown]
	v_add_co_ci_u32_e32 v2, vcc_lo, 0, v7, vcc_lo
	v_mov_b32_e32 v1, 0
	v_cmp_gt_u32_e32 vcc_lo, 30, v7
	v_add_nc_u32_e32 v17, 16, v7
	s_delay_alu instid0(VALU_DEP_4)
	v_lshlrev_b32_e32 v8, 2, v2
	v_cmp_eq_u32_e64 s6, 0, v7
	global_load_u16 v1, v1, s[0:1]
	v_cndmask_b32_e64 v3, 0, 1, vcc_lo
	v_cmp_gt_u32_e32 vcc_lo, 28, v7
	ds_bpermute_b32 v2, v8, v6
	v_add_nc_u32_e32 v9, 1, v7
	v_lshlrev_b32_e32 v3, 1, v3
	v_cndmask_b32_e64 v5, 0, 1, vcc_lo
	v_cmp_gt_u32_e32 vcc_lo, 24, v7
	s_delay_alu instid0(VALU_DEP_3) | instskip(NEXT) | instid1(VALU_DEP_3)
	v_add_lshl_u32 v10, v3, v7, 2
	v_lshlrev_b32_e32 v5, 2, v5
	s_delay_alu instid0(VALU_DEP_1) | instskip(SKIP_3) | instid1(VALU_DEP_2)
	v_add_lshl_u32 v11, v5, v7, 2
	v_cndmask_b32_e64 v5, 0, 1, vcc_lo
	v_cmp_gt_u32_e32 vcc_lo, 16, v7
	s_waitcnt lgkmcnt(0)
	v_dual_add_f32 v2, v6, v2 :: v_dual_lshlrev_b32 v5, 3, v5
	s_delay_alu instid0(VALU_DEP_1) | instskip(SKIP_1) | instid1(VALU_DEP_1)
	v_add_lshl_u32 v13, v5, v7, 2
	v_cndmask_b32_e64 v5, 0, 1, vcc_lo
	v_lshlrev_b32_e32 v5, 4, v5
	s_delay_alu instid0(VALU_DEP_1) | instskip(SKIP_3) | instid1(VALU_DEP_2)
	v_add_lshl_u32 v15, v5, v7, 2
	s_waitcnt vmcnt(0)
	v_sub_nc_u32_e64 v4, v1, v4 clamp
	v_readfirstlane_b32 s28, v1
	v_cmp_lt_u32_e64 s0, v9, v4
	v_cmp_lt_u32_e64 s1, v12, v4
	;; [unrolled: 1-line block ×5, first 2 shown]
	v_cndmask_b32_e64 v2, v6, v2, s0
	ds_bpermute_b32 v3, v10, v2
	s_waitcnt lgkmcnt(0)
	v_add_f32_e32 v3, v2, v3
	s_delay_alu instid0(VALU_DEP_1) | instskip(SKIP_3) | instid1(VALU_DEP_1)
	v_cndmask_b32_e64 v2, v2, v3, s1
	ds_bpermute_b32 v3, v11, v2
	s_waitcnt lgkmcnt(0)
	v_add_f32_e32 v3, v2, v3
	v_cndmask_b32_e64 v2, v2, v3, s3
	ds_bpermute_b32 v3, v13, v2
	s_waitcnt lgkmcnt(0)
	v_add_f32_e32 v3, v2, v3
	s_delay_alu instid0(VALU_DEP_1) | instskip(SKIP_3) | instid1(VALU_DEP_1)
	v_cndmask_b32_e64 v2, v2, v3, s5
	ds_bpermute_b32 v3, v15, v2
	s_waitcnt lgkmcnt(0)
	v_add_f32_e32 v3, v2, v3
	v_cndmask_b32_e64 v1, v2, v3, s8
	s_and_saveexec_b32 s4, s6
	s_cbranch_execz .LBB2_44
; %bb.43:
	v_lshrrev_b32_e32 v2, 3, v0
	s_delay_alu instid0(VALU_DEP_1)
	v_and_b32_e32 v2, 0x7c, v2
	ds_store_b32 v2, v1
.LBB2_44:
	s_or_b32 exec_lo, exec_lo, s4
	v_cmp_gt_u32_e64 s7, 32, v0
	s_waitcnt lgkmcnt(0)
	s_waitcnt_vscnt null, 0x0
	s_barrier
	buffer_gl0_inv
	s_and_saveexec_b32 s4, s7
	s_cbranch_execz .LBB2_46
; %bb.45:
	v_lshlrev_b32_e32 v1, 2, v7
	s_add_i32 s29, s28, 31
	s_delay_alu instid0(SALU_CYCLE_1) | instskip(NEXT) | instid1(SALU_CYCLE_1)
	s_lshr_b32 s29, s29, 5
	v_cmp_gt_u32_e32 vcc_lo, s29, v9
	ds_load_b32 v1, v1
	s_waitcnt lgkmcnt(0)
	ds_bpermute_b32 v2, v8, v1
	s_waitcnt lgkmcnt(0)
	v_add_f32_e32 v2, v1, v2
	s_delay_alu instid0(VALU_DEP_1) | instskip(SKIP_4) | instid1(VALU_DEP_1)
	v_cndmask_b32_e32 v1, v1, v2, vcc_lo
	v_cmp_gt_u32_e32 vcc_lo, s29, v12
	ds_bpermute_b32 v2, v10, v1
	s_waitcnt lgkmcnt(0)
	v_add_f32_e32 v2, v1, v2
	v_cndmask_b32_e32 v1, v1, v2, vcc_lo
	v_cmp_gt_u32_e32 vcc_lo, s29, v14
	ds_bpermute_b32 v2, v11, v1
	s_waitcnt lgkmcnt(0)
	v_add_f32_e32 v2, v1, v2
	s_delay_alu instid0(VALU_DEP_1) | instskip(SKIP_4) | instid1(VALU_DEP_1)
	v_cndmask_b32_e32 v1, v1, v2, vcc_lo
	v_cmp_gt_u32_e32 vcc_lo, s29, v16
	ds_bpermute_b32 v2, v13, v1
	s_waitcnt lgkmcnt(0)
	v_add_f32_e32 v2, v1, v2
	v_cndmask_b32_e32 v1, v1, v2, vcc_lo
	v_cmp_gt_u32_e32 vcc_lo, s29, v17
	ds_bpermute_b32 v2, v15, v1
	s_waitcnt lgkmcnt(0)
	v_add_f32_e32 v2, v1, v2
	s_delay_alu instid0(VALU_DEP_1)
	v_cndmask_b32_e32 v1, v1, v2, vcc_lo
.LBB2_46:
	s_or_b32 exec_lo, exec_lo, s4
	v_cmp_eq_u32_e64 s4, 0, v0
	s_delay_alu instid0(VALU_DEP_1)
	s_and_saveexec_b32 s29, s4
	s_cbranch_execz .LBB2_48
; %bb.47:
	v_cvt_f32_i32_e32 v2, s21
	s_delay_alu instid0(VALU_DEP_1) | instskip(SKIP_1) | instid1(VALU_DEP_2)
	v_div_scale_f32 v3, null, v2, v2, v1
	v_div_scale_f32 v6, vcc_lo, v1, v2, v1
	v_rcp_f32_e32 v4, v3
	s_waitcnt_depctr 0xfff
	v_fma_f32 v5, -v3, v4, 1.0
	s_delay_alu instid0(VALU_DEP_1) | instskip(NEXT) | instid1(VALU_DEP_1)
	v_fmac_f32_e32 v4, v5, v4
	v_mul_f32_e32 v5, v6, v4
	s_delay_alu instid0(VALU_DEP_1) | instskip(NEXT) | instid1(VALU_DEP_1)
	v_fma_f32 v18, -v3, v5, v6
	v_fmac_f32_e32 v5, v18, v4
	s_delay_alu instid0(VALU_DEP_1) | instskip(NEXT) | instid1(VALU_DEP_1)
	v_fma_f32 v3, -v3, v5, v6
	v_div_fmas_f32 v3, v3, v4, v5
	s_delay_alu instid0(VALU_DEP_1) | instskip(NEXT) | instid1(VALU_DEP_1)
	v_div_fixup_f32 v1, v3, v2, v1
	v_add_f32_e32 v1, s20, v1
	s_delay_alu instid0(VALU_DEP_1) | instskip(SKIP_1) | instid1(VALU_DEP_2)
	v_mul_f32_e32 v2, 0x4b800000, v1
	v_cmp_gt_f32_e32 vcc_lo, 0x800000, v1
	v_cndmask_b32_e32 v1, v1, v2, vcc_lo
	s_delay_alu instid0(VALU_DEP_1) | instskip(SKIP_2) | instid1(VALU_DEP_1)
	v_rsq_f32_e32 v1, v1
	s_waitcnt_depctr 0xfff
	v_mul_f32_e32 v2, 0x45800000, v1
	v_dual_cndmask_b32 v1, v1, v2 :: v_dual_mov_b32 v2, 0
	ds_store_b32 v2, v1 offset:512
.LBB2_48:
	s_or_b32 exec_lo, exec_lo, s29
	v_mov_b32_e32 v18, 0
	s_waitcnt lgkmcnt(0)
	s_barrier
	buffer_gl0_inv
	ds_load_b32 v6, v18 offset:512
	s_and_saveexec_b32 s20, s2
	s_cbranch_execz .LBB2_58
; %bb.49:
	v_dual_mov_b32 v2, 0 :: v_dual_mov_b32 v1, v0
	s_mul_i32 s21, s28, 3
	s_lshl_b32 s30, s28, 1
	s_mov_b32 s29, 0
	s_delay_alu instid0(VALU_DEP_1)
	v_mov_b32_e32 v18, v2
	s_add_i32 s31, s28, s28
                                        ; implicit-def: $sgpr33
	s_branch .LBB2_53
.LBB2_50:                               ;   in Loop: Header=BB2_53 Depth=1
	s_or_b32 exec_lo, exec_lo, s36
	s_delay_alu instid0(SALU_CYCLE_1)
	s_or_not1_b32 s36, s37, exec_lo
.LBB2_51:                               ;   in Loop: Header=BB2_53 Depth=1
	s_or_b32 exec_lo, exec_lo, s35
	s_delay_alu instid0(SALU_CYCLE_1) | instskip(SKIP_1) | instid1(SALU_CYCLE_1)
	s_and_not1_b32 s33, s33, exec_lo
	s_and_b32 s35, s36, exec_lo
	s_or_b32 s33, s33, s35
.LBB2_52:                               ;   in Loop: Header=BB2_53 Depth=1
	s_or_b32 exec_lo, exec_lo, s34
	s_delay_alu instid0(SALU_CYCLE_1) | instskip(NEXT) | instid1(SALU_CYCLE_1)
	s_and_b32 s34, exec_lo, s33
	s_or_b32 s29, s34, s29
	s_delay_alu instid0(SALU_CYCLE_1)
	s_and_not1_b32 exec_lo, exec_lo, s29
	s_cbranch_execz .LBB2_57
.LBB2_53:                               ; =>This Inner Loop Header: Depth=1
	v_lshlrev_b64 v[3:4], 4, v[1:2]
	s_or_b32 s33, s33, exec_lo
	s_mov_b32 s34, exec_lo
	s_delay_alu instid0(VALU_DEP_1) | instskip(NEXT) | instid1(VALU_DEP_2)
	v_add_co_u32 v19, vcc_lo, s9, v3
	v_add_co_ci_u32_e32 v20, vcc_lo, s16, v4, vcc_lo
	v_add_co_u32 v23, vcc_lo, s17, v3
	v_add_co_ci_u32_e32 v24, vcc_lo, s22, v4, vcc_lo
	v_add_co_u32 v3, vcc_lo, s18, v3
	global_load_b128 v[19:22], v[19:20], off
	global_load_b128 v[23:26], v[23:24], off
	v_add_co_ci_u32_e32 v4, vcc_lo, s19, v4, vcc_lo
	global_load_b128 v[27:30], v[3:4], off
	s_waitcnt vmcnt(1)
	v_dual_add_f32 v3, v19, v23 :: v_dual_add_f32 v4, v20, v24
	v_add_f32_e32 v5, v21, v25
	s_waitcnt lgkmcnt(0)
	s_delay_alu instid0(VALU_DEP_2) | instskip(NEXT) | instid1(VALU_DEP_3)
	v_mul_f32_e32 v3, v6, v3
	v_mul_f32_e32 v4, v6, v4
	v_add_f32_e32 v19, v22, v26
	v_mul_f32_e32 v5, v6, v5
	s_waitcnt vmcnt(0)
	s_delay_alu instid0(VALU_DEP_3) | instskip(NEXT) | instid1(VALU_DEP_3)
	v_dual_mul_f32 v3, v27, v3 :: v_dual_mul_f32 v4, v28, v4
	v_mul_f32_e32 v19, v6, v19
	s_delay_alu instid0(VALU_DEP_3) | instskip(NEXT) | instid1(VALU_DEP_3)
	v_mul_f32_e32 v5, v29, v5
	v_max3_f32 v4, v18, |v3|, |v4|
	s_delay_alu instid0(VALU_DEP_3) | instskip(SKIP_1) | instid1(VALU_DEP_2)
	v_mul_f32_e32 v19, v30, v19
	v_add_nc_u32_e32 v3, s28, v1
	v_max3_f32 v18, v4, |v5|, |v19|
	s_delay_alu instid0(VALU_DEP_2)
	v_cmpx_gt_u32_e64 s23, v3
	s_cbranch_execz .LBB2_52
; %bb.54:                               ;   in Loop: Header=BB2_53 Depth=1
	v_mov_b32_e32 v4, v2
	s_mov_b32 s36, -1
	s_mov_b32 s35, exec_lo
	s_delay_alu instid0(VALU_DEP_1) | instskip(NEXT) | instid1(VALU_DEP_1)
	v_lshlrev_b64 v[4:5], 4, v[3:4]
	v_add_co_u32 v19, vcc_lo, s9, v4
	s_delay_alu instid0(VALU_DEP_2)
	v_add_co_ci_u32_e32 v20, vcc_lo, s16, v5, vcc_lo
	v_add_co_u32 v23, vcc_lo, s17, v4
	v_add_co_ci_u32_e32 v24, vcc_lo, s22, v5, vcc_lo
	v_add_co_u32 v4, vcc_lo, s18, v4
	global_load_b128 v[19:22], v[19:20], off
	global_load_b128 v[23:26], v[23:24], off
	v_add_co_ci_u32_e32 v5, vcc_lo, s19, v5, vcc_lo
	global_load_b128 v[27:30], v[4:5], off
	s_waitcnt vmcnt(1)
	v_dual_add_f32 v5, v20, v24 :: v_dual_add_f32 v4, v19, v23
	v_add_f32_e32 v19, v21, v25
	s_delay_alu instid0(VALU_DEP_1) | instskip(SKIP_1) | instid1(VALU_DEP_1)
	v_mul_f32_e32 v19, v6, v19
	s_waitcnt vmcnt(0)
	v_dual_mul_f32 v4, v6, v4 :: v_dual_mul_f32 v19, v29, v19
	s_delay_alu instid0(VALU_DEP_1) | instskip(NEXT) | instid1(VALU_DEP_1)
	v_dual_mul_f32 v5, v6, v5 :: v_dual_mul_f32 v4, v27, v4
	v_dual_add_f32 v20, v22, v26 :: v_dual_mul_f32 v5, v28, v5
	s_delay_alu instid0(VALU_DEP_1) | instskip(NEXT) | instid1(VALU_DEP_2)
	v_mul_f32_e32 v20, v6, v20
	v_max3_f32 v5, v18, |v4|, |v5|
	v_add_nc_u32_e32 v4, s30, v1
	s_delay_alu instid0(VALU_DEP_3) | instskip(NEXT) | instid1(VALU_DEP_1)
	v_mul_f32_e32 v20, v30, v20
	v_max3_f32 v18, v5, |v19|, |v20|
	s_delay_alu instid0(VALU_DEP_3)
	v_cmpx_gt_u32_e64 s23, v4
	s_cbranch_execz .LBB2_51
; %bb.55:                               ;   in Loop: Header=BB2_53 Depth=1
	v_mov_b32_e32 v5, v2
	v_add_nc_u32_e32 v1, s21, v1
	s_mov_b32 s37, -1
	s_mov_b32 s36, exec_lo
	s_delay_alu instid0(VALU_DEP_2) | instskip(NEXT) | instid1(VALU_DEP_1)
	v_lshlrev_b64 v[4:5], 4, v[4:5]
	v_add_co_u32 v19, vcc_lo, s9, v4
	s_delay_alu instid0(VALU_DEP_2)
	v_add_co_ci_u32_e32 v20, vcc_lo, s16, v5, vcc_lo
	v_add_co_u32 v23, vcc_lo, s17, v4
	v_add_co_ci_u32_e32 v24, vcc_lo, s22, v5, vcc_lo
	v_add_co_u32 v4, vcc_lo, s18, v4
	global_load_b128 v[19:22], v[19:20], off
	global_load_b128 v[23:26], v[23:24], off
	v_add_co_ci_u32_e32 v5, vcc_lo, s19, v5, vcc_lo
	global_load_b128 v[27:30], v[4:5], off
	s_waitcnt vmcnt(1)
	v_dual_add_f32 v4, v19, v23 :: v_dual_add_f32 v5, v20, v24
	v_dual_add_f32 v20, v22, v26 :: v_dual_add_f32 v19, v21, v25
	s_delay_alu instid0(VALU_DEP_2) | instskip(NEXT) | instid1(VALU_DEP_3)
	v_mul_f32_e32 v4, v6, v4
	v_mul_f32_e32 v5, v6, v5
	s_waitcnt vmcnt(0)
	s_delay_alu instid0(VALU_DEP_2) | instskip(NEXT) | instid1(VALU_DEP_2)
	v_dual_mul_f32 v19, v6, v19 :: v_dual_mul_f32 v4, v27, v4
	v_dual_mul_f32 v20, v6, v20 :: v_dual_mul_f32 v5, v28, v5
	s_delay_alu instid0(VALU_DEP_1) | instskip(NEXT) | instid1(VALU_DEP_2)
	v_dual_mul_f32 v19, v29, v19 :: v_dual_mul_f32 v20, v30, v20
	v_max3_f32 v4, v18, |v4|, |v5|
	s_delay_alu instid0(VALU_DEP_1)
	v_max3_f32 v18, v4, |v19|, |v20|
	v_cmpx_gt_u32_e64 s23, v1
	s_xor_b32 s36, exec_lo, s36
	s_cbranch_execz .LBB2_50
; %bb.56:                               ;   in Loop: Header=BB2_53 Depth=1
	v_lshlrev_b64 v[4:5], 4, v[1:2]
	s_delay_alu instid0(VALU_DEP_1) | instskip(NEXT) | instid1(VALU_DEP_2)
	v_add_co_u32 v19, vcc_lo, s9, v4
	v_add_co_ci_u32_e32 v20, vcc_lo, s16, v5, vcc_lo
	v_add_co_u32 v23, vcc_lo, s17, v4
	v_add_co_ci_u32_e32 v24, vcc_lo, s22, v5, vcc_lo
	v_add_co_u32 v4, vcc_lo, s18, v4
	global_load_b128 v[19:22], v[19:20], off
	global_load_b128 v[23:26], v[23:24], off
	v_add_co_ci_u32_e32 v5, vcc_lo, s19, v5, vcc_lo
	global_load_b128 v[27:30], v[4:5], off
	s_waitcnt vmcnt(1)
	v_dual_add_f32 v1, v19, v23 :: v_dual_add_f32 v4, v20, v24
	s_delay_alu instid0(VALU_DEP_1) | instskip(NEXT) | instid1(VALU_DEP_2)
	v_dual_add_f32 v5, v21, v25 :: v_dual_mul_f32 v4, v6, v4
	v_mul_f32_e32 v1, v6, v1
	s_waitcnt vmcnt(0)
	s_delay_alu instid0(VALU_DEP_2) | instskip(NEXT) | instid1(VALU_DEP_2)
	v_dual_mul_f32 v5, v6, v5 :: v_dual_mul_f32 v4, v28, v4
	v_dual_add_f32 v19, v22, v26 :: v_dual_mul_f32 v20, v27, v1
	v_add3_u32 v1, s31, s28, v3
	s_delay_alu instid0(VALU_DEP_3) | instskip(NEXT) | instid1(VALU_DEP_3)
	v_mul_f32_e32 v3, v29, v5
	v_mul_f32_e32 v19, v6, v19
	s_delay_alu instid0(VALU_DEP_4) | instskip(NEXT) | instid1(VALU_DEP_4)
	v_max3_f32 v4, v18, |v20|, |v4|
	v_cmp_le_u32_e32 vcc_lo, s23, v1
	s_delay_alu instid0(VALU_DEP_3) | instskip(SKIP_1) | instid1(VALU_DEP_1)
	v_mul_f32_e32 v5, v30, v19
	s_or_not1_b32 s37, vcc_lo, exec_lo
	v_max3_f32 v18, v4, |v3|, |v5|
	s_branch .LBB2_50
.LBB2_57:
	s_or_b32 exec_lo, exec_lo, s29
.LBB2_58:
	s_delay_alu instid0(SALU_CYCLE_1) | instskip(SKIP_4) | instid1(VALU_DEP_1)
	s_or_b32 exec_lo, exec_lo, s20
	ds_bpermute_b32 v1, v8, v18
	s_waitcnt lgkmcnt(0)
	v_cmp_lt_f32_e32 vcc_lo, v18, v1
	v_cndmask_b32_e32 v1, v18, v1, vcc_lo
	v_cndmask_b32_e64 v1, v18, v1, s0
	s_or_b32 s0, s0, s1
	s_delay_alu instid0(SALU_CYCLE_1) | instskip(NEXT) | instid1(SALU_CYCLE_1)
	s_or_b32 s0, s3, s0
	s_or_b32 s0, s5, s0
	ds_bpermute_b32 v2, v10, v1
	s_waitcnt lgkmcnt(0)
	v_cmp_lt_f32_e32 vcc_lo, v1, v2
	v_cndmask_b32_e32 v2, v1, v2, vcc_lo
	s_delay_alu instid0(VALU_DEP_1) | instskip(SKIP_4) | instid1(VALU_DEP_1)
	v_cndmask_b32_e64 v1, v1, v2, s1
	ds_bpermute_b32 v2, v11, v1
	s_waitcnt lgkmcnt(0)
	v_cmp_lt_f32_e32 vcc_lo, v1, v2
	v_cndmask_b32_e32 v2, v1, v2, vcc_lo
	v_cndmask_b32_e64 v1, v1, v2, s3
	ds_bpermute_b32 v2, v13, v1
	s_waitcnt lgkmcnt(0)
	v_cmp_lt_f32_e32 vcc_lo, v1, v2
	v_cndmask_b32_e32 v2, v1, v2, vcc_lo
	s_delay_alu instid0(VALU_DEP_1)
	v_cndmask_b32_e64 v1, v1, v2, s5
	ds_bpermute_b32 v2, v15, v1
	s_waitcnt lgkmcnt(0)
	v_cmp_lt_f32_e32 vcc_lo, v1, v2
	s_and_b32 vcc_lo, s8, vcc_lo
	v_cndmask_b32_e32 v1, v1, v2, vcc_lo
	s_or_b32 vcc_lo, s8, s0
	s_delay_alu instid0(VALU_DEP_1)
	v_cndmask_b32_e32 v1, v18, v1, vcc_lo
	s_and_saveexec_b32 s0, s6
	s_cbranch_execz .LBB2_60
; %bb.59:
	v_lshrrev_b32_e32 v2, 3, v0
	s_delay_alu instid0(VALU_DEP_1)
	v_and_b32_e32 v2, 0x7c, v2
	ds_store_b32 v2, v1 offset:128
.LBB2_60:
	s_or_b32 exec_lo, exec_lo, s0
	s_waitcnt lgkmcnt(0)
	s_barrier
	buffer_gl0_inv
	s_and_saveexec_b32 s8, s7
	s_cbranch_execz .LBB2_62
; %bb.61:
	v_lshlrev_b32_e32 v1, 2, v7
	s_add_i32 s0, s28, 31
	s_delay_alu instid0(SALU_CYCLE_1)
	s_lshr_b32 s5, s0, 5
	ds_load_b32 v1, v1 offset:128
	s_waitcnt lgkmcnt(0)
	ds_bpermute_b32 v2, v8, v1
	s_waitcnt lgkmcnt(0)
	v_cmp_lt_f32_e32 vcc_lo, v1, v2
	v_cndmask_b32_e32 v2, v1, v2, vcc_lo
	v_cmp_gt_u32_e32 vcc_lo, s5, v9
	s_delay_alu instid0(VALU_DEP_2) | instskip(SKIP_3) | instid1(VALU_DEP_1)
	v_cndmask_b32_e32 v2, v1, v2, vcc_lo
	ds_bpermute_b32 v3, v10, v2
	s_waitcnt lgkmcnt(0)
	v_cmp_lt_f32_e64 s0, v2, v3
	v_cndmask_b32_e64 v3, v2, v3, s0
	v_cmp_gt_u32_e64 s0, s5, v12
	s_delay_alu instid0(VALU_DEP_1) | instskip(SKIP_4) | instid1(VALU_DEP_1)
	v_cndmask_b32_e64 v2, v2, v3, s0
	s_or_b32 s0, vcc_lo, s0
	ds_bpermute_b32 v3, v11, v2
	s_waitcnt lgkmcnt(0)
	v_cmp_lt_f32_e64 s1, v2, v3
	v_cndmask_b32_e64 v3, v2, v3, s1
	v_cmp_gt_u32_e64 s1, s5, v14
	s_delay_alu instid0(VALU_DEP_1) | instskip(SKIP_4) | instid1(VALU_DEP_1)
	v_cndmask_b32_e64 v2, v2, v3, s1
	s_or_b32 s0, s1, s0
	ds_bpermute_b32 v3, v13, v2
	s_waitcnt lgkmcnt(0)
	v_cmp_lt_f32_e64 s3, v2, v3
	v_cndmask_b32_e64 v3, v2, v3, s3
	v_cmp_gt_u32_e64 s3, s5, v16
	v_cmp_gt_u32_e64 s5, s5, v17
	s_delay_alu instid0(VALU_DEP_2) | instskip(SKIP_4) | instid1(VALU_DEP_1)
	v_cndmask_b32_e64 v2, v2, v3, s3
	s_or_b32 s0, s3, s0
	ds_bpermute_b32 v3, v15, v2
	s_waitcnt lgkmcnt(0)
	v_cmp_lt_f32_e64 s6, v2, v3
	s_and_b32 vcc_lo, s5, s6
	v_cndmask_b32_e32 v2, v2, v3, vcc_lo
	s_or_b32 vcc_lo, s5, s0
	s_delay_alu instid0(VALU_DEP_1)
	v_cndmask_b32_e32 v1, v1, v2, vcc_lo
.LBB2_62:
	s_or_b32 exec_lo, exec_lo, s8
	s_and_saveexec_b32 s0, s4
	s_cbranch_execz .LBB2_66
; %bb.63:
	s_cmp_eq_u64 s[26:27], 0
	s_cbranch_scc1 .LBB2_65
; %bb.64:
	s_load_b32 s1, s[26:27], 0x0
	v_max_f32_e32 v1, v1, v1
	s_waitcnt lgkmcnt(0)
	v_max_f32_e64 v2, s1, s1
	s_delay_alu instid0(VALU_DEP_1)
	v_min_f32_e32 v1, v1, v2
.LBB2_65:
	s_delay_alu instid0(VALU_DEP_1) | instskip(SKIP_2) | instid1(VALU_DEP_2)
	v_div_scale_f32 v2, null, 0x42fe0000, 0x42fe0000, v1
	v_div_scale_f32 v5, vcc_lo, v1, 0x42fe0000, v1
	s_lshl_b64 s[4:5], s[24:25], 2
	v_rcp_f32_e32 v3, v2
	s_add_u32 s4, s14, s4
	s_addc_u32 s5, s15, s5
	s_waitcnt_depctr 0xfff
	v_fma_f32 v4, -v2, v3, 1.0
	s_delay_alu instid0(VALU_DEP_1) | instskip(NEXT) | instid1(VALU_DEP_1)
	v_fmac_f32_e32 v3, v4, v3
	v_mul_f32_e32 v4, v5, v3
	s_delay_alu instid0(VALU_DEP_1) | instskip(NEXT) | instid1(VALU_DEP_1)
	v_fma_f32 v7, -v2, v4, v5
	v_fmac_f32_e32 v4, v7, v3
	s_delay_alu instid0(VALU_DEP_1) | instskip(NEXT) | instid1(VALU_DEP_1)
	v_fma_f32 v2, -v2, v4, v5
	v_div_fmas_f32 v2, v2, v3, v4
	s_delay_alu instid0(VALU_DEP_1) | instskip(NEXT) | instid1(VALU_DEP_1)
	v_div_fixup_f32 v1, v2, 0x42fe0000, v1
	v_dual_mov_b32 v2, 0 :: v_dual_max_f32 v1, 0x34000000, v1
	ds_store_b32 v2, v1 offset:516
	global_store_b32 v2, v1, s[4:5]
.LBB2_66:
	s_or_b32 exec_lo, exec_lo, s0
	s_waitcnt lgkmcnt(0)
	s_waitcnt_vscnt null, 0x0
	s_barrier
	buffer_gl0_inv
	s_and_saveexec_b32 s0, s2
	s_cbranch_execz .LBB2_75
; %bb.67:
	v_mov_b32_e32 v1, 0
	s_add_u32 s0, s12, s10
	s_addc_u32 s1, s13, s11
	s_mul_i32 s2, s28, 3
	s_lshl_b32 s3, s28, 1
	ds_load_b32 v2, v1 offset:516
	s_mov_b32 s4, 0
	s_add_i32 s5, s28, s28
                                        ; implicit-def: $sgpr6
	s_waitcnt lgkmcnt(0)
	v_div_scale_f32 v3, null, v2, v2, 1.0
	v_div_scale_f32 v7, vcc_lo, 1.0, v2, 1.0
	s_delay_alu instid0(VALU_DEP_2) | instskip(SKIP_2) | instid1(VALU_DEP_1)
	v_rcp_f32_e32 v4, v3
	s_waitcnt_depctr 0xfff
	v_fma_f32 v5, -v3, v4, 1.0
	v_fmac_f32_e32 v4, v5, v4
	s_delay_alu instid0(VALU_DEP_1) | instskip(NEXT) | instid1(VALU_DEP_1)
	v_mul_f32_e32 v5, v7, v4
	v_fma_f32 v8, -v3, v5, v7
	s_delay_alu instid0(VALU_DEP_1) | instskip(NEXT) | instid1(VALU_DEP_1)
	v_fmac_f32_e32 v5, v8, v4
	v_fma_f32 v3, -v3, v5, v7
	s_delay_alu instid0(VALU_DEP_1) | instskip(NEXT) | instid1(VALU_DEP_1)
	v_div_fmas_f32 v3, v3, v4, v5
	v_div_fixup_f32 v5, v3, v2, 1.0
	s_branch .LBB2_71
.LBB2_68:                               ;   in Loop: Header=BB2_71 Depth=1
	s_or_b32 exec_lo, exec_lo, s10
	s_delay_alu instid0(SALU_CYCLE_1)
	s_or_not1_b32 s10, s11, exec_lo
.LBB2_69:                               ;   in Loop: Header=BB2_71 Depth=1
	s_or_b32 exec_lo, exec_lo, s8
	s_delay_alu instid0(SALU_CYCLE_1) | instskip(SKIP_1) | instid1(SALU_CYCLE_1)
	s_and_not1_b32 s6, s6, exec_lo
	s_and_b32 s8, s10, exec_lo
	s_or_b32 s6, s6, s8
.LBB2_70:                               ;   in Loop: Header=BB2_71 Depth=1
	s_or_b32 exec_lo, exec_lo, s7
	s_delay_alu instid0(SALU_CYCLE_1) | instskip(NEXT) | instid1(SALU_CYCLE_1)
	s_and_b32 s7, exec_lo, s6
	s_or_b32 s4, s7, s4
	s_delay_alu instid0(SALU_CYCLE_1)
	s_and_not1_b32 exec_lo, exec_lo, s4
	s_cbranch_execz .LBB2_75
.LBB2_71:                               ; =>This Inner Loop Header: Depth=1
	v_lshlrev_b64 v[2:3], 4, v[0:1]
	s_or_b32 s6, s6, exec_lo
	s_mov_b32 s7, exec_lo
	s_delay_alu instid0(VALU_DEP_1) | instskip(NEXT) | instid1(VALU_DEP_2)
	v_add_co_u32 v7, vcc_lo, s9, v2
	v_add_co_ci_u32_e32 v8, vcc_lo, s16, v3, vcc_lo
	v_add_co_u32 v19, vcc_lo, s17, v2
	v_add_co_ci_u32_e32 v20, vcc_lo, s22, v3, vcc_lo
	v_add_co_u32 v2, vcc_lo, s18, v2
	global_load_b128 v[7:10], v[7:8], off
	global_load_b128 v[11:14], v[19:20], off
	v_add_co_ci_u32_e32 v3, vcc_lo, s19, v3, vcc_lo
	global_load_b128 v[15:18], v[2:3], off
	s_waitcnt vmcnt(1)
	v_dual_add_f32 v7, v7, v11 :: v_dual_add_f32 v10, v10, v14
	v_dual_add_f32 v9, v9, v13 :: v_dual_add_f32 v8, v8, v12
	s_delay_alu instid0(VALU_DEP_2) | instskip(NEXT) | instid1(VALU_DEP_2)
	v_mul_f32_e32 v3, v6, v7
	v_mul_f32_e32 v2, v6, v9
	global_store_b128 v[19:20], v[7:10], off
	s_waitcnt vmcnt(0)
	v_dual_mul_f32 v3, v15, v3 :: v_dual_mul_f32 v4, v6, v8
	v_mul_f32_e32 v2, v17, v2
	s_delay_alu instid0(VALU_DEP_2) | instskip(NEXT) | instid1(VALU_DEP_3)
	v_mul_f32_e32 v3, v5, v3
	v_dual_mul_f32 v11, v6, v10 :: v_dual_mul_f32 v4, v16, v4
	s_delay_alu instid0(VALU_DEP_3) | instskip(NEXT) | instid1(VALU_DEP_3)
	v_mul_f32_e32 v2, v5, v2
	v_rndne_f32_e32 v3, v3
	s_delay_alu instid0(VALU_DEP_3) | instskip(NEXT) | instid1(VALU_DEP_3)
	v_mul_f32_e32 v11, v18, v11
	v_rndne_f32_e32 v2, v2
	s_delay_alu instid0(VALU_DEP_1) | instskip(NEXT) | instid1(VALU_DEP_3)
	v_cmp_nlt_f32_e32 vcc_lo, 0x42fe0000, v2
	v_dual_mul_f32 v11, v5, v11 :: v_dual_cndmask_b32 v12, 0x42fe0000, v2
	v_cmp_nlt_f32_e32 vcc_lo, 0x42fe0000, v3
	v_mul_f32_e32 v4, v5, v4
	s_delay_alu instid0(VALU_DEP_3) | instskip(SKIP_1) | instid1(VALU_DEP_3)
	v_rndne_f32_e32 v11, v11
	v_cndmask_b32_e32 v13, 0x42fe0000, v3, vcc_lo
	v_rndne_f32_e32 v4, v4
	s_delay_alu instid0(VALU_DEP_1) | instskip(SKIP_4) | instid1(VALU_DEP_2)
	v_cmp_nlt_f32_e32 vcc_lo, 0x42fe0000, v4
	v_cndmask_b32_e32 v14, 0x42fe0000, v4, vcc_lo
	v_cmp_ngt_f32_e32 vcc_lo, 0xc3000000, v2
	v_cndmask_b32_e32 v2, 0xc3000000, v12, vcc_lo
	v_cmp_nlt_f32_e32 vcc_lo, 0x42fe0000, v11
	v_cvt_i32_f32_e32 v2, v2
	v_cndmask_b32_e32 v12, 0x42fe0000, v11, vcc_lo
	v_cmp_ngt_f32_e32 vcc_lo, 0xc3000000, v4
	s_delay_alu instid0(VALU_DEP_3) | instskip(SKIP_2) | instid1(VALU_DEP_3)
	v_and_b32_e32 v2, 0xff, v2
	v_cndmask_b32_e32 v4, 0xc3000000, v14, vcc_lo
	v_cmp_ngt_f32_e32 vcc_lo, 0xc3000000, v3
	v_lshlrev_b32_e32 v2, 16, v2
	s_delay_alu instid0(VALU_DEP_3) | instskip(SKIP_2) | instid1(VALU_DEP_3)
	v_cvt_i32_f32_e32 v4, v4
	v_cndmask_b32_e32 v3, 0xc3000000, v13, vcc_lo
	v_cmp_ngt_f32_e32 vcc_lo, 0xc3000000, v11
	v_and_b32_e32 v13, 0xff, v4
	v_cndmask_b32_e32 v11, 0xc3000000, v12, vcc_lo
	s_delay_alu instid0(VALU_DEP_4) | instskip(SKIP_1) | instid1(VALU_DEP_4)
	v_cvt_i32_f32_e32 v12, v3
	v_lshlrev_b64 v[3:4], 2, v[0:1]
	v_lshlrev_b32_e32 v13, 8, v13
	s_delay_alu instid0(VALU_DEP_4) | instskip(NEXT) | instid1(VALU_DEP_4)
	v_cvt_i32_f32_e32 v11, v11
	v_and_b32_e32 v12, 0xff, v12
	s_delay_alu instid0(VALU_DEP_4) | instskip(NEXT) | instid1(VALU_DEP_3)
	v_add_co_u32 v3, vcc_lo, s0, v3
	v_lshl_or_b32 v11, v11, 24, v2
	v_add_nc_u32_e32 v2, s28, v0
	v_add_co_ci_u32_e32 v4, vcc_lo, s1, v4, vcc_lo
	s_delay_alu instid0(VALU_DEP_3)
	v_or3_b32 v11, v11, v13, v12
	global_store_b32 v[3:4], v11, off
	v_cmpx_gt_u32_e64 s23, v2
	s_cbranch_execz .LBB2_70
; %bb.72:                               ;   in Loop: Header=BB2_71 Depth=1
	v_mov_b32_e32 v3, v1
	s_mov_b32 s10, -1
	s_mov_b32 s8, exec_lo
	s_delay_alu instid0(VALU_DEP_1) | instskip(NEXT) | instid1(VALU_DEP_1)
	v_lshlrev_b64 v[15:16], 4, v[2:3]
	v_add_co_u32 v7, vcc_lo, s9, v15
	s_delay_alu instid0(VALU_DEP_2)
	v_add_co_ci_u32_e32 v8, vcc_lo, s16, v16, vcc_lo
	v_add_co_u32 v19, vcc_lo, s17, v15
	v_add_co_ci_u32_e32 v20, vcc_lo, s22, v16, vcc_lo
	v_add_co_u32 v15, vcc_lo, s18, v15
	global_load_b128 v[7:10], v[7:8], off
	global_load_b128 v[11:14], v[19:20], off
	v_add_co_ci_u32_e32 v16, vcc_lo, s19, v16, vcc_lo
	global_load_b128 v[15:18], v[15:16], off
	s_waitcnt vmcnt(1)
	v_dual_add_f32 v8, v8, v12 :: v_dual_add_f32 v9, v9, v13
	v_dual_add_f32 v10, v10, v14 :: v_dual_add_f32 v7, v7, v11
	s_delay_alu instid0(VALU_DEP_2) | instskip(NEXT) | instid1(VALU_DEP_2)
	v_mul_f32_e32 v4, v6, v9
	v_mul_f32_e32 v11, v6, v7
	global_store_b128 v[19:20], v[7:10], off
	s_waitcnt vmcnt(0)
	v_mul_f32_e32 v4, v17, v4
	v_dual_mul_f32 v12, v6, v8 :: v_dual_mul_f32 v11, v15, v11
	s_delay_alu instid0(VALU_DEP_2) | instskip(NEXT) | instid1(VALU_DEP_1)
	v_dual_mul_f32 v13, v6, v10 :: v_dual_mul_f32 v4, v5, v4
	v_dual_mul_f32 v12, v16, v12 :: v_dual_mul_f32 v13, v18, v13
	s_delay_alu instid0(VALU_DEP_2) | instskip(NEXT) | instid1(VALU_DEP_1)
	v_rndne_f32_e32 v4, v4
	v_cmp_nlt_f32_e32 vcc_lo, 0x42fe0000, v4
	v_dual_mul_f32 v11, v5, v11 :: v_dual_cndmask_b32 v14, 0x42fe0000, v4
	s_delay_alu instid0(VALU_DEP_1) | instskip(NEXT) | instid1(VALU_DEP_1)
	v_rndne_f32_e32 v11, v11
	v_cmp_nlt_f32_e32 vcc_lo, 0x42fe0000, v11
	v_dual_mul_f32 v12, v5, v12 :: v_dual_cndmask_b32 v15, 0x42fe0000, v11
	s_delay_alu instid0(VALU_DEP_1) | instskip(NEXT) | instid1(VALU_DEP_1)
	v_rndne_f32_e32 v12, v12
	v_cmp_nlt_f32_e32 vcc_lo, 0x42fe0000, v12
	v_dual_mul_f32 v13, v5, v13 :: v_dual_cndmask_b32 v16, 0x42fe0000, v12
	s_delay_alu instid0(VALU_DEP_1) | instskip(SKIP_2) | instid1(VALU_DEP_3)
	v_rndne_f32_e32 v13, v13
	v_cmp_ngt_f32_e32 vcc_lo, 0xc3000000, v4
	v_cndmask_b32_e32 v4, 0xc3000000, v14, vcc_lo
	v_cmp_nlt_f32_e32 vcc_lo, 0x42fe0000, v13
	v_cndmask_b32_e32 v14, 0x42fe0000, v13, vcc_lo
	v_cmp_ngt_f32_e32 vcc_lo, 0xc3000000, v12
	v_cndmask_b32_e32 v12, 0xc3000000, v16, vcc_lo
	v_cmp_ngt_f32_e32 vcc_lo, 0xc3000000, v11
	s_delay_alu instid0(VALU_DEP_2) | instskip(SKIP_2) | instid1(VALU_DEP_3)
	v_cvt_i32_f32_e32 v12, v12
	v_cndmask_b32_e32 v11, 0xc3000000, v15, vcc_lo
	v_cmp_ngt_f32_e32 vcc_lo, 0xc3000000, v13
	v_and_b32_e32 v15, 0xff, v12
	v_cndmask_b32_e32 v13, 0xc3000000, v14, vcc_lo
	s_delay_alu instid0(VALU_DEP_2) | instskip(SKIP_1) | instid1(VALU_DEP_3)
	v_lshlrev_b32_e32 v15, 8, v15
	v_cvt_i32_f32_e32 v4, v4
	v_cvt_i32_f32_e32 v13, v13
	s_delay_alu instid0(VALU_DEP_2) | instskip(NEXT) | instid1(VALU_DEP_1)
	v_and_b32_e32 v4, 0xff, v4
	v_lshlrev_b32_e32 v4, 16, v4
	v_cvt_i32_f32_e32 v14, v11
	v_lshlrev_b64 v[11:12], 2, v[2:3]
	v_add_nc_u32_e32 v3, s3, v0
	s_delay_alu instid0(VALU_DEP_4) | instskip(NEXT) | instid1(VALU_DEP_4)
	v_lshl_or_b32 v4, v13, 24, v4
	v_and_b32_e32 v14, 0xff, v14
	s_delay_alu instid0(VALU_DEP_4) | instskip(SKIP_1) | instid1(VALU_DEP_3)
	v_add_co_u32 v11, vcc_lo, s0, v11
	v_add_co_ci_u32_e32 v12, vcc_lo, s1, v12, vcc_lo
	v_or3_b32 v4, v4, v15, v14
	global_store_b32 v[11:12], v4, off
	v_cmpx_gt_u32_e64 s23, v3
	s_cbranch_execz .LBB2_69
; %bb.73:                               ;   in Loop: Header=BB2_71 Depth=1
	v_mov_b32_e32 v4, v1
	v_add_nc_u32_e32 v0, s2, v0
	s_mov_b32 s11, -1
	s_mov_b32 s10, exec_lo
	s_delay_alu instid0(VALU_DEP_2) | instskip(NEXT) | instid1(VALU_DEP_1)
	v_lshlrev_b64 v[15:16], 4, v[3:4]
	v_add_co_u32 v7, vcc_lo, s9, v15
	s_delay_alu instid0(VALU_DEP_2)
	v_add_co_ci_u32_e32 v8, vcc_lo, s16, v16, vcc_lo
	v_add_co_u32 v19, vcc_lo, s17, v15
	v_add_co_ci_u32_e32 v20, vcc_lo, s22, v16, vcc_lo
	v_add_co_u32 v15, vcc_lo, s18, v15
	global_load_b128 v[7:10], v[7:8], off
	global_load_b128 v[11:14], v[19:20], off
	v_add_co_ci_u32_e32 v16, vcc_lo, s19, v16, vcc_lo
	global_load_b128 v[15:18], v[15:16], off
	s_waitcnt vmcnt(1)
	v_add_f32_e32 v7, v7, v11
	v_dual_add_f32 v9, v9, v13 :: v_dual_add_f32 v8, v8, v12
	v_lshlrev_b64 v[3:4], 2, v[3:4]
	s_delay_alu instid0(VALU_DEP_2) | instskip(SKIP_1) | instid1(VALU_DEP_1)
	v_mul_f32_e32 v13, v6, v8
	s_waitcnt vmcnt(0)
	v_dual_mul_f32 v12, v6, v7 :: v_dual_mul_f32 v13, v16, v13
	s_delay_alu instid0(VALU_DEP_1) | instskip(NEXT) | instid1(VALU_DEP_2)
	v_dual_mul_f32 v11, v6, v9 :: v_dual_mul_f32 v12, v15, v12
	v_dual_add_f32 v10, v10, v14 :: v_dual_mul_f32 v13, v5, v13
	s_delay_alu instid0(VALU_DEP_1) | instskip(SKIP_3) | instid1(VALU_DEP_1)
	v_dual_mul_f32 v11, v17, v11 :: v_dual_mul_f32 v14, v6, v10
	global_store_b128 v[19:20], v[7:10], off
	v_rndne_f32_e32 v13, v13
	v_dual_mul_f32 v11, v5, v11 :: v_dual_mul_f32 v14, v18, v14
	v_rndne_f32_e32 v11, v11
	s_delay_alu instid0(VALU_DEP_2) | instskip(NEXT) | instid1(VALU_DEP_2)
	v_mul_f32_e32 v14, v5, v14
	v_cmp_nlt_f32_e32 vcc_lo, 0x42fe0000, v11
	v_mul_f32_e32 v12, v5, v12
	s_delay_alu instid0(VALU_DEP_3) | instskip(SKIP_1) | instid1(VALU_DEP_3)
	v_rndne_f32_e32 v14, v14
	v_cndmask_b32_e32 v15, 0x42fe0000, v11, vcc_lo
	v_rndne_f32_e32 v12, v12
	s_delay_alu instid0(VALU_DEP_1)
	v_cmp_nlt_f32_e32 vcc_lo, 0x42fe0000, v12
	v_cndmask_b32_e32 v16, 0x42fe0000, v12, vcc_lo
	v_cmp_nlt_f32_e32 vcc_lo, 0x42fe0000, v13
	v_cndmask_b32_e32 v17, 0x42fe0000, v13, vcc_lo
	v_cmp_ngt_f32_e32 vcc_lo, 0xc3000000, v11
	v_cndmask_b32_e32 v11, 0xc3000000, v15, vcc_lo
	v_cmp_nlt_f32_e32 vcc_lo, 0x42fe0000, v14
	s_delay_alu instid0(VALU_DEP_2) | instskip(SKIP_2) | instid1(VALU_DEP_3)
	v_cvt_i32_f32_e32 v11, v11
	v_cndmask_b32_e32 v15, 0x42fe0000, v14, vcc_lo
	v_cmp_ngt_f32_e32 vcc_lo, 0xc3000000, v13
	v_and_b32_e32 v11, 0xff, v11
	v_cndmask_b32_e32 v13, 0xc3000000, v17, vcc_lo
	v_cmp_ngt_f32_e32 vcc_lo, 0xc3000000, v12
	s_delay_alu instid0(VALU_DEP_3) | instskip(NEXT) | instid1(VALU_DEP_3)
	v_lshlrev_b32_e32 v11, 16, v11
	v_cvt_i32_f32_e32 v13, v13
	s_delay_alu instid0(VALU_DEP_1) | instskip(SKIP_2) | instid1(VALU_DEP_3)
	v_and_b32_e32 v13, 0xff, v13
	v_cndmask_b32_e32 v12, 0xc3000000, v16, vcc_lo
	v_cmp_ngt_f32_e32 vcc_lo, 0xc3000000, v14
	v_lshlrev_b32_e32 v13, 8, v13
	s_delay_alu instid0(VALU_DEP_3) | instskip(SKIP_3) | instid1(VALU_DEP_3)
	v_cvt_i32_f32_e32 v12, v12
	v_cndmask_b32_e32 v14, 0xc3000000, v15, vcc_lo
	v_add_co_u32 v3, vcc_lo, s0, v3
	v_add_co_ci_u32_e32 v4, vcc_lo, s1, v4, vcc_lo
	v_cvt_i32_f32_e32 v14, v14
	v_and_b32_e32 v12, 0xff, v12
	s_delay_alu instid0(VALU_DEP_2) | instskip(NEXT) | instid1(VALU_DEP_1)
	v_lshl_or_b32 v11, v14, 24, v11
	v_or3_b32 v11, v11, v13, v12
	global_store_b32 v[3:4], v11, off
	v_cmpx_gt_u32_e64 s23, v0
	s_cbranch_execz .LBB2_68
; %bb.74:                               ;   in Loop: Header=BB2_71 Depth=1
	v_lshlrev_b64 v[3:4], 4, v[0:1]
	s_delay_alu instid0(VALU_DEP_1) | instskip(NEXT) | instid1(VALU_DEP_2)
	v_add_co_u32 v7, vcc_lo, s9, v3
	v_add_co_ci_u32_e32 v8, vcc_lo, s16, v4, vcc_lo
	v_add_co_u32 v19, vcc_lo, s17, v3
	v_add_co_ci_u32_e32 v20, vcc_lo, s22, v4, vcc_lo
	v_add_co_u32 v3, vcc_lo, s18, v3
	global_load_b128 v[7:10], v[7:8], off
	global_load_b128 v[11:14], v[19:20], off
	v_add_co_ci_u32_e32 v4, vcc_lo, s19, v4, vcc_lo
	global_load_b128 v[15:18], v[3:4], off
	s_waitcnt vmcnt(1)
	v_dual_add_f32 v7, v7, v11 :: v_dual_add_f32 v10, v10, v14
	v_dual_add_f32 v9, v9, v13 :: v_dual_add_f32 v8, v8, v12
	s_delay_alu instid0(VALU_DEP_2) | instskip(NEXT) | instid1(VALU_DEP_2)
	v_mul_f32_e32 v4, v6, v7
	v_mul_f32_e32 v3, v6, v9
	global_store_b128 v[19:20], v[7:10], off
	s_waitcnt vmcnt(0)
	v_mul_f32_e32 v4, v15, v4
	v_dual_mul_f32 v12, v6, v10 :: v_dual_mul_f32 v3, v17, v3
	s_delay_alu instid0(VALU_DEP_2) | instskip(NEXT) | instid1(VALU_DEP_2)
	v_mul_f32_e32 v4, v5, v4
	v_mul_f32_e32 v12, v18, v12
	s_delay_alu instid0(VALU_DEP_2) | instskip(NEXT) | instid1(VALU_DEP_4)
	v_rndne_f32_e32 v4, v4
	v_mul_f32_e32 v3, v5, v3
	s_delay_alu instid0(VALU_DEP_1) | instskip(NEXT) | instid1(VALU_DEP_1)
	v_rndne_f32_e32 v3, v3
	v_cmp_nlt_f32_e32 vcc_lo, 0x42fe0000, v3
	v_cndmask_b32_e32 v13, 0x42fe0000, v3, vcc_lo
	v_cmp_nlt_f32_e32 vcc_lo, 0x42fe0000, v4
	v_cndmask_b32_e32 v14, 0x42fe0000, v4, vcc_lo
	v_mul_f32_e32 v11, v6, v8
	s_delay_alu instid0(VALU_DEP_1) | instskip(NEXT) | instid1(VALU_DEP_1)
	v_mul_f32_e32 v11, v16, v11
	v_mul_f32_e32 v11, v5, v11
	s_delay_alu instid0(VALU_DEP_1) | instskip(NEXT) | instid1(VALU_DEP_1)
	v_rndne_f32_e32 v11, v11
	v_cmp_nlt_f32_e32 vcc_lo, 0x42fe0000, v11
	v_dual_mul_f32 v12, v5, v12 :: v_dual_cndmask_b32 v15, 0x42fe0000, v11
	v_cmp_ngt_f32_e32 vcc_lo, 0xc3000000, v3
	s_delay_alu instid0(VALU_DEP_2) | instskip(SKIP_1) | instid1(VALU_DEP_2)
	v_rndne_f32_e32 v12, v12
	v_cndmask_b32_e32 v3, 0xc3000000, v13, vcc_lo
	v_cmp_nlt_f32_e32 vcc_lo, 0x42fe0000, v12
	s_delay_alu instid0(VALU_DEP_2) | instskip(NEXT) | instid1(VALU_DEP_1)
	v_cvt_i32_f32_e32 v3, v3
	v_and_b32_e32 v3, 0xff, v3
	v_cndmask_b32_e32 v13, 0x42fe0000, v12, vcc_lo
	v_cmp_ngt_f32_e32 vcc_lo, 0xc3000000, v11
	v_cndmask_b32_e32 v11, 0xc3000000, v15, vcc_lo
	v_cmp_ngt_f32_e32 vcc_lo, 0xc3000000, v4
	s_delay_alu instid0(VALU_DEP_2) | instskip(SKIP_3) | instid1(VALU_DEP_4)
	v_cvt_i32_f32_e32 v11, v11
	v_cndmask_b32_e32 v4, 0xc3000000, v14, vcc_lo
	v_lshlrev_b32_e32 v14, 16, v3
	v_cmp_ngt_f32_e32 vcc_lo, 0xc3000000, v12
	v_and_b32_e32 v11, 0xff, v11
	v_cndmask_b32_e32 v12, 0xc3000000, v13, vcc_lo
	v_cvt_i32_f32_e32 v13, v4
	v_lshlrev_b64 v[3:4], 2, v[0:1]
	v_add3_u32 v0, s5, s28, v2
	v_lshlrev_b32_e32 v11, 8, v11
	v_cvt_i32_f32_e32 v12, v12
	v_and_b32_e32 v13, 0xff, v13
	v_add_co_u32 v2, vcc_lo, s0, v3
	s_delay_alu instid0(VALU_DEP_3) | instskip(SKIP_2) | instid1(VALU_DEP_3)
	v_lshl_or_b32 v12, v12, 24, v14
	v_add_co_ci_u32_e32 v3, vcc_lo, s1, v4, vcc_lo
	v_cmp_le_u32_e32 vcc_lo, s23, v0
	v_or3_b32 v4, v12, v11, v13
	s_or_not1_b32 s11, vcc_lo, exec_lo
	global_store_b32 v[2:3], v4, off
	s_branch .LBB2_68
.LBB2_75:
	s_nop 0
	s_sendmsg sendmsg(MSG_DEALLOC_VGPRS)
	s_endpgm
	.section	.rodata,"a",@progbits
	.p2align	6, 0x0
	.amdhsa_kernel _ZN4vllm39rms_norm_dynamic_per_token_quant_kernelIfaLb1EEEvPT0_PfPKT_S6_PKffiiPS4_
		.amdhsa_group_segment_fixed_size 528
		.amdhsa_private_segment_fixed_size 0
		.amdhsa_kernarg_size 320
		.amdhsa_user_sgpr_count 15
		.amdhsa_user_sgpr_dispatch_ptr 0
		.amdhsa_user_sgpr_queue_ptr 0
		.amdhsa_user_sgpr_kernarg_segment_ptr 1
		.amdhsa_user_sgpr_dispatch_id 0
		.amdhsa_user_sgpr_private_segment_size 0
		.amdhsa_wavefront_size32 1
		.amdhsa_uses_dynamic_stack 0
		.amdhsa_enable_private_segment 0
		.amdhsa_system_sgpr_workgroup_id_x 1
		.amdhsa_system_sgpr_workgroup_id_y 0
		.amdhsa_system_sgpr_workgroup_id_z 0
		.amdhsa_system_sgpr_workgroup_info 0
		.amdhsa_system_vgpr_workitem_id 0
		.amdhsa_next_free_vgpr 31
		.amdhsa_next_free_sgpr 38
		.amdhsa_reserve_vcc 1
		.amdhsa_float_round_mode_32 0
		.amdhsa_float_round_mode_16_64 0
		.amdhsa_float_denorm_mode_32 3
		.amdhsa_float_denorm_mode_16_64 3
		.amdhsa_dx10_clamp 1
		.amdhsa_ieee_mode 1
		.amdhsa_fp16_overflow 0
		.amdhsa_workgroup_processor_mode 1
		.amdhsa_memory_ordered 1
		.amdhsa_forward_progress 0
		.amdhsa_shared_vgpr_count 0
		.amdhsa_exception_fp_ieee_invalid_op 0
		.amdhsa_exception_fp_denorm_src 0
		.amdhsa_exception_fp_ieee_div_zero 0
		.amdhsa_exception_fp_ieee_overflow 0
		.amdhsa_exception_fp_ieee_underflow 0
		.amdhsa_exception_fp_ieee_inexact 0
		.amdhsa_exception_int_div_zero 0
	.end_amdhsa_kernel
	.section	.text._ZN4vllm39rms_norm_dynamic_per_token_quant_kernelIfaLb1EEEvPT0_PfPKT_S6_PKffiiPS4_,"axG",@progbits,_ZN4vllm39rms_norm_dynamic_per_token_quant_kernelIfaLb1EEEvPT0_PfPKT_S6_PKffiiPS4_,comdat
.Lfunc_end2:
	.size	_ZN4vllm39rms_norm_dynamic_per_token_quant_kernelIfaLb1EEEvPT0_PfPKT_S6_PKffiiPS4_, .Lfunc_end2-_ZN4vllm39rms_norm_dynamic_per_token_quant_kernelIfaLb1EEEvPT0_PfPKT_S6_PKffiiPS4_
                                        ; -- End function
	.section	.AMDGPU.csdata,"",@progbits
; Kernel info:
; codeLenInByte = 8032
; NumSgprs: 40
; NumVgprs: 31
; ScratchSize: 0
; MemoryBound: 0
; FloatMode: 240
; IeeeMode: 1
; LDSByteSize: 528 bytes/workgroup (compile time only)
; SGPRBlocks: 4
; VGPRBlocks: 3
; NumSGPRsForWavesPerEU: 40
; NumVGPRsForWavesPerEU: 31
; Occupancy: 16
; WaveLimiterHint : 0
; COMPUTE_PGM_RSRC2:SCRATCH_EN: 0
; COMPUTE_PGM_RSRC2:USER_SGPR: 15
; COMPUTE_PGM_RSRC2:TRAP_HANDLER: 0
; COMPUTE_PGM_RSRC2:TGID_X_EN: 1
; COMPUTE_PGM_RSRC2:TGID_Y_EN: 0
; COMPUTE_PGM_RSRC2:TGID_Z_EN: 0
; COMPUTE_PGM_RSRC2:TIDIG_COMP_CNT: 0
	.section	.text._ZN4vllm39rms_norm_dynamic_per_token_quant_kernelIfN3c1013Float8_e4m3fnELb0EEEvPT0_PfPKT_S8_PKffiiPS6_,"axG",@progbits,_ZN4vllm39rms_norm_dynamic_per_token_quant_kernelIfN3c1013Float8_e4m3fnELb0EEEvPT0_PfPKT_S8_PKffiiPS6_,comdat
	.protected	_ZN4vllm39rms_norm_dynamic_per_token_quant_kernelIfN3c1013Float8_e4m3fnELb0EEEvPT0_PfPKT_S8_PKffiiPS6_ ; -- Begin function _ZN4vllm39rms_norm_dynamic_per_token_quant_kernelIfN3c1013Float8_e4m3fnELb0EEEvPT0_PfPKT_S8_PKffiiPS6_
	.globl	_ZN4vllm39rms_norm_dynamic_per_token_quant_kernelIfN3c1013Float8_e4m3fnELb0EEEvPT0_PfPKT_S8_PKffiiPS6_
	.p2align	8
	.type	_ZN4vllm39rms_norm_dynamic_per_token_quant_kernelIfN3c1013Float8_e4m3fnELb0EEEvPT0_PfPKT_S8_PKffiiPS6_,@function
_ZN4vllm39rms_norm_dynamic_per_token_quant_kernelIfN3c1013Float8_e4m3fnELb0EEEvPT0_PfPKT_S8_PKffiiPS6_: ; @_ZN4vllm39rms_norm_dynamic_per_token_quant_kernelIfN3c1013Float8_e4m3fnELb0EEEvPT0_PfPKT_S8_PKffiiPS6_
; %bb.0:
	s_mov_b32 s24, s15
	s_clause 0x2
	s_load_b128 s[20:23], s[0:1], 0x28
	s_load_b64 s[26:27], s[0:1], 0x20
	s_load_b256 s[12:19], s[0:1], 0x0
	s_waitcnt lgkmcnt(0)
	s_or_b32 s2, s22, s21
	s_delay_alu instid0(SALU_CYCLE_1) | instskip(NEXT) | instid1(SALU_CYCLE_1)
	s_and_b32 s2, s2, 3
	s_cmp_lg_u32 s2, 0
	s_cbranch_scc0 .LBB3_37
; %bb.1:
	v_cmp_gt_u32_e64 s2, s21, v0
	v_cmp_le_u32_e64 s3, s21, v0
                                        ; implicit-def: $sgpr7
                                        ; implicit-def: $sgpr4_sgpr5
	s_delay_alu instid0(VALU_DEP_1) | instskip(NEXT) | instid1(SALU_CYCLE_1)
	s_and_saveexec_b32 s6, s3
	s_xor_b32 s6, exec_lo, s6
; %bb.2:
	s_add_u32 s4, s0, 64
	s_addc_u32 s5, s1, 0
	s_mov_b32 s7, 0
; %bb.3:
	s_or_saveexec_b32 s6, s6
	v_dual_mov_b32 v1, s4 :: v_dual_mov_b32 v4, s24
	v_dual_mov_b32 v3, s7 :: v_dual_mov_b32 v2, s5
	s_xor_b32 exec_lo, exec_lo, s6
	s_cbranch_execz .LBB3_7
; %bb.4:
	s_load_b32 s9, s[0:1], 0x4c
	s_ashr_i32 s5, s22, 31
	s_mul_hi_u32 s7, s22, s24
	s_mul_i32 s5, s5, s24
	s_mul_i32 s4, s22, s24
	s_add_i32 s5, s7, s5
	v_dual_mov_b32 v2, 0 :: v_dual_mov_b32 v3, 0
	s_lshl_b64 s[4:5], s[4:5], 2
	v_mov_b32_e32 v1, v0
	s_add_u32 s7, s16, s4
	s_addc_u32 s8, s17, s5
	s_add_u32 s4, s0, 64
	s_addc_u32 s5, s1, 0
	s_waitcnt lgkmcnt(0)
	s_and_b32 s10, s9, 0xffff
	s_mov_b32 s9, 0
.LBB3_5:                                ; =>This Inner Loop Header: Depth=1
	v_lshlrev_b64 v[4:5], 2, v[1:2]
	v_add_nc_u32_e32 v1, s10, v1
	s_delay_alu instid0(VALU_DEP_2) | instskip(NEXT) | instid1(VALU_DEP_3)
	v_add_co_u32 v4, vcc_lo, s7, v4
	v_add_co_ci_u32_e32 v5, vcc_lo, s8, v5, vcc_lo
	s_delay_alu instid0(VALU_DEP_3)
	v_cmp_le_u32_e32 vcc_lo, s21, v1
	global_load_b32 v4, v[4:5], off
	s_or_b32 s9, vcc_lo, s9
	s_waitcnt vmcnt(0)
	v_fmac_f32_e32 v3, v4, v4
	s_and_not1_b32 exec_lo, exec_lo, s9
	s_cbranch_execnz .LBB3_5
; %bb.6:
	s_or_b32 exec_lo, exec_lo, s9
	v_dual_mov_b32 v1, s4 :: v_dual_mov_b32 v2, s5
	v_mov_b32_e32 v4, s24
.LBB3_7:
	s_or_b32 exec_lo, exec_lo, s6
	global_load_b32 v5, v[1:2], off
	v_and_b32_e32 v14, 0x3e0, v0
	s_waitcnt vmcnt(0)
	v_cmp_lt_u32_e32 vcc_lo, v4, v5
	v_cndmask_b32_e64 v4, 18, 12, vcc_lo
	s_delay_alu instid0(VALU_DEP_1) | instskip(SKIP_3) | instid1(VALU_DEP_1)
	v_add_co_u32 v1, vcc_lo, v1, v4
	v_add_co_ci_u32_e32 v2, vcc_lo, 0, v2, vcc_lo
	global_load_u16 v1, v[1:2], off
	v_mbcnt_lo_u32_b32 v2, -1, 0
	v_cmp_ne_u32_e32 vcc_lo, 31, v2
	v_add_nc_u32_e32 v5, 1, v2
	v_cmp_eq_u32_e64 s5, 0, v2
	v_add_co_ci_u32_e32 v4, vcc_lo, 0, v2, vcc_lo
	v_cmp_gt_u32_e32 vcc_lo, 30, v2
	s_delay_alu instid0(VALU_DEP_2) | instskip(SKIP_4) | instid1(VALU_DEP_1)
	v_lshlrev_b32_e32 v4, 2, v4
	v_cndmask_b32_e64 v7, 0, 1, vcc_lo
	ds_bpermute_b32 v6, v4, v3
	s_waitcnt lgkmcnt(0)
	v_dual_add_f32 v8, v3, v6 :: v_dual_lshlrev_b32 v7, 1, v7
	v_add_lshl_u32 v6, v7, v2, 2
	s_waitcnt vmcnt(0)
	v_sub_nc_u32_e64 v15, v1, v14 clamp
	s_delay_alu instid0(VALU_DEP_1) | instskip(SKIP_3) | instid1(VALU_DEP_1)
	v_cmp_lt_u32_e32 vcc_lo, v5, v15
	v_cndmask_b32_e32 v3, v3, v8, vcc_lo
	v_cmp_gt_u32_e32 vcc_lo, 28, v2
	v_cndmask_b32_e64 v8, 0, 1, vcc_lo
	v_lshlrev_b32_e32 v9, 2, v8
	v_add_nc_u32_e32 v8, 2, v2
	ds_bpermute_b32 v7, v6, v3
	v_cmp_lt_u32_e32 vcc_lo, v8, v15
	s_waitcnt lgkmcnt(0)
	v_add_f32_e32 v10, v3, v7
	v_add_lshl_u32 v7, v9, v2, 2
	s_delay_alu instid0(VALU_DEP_2) | instskip(SKIP_4) | instid1(VALU_DEP_1)
	v_cndmask_b32_e32 v3, v3, v10, vcc_lo
	v_cmp_gt_u32_e32 vcc_lo, 24, v2
	ds_bpermute_b32 v9, v7, v3
	v_cndmask_b32_e64 v10, 0, 1, vcc_lo
	s_waitcnt lgkmcnt(0)
	v_dual_add_f32 v12, v3, v9 :: v_dual_lshlrev_b32 v11, 3, v10
	v_add_nc_u32_e32 v10, 4, v2
	s_delay_alu instid0(VALU_DEP_2) | instskip(NEXT) | instid1(VALU_DEP_2)
	v_add_lshl_u32 v9, v11, v2, 2
	v_cmp_lt_u32_e32 vcc_lo, v10, v15
	s_delay_alu instid0(VALU_DEP_4) | instskip(SKIP_4) | instid1(VALU_DEP_1)
	v_cndmask_b32_e32 v3, v3, v12, vcc_lo
	v_cmp_gt_u32_e32 vcc_lo, 16, v2
	ds_bpermute_b32 v11, v9, v3
	v_cndmask_b32_e64 v12, 0, 1, vcc_lo
	s_waitcnt lgkmcnt(0)
	v_dual_add_f32 v16, v3, v11 :: v_dual_lshlrev_b32 v13, 4, v12
	v_add_nc_u32_e32 v12, 8, v2
	s_delay_alu instid0(VALU_DEP_2) | instskip(NEXT) | instid1(VALU_DEP_2)
	v_add_lshl_u32 v11, v13, v2, 2
	v_cmp_lt_u32_e32 vcc_lo, v12, v15
	s_delay_alu instid0(VALU_DEP_4) | instskip(SKIP_3) | instid1(VALU_DEP_1)
	v_cndmask_b32_e32 v3, v3, v16, vcc_lo
	ds_bpermute_b32 v16, v11, v3
	s_waitcnt lgkmcnt(0)
	v_dual_add_f32 v16, v3, v16 :: v_dual_add_nc_u32 v13, 16, v2
	v_cmp_lt_u32_e32 vcc_lo, v13, v15
	s_delay_alu instid0(VALU_DEP_2)
	v_cndmask_b32_e32 v3, v3, v16, vcc_lo
	s_and_saveexec_b32 s4, s5
	s_cbranch_execz .LBB3_9
; %bb.8:
	v_lshrrev_b32_e32 v15, 3, v0
	s_delay_alu instid0(VALU_DEP_1)
	v_and_b32_e32 v15, 0x7c, v15
	ds_store_b32 v15, v3 offset:256
.LBB3_9:
	s_or_b32 exec_lo, exec_lo, s4
	v_cmp_gt_u32_e64 s6, 32, v0
	v_lshlrev_b32_e32 v15, 2, v2
	s_waitcnt lgkmcnt(0)
	s_barrier
	buffer_gl0_inv
	s_and_saveexec_b32 s4, s6
	s_cbranch_execz .LBB3_11
; %bb.10:
	ds_load_b32 v2, v15 offset:256
	s_waitcnt lgkmcnt(0)
	ds_bpermute_b32 v3, v4, v2
	s_waitcnt lgkmcnt(0)
	v_add_f32_e32 v3, v2, v3
	v_add_nc_u32_e32 v1, 31, v1
	s_delay_alu instid0(VALU_DEP_1) | instskip(NEXT) | instid1(VALU_DEP_1)
	v_lshrrev_b32_e32 v1, 5, v1
	v_cmp_lt_u32_e32 vcc_lo, v5, v1
	s_delay_alu instid0(VALU_DEP_4) | instskip(SKIP_4) | instid1(VALU_DEP_1)
	v_cndmask_b32_e32 v2, v2, v3, vcc_lo
	v_cmp_lt_u32_e32 vcc_lo, v8, v1
	ds_bpermute_b32 v3, v6, v2
	s_waitcnt lgkmcnt(0)
	v_add_f32_e32 v3, v2, v3
	v_cndmask_b32_e32 v2, v2, v3, vcc_lo
	v_cmp_lt_u32_e32 vcc_lo, v10, v1
	ds_bpermute_b32 v3, v7, v2
	s_waitcnt lgkmcnt(0)
	v_add_f32_e32 v3, v2, v3
	s_delay_alu instid0(VALU_DEP_1) | instskip(SKIP_4) | instid1(VALU_DEP_1)
	v_cndmask_b32_e32 v2, v2, v3, vcc_lo
	v_cmp_lt_u32_e32 vcc_lo, v12, v1
	ds_bpermute_b32 v3, v9, v2
	s_waitcnt lgkmcnt(0)
	v_add_f32_e32 v3, v2, v3
	v_cndmask_b32_e32 v2, v2, v3, vcc_lo
	v_cmp_lt_u32_e32 vcc_lo, v13, v1
	ds_bpermute_b32 v3, v11, v2
	s_waitcnt lgkmcnt(0)
	v_add_f32_e32 v3, v2, v3
	s_delay_alu instid0(VALU_DEP_1)
	v_cndmask_b32_e32 v3, v2, v3, vcc_lo
.LBB3_11:
	s_or_b32 exec_lo, exec_lo, s4
	v_cmp_eq_u32_e64 s4, 0, v0
	s_mov_b32 s25, 0
	s_delay_alu instid0(VALU_DEP_1)
	s_and_saveexec_b32 s7, s4
	s_cbranch_execz .LBB3_13
; %bb.12:
	v_cvt_f32_i32_e32 v1, s21
	s_delay_alu instid0(VALU_DEP_1) | instskip(SKIP_1) | instid1(VALU_DEP_2)
	v_div_scale_f32 v2, null, v1, v1, v3
	v_div_scale_f32 v18, vcc_lo, v3, v1, v3
	v_rcp_f32_e32 v16, v2
	s_waitcnt_depctr 0xfff
	v_fma_f32 v17, -v2, v16, 1.0
	s_delay_alu instid0(VALU_DEP_1) | instskip(NEXT) | instid1(VALU_DEP_1)
	v_fmac_f32_e32 v16, v17, v16
	v_mul_f32_e32 v17, v18, v16
	s_delay_alu instid0(VALU_DEP_1) | instskip(NEXT) | instid1(VALU_DEP_1)
	v_fma_f32 v19, -v2, v17, v18
	v_fmac_f32_e32 v17, v19, v16
	s_delay_alu instid0(VALU_DEP_1) | instskip(NEXT) | instid1(VALU_DEP_1)
	v_fma_f32 v2, -v2, v17, v18
	v_div_fmas_f32 v2, v2, v16, v17
	s_delay_alu instid0(VALU_DEP_1) | instskip(NEXT) | instid1(VALU_DEP_1)
	v_div_fixup_f32 v1, v2, v1, v3
	v_add_f32_e32 v1, s20, v1
	s_delay_alu instid0(VALU_DEP_1) | instskip(SKIP_1) | instid1(VALU_DEP_2)
	v_mul_f32_e32 v2, 0x4b800000, v1
	v_cmp_gt_f32_e32 vcc_lo, 0x800000, v1
	v_cndmask_b32_e32 v1, v1, v2, vcc_lo
	s_delay_alu instid0(VALU_DEP_1) | instskip(SKIP_2) | instid1(VALU_DEP_1)
	v_rsq_f32_e32 v1, v1
	s_waitcnt_depctr 0xfff
	v_mul_f32_e32 v2, 0x45800000, v1
	v_dual_cndmask_b32 v1, v1, v2 :: v_dual_mov_b32 v2, 0
	ds_store_b32 v2, v1 offset:520
.LBB3_13:
	s_or_b32 exec_lo, exec_lo, s7
	v_mov_b32_e32 v1, 0
	s_waitcnt lgkmcnt(0)
	s_barrier
	buffer_gl0_inv
                                        ; implicit-def: $sgpr7
                                        ; implicit-def: $sgpr8_sgpr9
	ds_load_b32 v3, v1 offset:520
	s_waitcnt lgkmcnt(0)
	s_barrier
	buffer_gl0_inv
	s_and_saveexec_b32 s10, s3
	s_delay_alu instid0(SALU_CYCLE_1)
	s_xor_b32 s3, exec_lo, s10
; %bb.14:
	s_add_u32 s8, s0, 64
	s_addc_u32 s9, s1, 0
	s_mov_b32 s7, 0
; %bb.15:
	s_or_saveexec_b32 s3, s3
	v_dual_mov_b32 v16, s7 :: v_dual_mov_b32 v1, s8
	v_mov_b32_e32 v2, s9
	s_mul_hi_u32 s11, s22, s24
	s_mul_i32 s28, s22, s24
	s_xor_b32 exec_lo, exec_lo, s3
	s_cbranch_execz .LBB3_19
; %bb.16:
	s_load_b32 s23, s[0:1], 0x4c
	s_ashr_i32 s7, s22, 31
	v_dual_mov_b32 v2, 0 :: v_dual_mov_b32 v1, v0
	s_mul_i32 s7, s7, s24
	v_mov_b32_e32 v16, 0
	s_add_i32 s29, s11, s7
	s_delay_alu instid0(SALU_CYCLE_1) | instskip(NEXT) | instid1(SALU_CYCLE_1)
	s_lshl_b64 s[8:9], s[28:29], 2
	s_add_u32 s7, s16, s8
	s_addc_u32 s10, s17, s9
	s_add_u32 s8, s0, 64
	s_addc_u32 s9, s1, 0
	s_waitcnt lgkmcnt(0)
	s_and_b32 s29, s23, 0xffff
	s_mov_b32 s23, 0
	.p2align	6
.LBB3_17:                               ; =>This Inner Loop Header: Depth=1
	v_lshlrev_b64 v[17:18], 2, v[1:2]
	v_add_nc_u32_e32 v1, s29, v1
	s_delay_alu instid0(VALU_DEP_2) | instskip(NEXT) | instid1(VALU_DEP_3)
	v_add_co_u32 v19, vcc_lo, s7, v17
	v_add_co_ci_u32_e32 v20, vcc_lo, s10, v18, vcc_lo
	v_add_co_u32 v17, vcc_lo, s18, v17
	v_add_co_ci_u32_e32 v18, vcc_lo, s19, v18, vcc_lo
	global_load_b32 v19, v[19:20], off
	global_load_b32 v17, v[17:18], off
	v_cmp_le_u32_e32 vcc_lo, s21, v1
	s_or_b32 s23, vcc_lo, s23
	s_waitcnt vmcnt(1)
	v_mul_f32_e32 v18, v3, v19
	s_waitcnt vmcnt(0)
	s_delay_alu instid0(VALU_DEP_1) | instskip(NEXT) | instid1(VALU_DEP_1)
	v_dual_max_f32 v16, v16, v16 :: v_dual_mul_f32 v17, v18, v17
	v_max_f32_e64 v16, v16, |v17|
	s_and_not1_b32 exec_lo, exec_lo, s23
	s_cbranch_execnz .LBB3_17
; %bb.18:
	s_or_b32 exec_lo, exec_lo, s23
	v_dual_mov_b32 v1, s8 :: v_dual_mov_b32 v2, s9
.LBB3_19:
	s_or_b32 exec_lo, exec_lo, s3
	global_load_b32 v17, v[1:2], off
	s_waitcnt vmcnt(0)
	v_cmp_lt_u32_e32 vcc_lo, s24, v17
	v_cndmask_b32_e64 v17, 18, 12, vcc_lo
	s_delay_alu instid0(VALU_DEP_1)
	v_add_co_u32 v1, vcc_lo, v1, v17
	v_add_co_ci_u32_e32 v2, vcc_lo, 0, v2, vcc_lo
	global_load_u16 v1, v[1:2], off
	ds_bpermute_b32 v2, v4, v16
	s_waitcnt lgkmcnt(0)
	v_cmp_lt_f32_e32 vcc_lo, v16, v2
	v_cndmask_b32_e32 v2, v16, v2, vcc_lo
	s_waitcnt vmcnt(0)
	v_sub_nc_u32_e64 v14, v1, v14 clamp
	s_delay_alu instid0(VALU_DEP_1)
	v_cmp_lt_u32_e32 vcc_lo, v5, v14
	v_cmp_lt_u32_e64 s9, v13, v14
	v_cndmask_b32_e32 v2, v16, v2, vcc_lo
	ds_bpermute_b32 v17, v6, v2
	s_waitcnt lgkmcnt(0)
	v_cmp_lt_f32_e64 s3, v2, v17
	s_delay_alu instid0(VALU_DEP_1) | instskip(SKIP_1) | instid1(VALU_DEP_1)
	v_cndmask_b32_e64 v17, v2, v17, s3
	v_cmp_lt_u32_e64 s3, v8, v14
	v_cndmask_b32_e64 v2, v2, v17, s3
	s_or_b32 s3, vcc_lo, s3
	ds_bpermute_b32 v17, v7, v2
	s_waitcnt lgkmcnt(0)
	v_cmp_lt_f32_e64 s7, v2, v17
	s_delay_alu instid0(VALU_DEP_1) | instskip(SKIP_1) | instid1(VALU_DEP_1)
	v_cndmask_b32_e64 v17, v2, v17, s7
	v_cmp_lt_u32_e64 s7, v10, v14
	v_cndmask_b32_e64 v2, v2, v17, s7
	s_or_b32 s3, s7, s3
	ds_bpermute_b32 v17, v9, v2
	s_waitcnt lgkmcnt(0)
	v_cmp_lt_f32_e64 s8, v2, v17
	s_delay_alu instid0(VALU_DEP_1) | instskip(SKIP_1) | instid1(VALU_DEP_1)
	v_cndmask_b32_e64 v17, v2, v17, s8
	v_cmp_lt_u32_e64 s8, v12, v14
	v_cndmask_b32_e64 v2, v2, v17, s8
	s_or_b32 s3, s8, s3
	ds_bpermute_b32 v17, v11, v2
	s_waitcnt lgkmcnt(0)
	v_cmp_lt_f32_e64 s10, v2, v17
	s_delay_alu instid0(VALU_DEP_1) | instskip(SKIP_2) | instid1(VALU_DEP_1)
	s_and_b32 vcc_lo, s9, s10
	v_cndmask_b32_e32 v2, v2, v17, vcc_lo
	s_or_b32 vcc_lo, s9, s3
	v_cndmask_b32_e32 v2, v16, v2, vcc_lo
	s_and_saveexec_b32 s3, s5
	s_cbranch_execz .LBB3_21
; %bb.20:
	v_lshrrev_b32_e32 v14, 3, v0
	s_delay_alu instid0(VALU_DEP_1)
	v_and_b32_e32 v14, 0x7c, v14
	ds_store_b32 v14, v2 offset:384
.LBB3_21:
	s_or_b32 exec_lo, exec_lo, s3
	s_waitcnt lgkmcnt(0)
	s_barrier
	buffer_gl0_inv
	s_and_saveexec_b32 s9, s6
	s_cbranch_execz .LBB3_23
; %bb.22:
	ds_load_b32 v2, v15 offset:384
	s_waitcnt lgkmcnt(0)
	ds_bpermute_b32 v4, v4, v2
	s_waitcnt lgkmcnt(0)
	v_cmp_lt_f32_e32 vcc_lo, v2, v4
	v_dual_cndmask_b32 v4, v2, v4 :: v_dual_add_nc_u32 v1, 31, v1
	s_delay_alu instid0(VALU_DEP_1) | instskip(NEXT) | instid1(VALU_DEP_1)
	v_lshrrev_b32_e32 v1, 5, v1
	v_cmp_lt_u32_e32 vcc_lo, v5, v1
	v_cmp_lt_u32_e64 s7, v13, v1
	s_delay_alu instid0(VALU_DEP_4) | instskip(SKIP_3) | instid1(VALU_DEP_1)
	v_cndmask_b32_e32 v4, v2, v4, vcc_lo
	ds_bpermute_b32 v5, v6, v4
	s_waitcnt lgkmcnt(0)
	v_cmp_lt_f32_e64 s3, v4, v5
	v_cndmask_b32_e64 v5, v4, v5, s3
	v_cmp_lt_u32_e64 s3, v8, v1
	s_delay_alu instid0(VALU_DEP_1) | instskip(SKIP_4) | instid1(VALU_DEP_1)
	v_cndmask_b32_e64 v4, v4, v5, s3
	s_or_b32 s3, vcc_lo, s3
	ds_bpermute_b32 v5, v7, v4
	s_waitcnt lgkmcnt(0)
	v_cmp_lt_f32_e64 s5, v4, v5
	v_cndmask_b32_e64 v5, v4, v5, s5
	v_cmp_lt_u32_e64 s5, v10, v1
	s_delay_alu instid0(VALU_DEP_1) | instskip(SKIP_4) | instid1(VALU_DEP_1)
	v_cndmask_b32_e64 v4, v4, v5, s5
	s_or_b32 s3, s5, s3
	ds_bpermute_b32 v5, v9, v4
	s_waitcnt lgkmcnt(0)
	v_cmp_lt_f32_e64 s6, v4, v5
	v_cndmask_b32_e64 v5, v4, v5, s6
	v_cmp_lt_u32_e64 s6, v12, v1
	s_delay_alu instid0(VALU_DEP_1) | instskip(SKIP_4) | instid1(VALU_DEP_1)
	v_cndmask_b32_e64 v4, v4, v5, s6
	s_or_b32 s3, s6, s3
	ds_bpermute_b32 v5, v11, v4
	s_waitcnt lgkmcnt(0)
	v_cmp_lt_f32_e64 s8, v4, v5
	s_and_b32 vcc_lo, s7, s8
	v_cndmask_b32_e32 v1, v4, v5, vcc_lo
	s_or_b32 vcc_lo, s7, s3
	s_delay_alu instid0(VALU_DEP_1)
	v_cndmask_b32_e32 v2, v2, v1, vcc_lo
.LBB3_23:
	s_or_b32 exec_lo, exec_lo, s9
	s_and_saveexec_b32 s3, s4
	s_cbranch_execz .LBB3_27
; %bb.24:
	s_cmp_eq_u64 s[26:27], 0
	s_cbranch_scc1 .LBB3_26
; %bb.25:
	s_load_b32 s4, s[26:27], 0x0
	v_max_f32_e32 v1, v2, v2
	s_waitcnt lgkmcnt(0)
	v_max_f32_e64 v2, s4, s4
	s_delay_alu instid0(VALU_DEP_1)
	v_min_f32_e32 v2, v1, v2
.LBB3_26:
	s_delay_alu instid0(VALU_DEP_1) | instskip(SKIP_2) | instid1(VALU_DEP_2)
	v_div_scale_f32 v1, null, 0x43e00000, 0x43e00000, v2
	v_div_scale_f32 v6, vcc_lo, v2, 0x43e00000, v2
	s_lshl_b64 s[4:5], s[24:25], 2
	v_rcp_f32_e32 v4, v1
	s_add_u32 s4, s14, s4
	s_addc_u32 s5, s15, s5
	s_waitcnt_depctr 0xfff
	v_fma_f32 v5, -v1, v4, 1.0
	s_delay_alu instid0(VALU_DEP_1) | instskip(NEXT) | instid1(VALU_DEP_1)
	v_fmac_f32_e32 v4, v5, v4
	v_mul_f32_e32 v5, v6, v4
	s_delay_alu instid0(VALU_DEP_1) | instskip(NEXT) | instid1(VALU_DEP_1)
	v_fma_f32 v7, -v1, v5, v6
	v_fmac_f32_e32 v5, v7, v4
	s_delay_alu instid0(VALU_DEP_1) | instskip(NEXT) | instid1(VALU_DEP_1)
	v_fma_f32 v1, -v1, v5, v6
	v_div_fmas_f32 v1, v1, v4, v5
	s_delay_alu instid0(VALU_DEP_1) | instskip(NEXT) | instid1(VALU_DEP_1)
	v_div_fixup_f32 v1, v1, 0x43e00000, v2
	v_dual_mov_b32 v2, 0 :: v_dual_max_f32 v1, 0x36924925, v1
	ds_store_b32 v2, v1 offset:524
	global_store_b32 v2, v1, s[4:5]
.LBB3_27:
	s_or_b32 exec_lo, exec_lo, s3
	s_waitcnt lgkmcnt(0)
	s_waitcnt_vscnt null, 0x0
	s_barrier
	buffer_gl0_inv
	s_and_saveexec_b32 s3, s2
	s_cbranch_execz .LBB3_36
; %bb.28:
	v_dual_mov_b32 v2, 0 :: v_dual_mov_b32 v1, v0
	s_load_b32 s7, s[0:1], 0x4c
	s_ashr_i32 s4, s22, 31
	s_ashr_i32 s2, s21, 31
	ds_load_b32 v4, v2 offset:524
	s_mul_i32 s4, s4, s24
	s_mul_hi_u32 s5, s21, s24
	s_mul_i32 s2, s2, s24
	s_add_i32 s29, s11, s4
	s_add_i32 s6, s5, s2
	s_lshl_b64 s[4:5], s[28:29], 2
	s_mul_i32 s8, s21, s24
	s_add_u32 s2, s16, s4
	s_addc_u32 s4, s17, s5
	s_add_u32 s5, s12, s8
	s_addc_u32 s6, s13, s6
	s_mov_b32 s8, 0
	s_mov_b32 s9, 0x43e00000
	s_waitcnt lgkmcnt(0)
	s_and_b32 s7, s7, 0xffff
	s_branch .LBB3_31
.LBB3_29:                               ;   in Loop: Header=BB3_31 Depth=1
	s_or_b32 exec_lo, exec_lo, s11
.LBB3_30:                               ;   in Loop: Header=BB3_31 Depth=1
	s_delay_alu instid0(SALU_CYCLE_1) | instskip(SKIP_3) | instid1(VALU_DEP_3)
	s_or_b32 exec_lo, exec_lo, s10
	v_lshrrev_b32_e32 v7, 24, v5
	v_add_co_u32 v5, s10, s5, v1
	v_add_nc_u32_e32 v1, s7, v1
	v_and_or_b32 v7, 0x80, v7, v6
	v_add_co_ci_u32_e64 v6, null, s6, 0, s10
	s_delay_alu instid0(VALU_DEP_3) | instskip(SKIP_2) | instid1(SALU_CYCLE_1)
	v_cmp_le_u32_e32 vcc_lo, s21, v1
	global_store_b8 v[5:6], v7, off
	s_or_b32 s8, vcc_lo, s8
	s_and_not1_b32 exec_lo, exec_lo, s8
	s_cbranch_execz .LBB3_36
.LBB3_31:                               ; =>This Inner Loop Header: Depth=1
	v_lshlrev_b64 v[5:6], 2, v[1:2]
	s_mov_b32 s10, exec_lo
	s_delay_alu instid0(VALU_DEP_1) | instskip(NEXT) | instid1(VALU_DEP_2)
	v_add_co_u32 v7, vcc_lo, s2, v5
	v_add_co_ci_u32_e32 v8, vcc_lo, s4, v6, vcc_lo
	v_add_co_u32 v5, vcc_lo, s18, v5
	v_add_co_ci_u32_e32 v6, vcc_lo, s19, v6, vcc_lo
	global_load_b32 v7, v[7:8], off
	global_load_b32 v5, v[5:6], off
	s_waitcnt vmcnt(1)
	v_mul_f32_e32 v6, v3, v7
	s_waitcnt vmcnt(0)
	s_delay_alu instid0(VALU_DEP_1) | instskip(NEXT) | instid1(VALU_DEP_1)
	v_mul_f32_e32 v5, v6, v5
	v_div_scale_f32 v6, null, v4, v4, v5
	v_div_scale_f32 v9, vcc_lo, v5, v4, v5
	s_delay_alu instid0(VALU_DEP_2) | instskip(SKIP_2) | instid1(VALU_DEP_1)
	v_rcp_f32_e32 v7, v6
	s_waitcnt_depctr 0xfff
	v_fma_f32 v8, -v6, v7, 1.0
	v_fmac_f32_e32 v7, v8, v7
	s_delay_alu instid0(VALU_DEP_1) | instskip(NEXT) | instid1(VALU_DEP_1)
	v_mul_f32_e32 v8, v9, v7
	v_fma_f32 v10, -v6, v8, v9
	s_delay_alu instid0(VALU_DEP_1) | instskip(NEXT) | instid1(VALU_DEP_1)
	v_fmac_f32_e32 v8, v10, v7
	v_fma_f32 v6, -v6, v8, v9
	s_delay_alu instid0(VALU_DEP_1) | instskip(NEXT) | instid1(VALU_DEP_1)
	v_div_fmas_f32 v6, v6, v7, v8
	v_div_fixup_f32 v5, v6, v4, v5
	v_mov_b32_e32 v6, 0x7f
	s_delay_alu instid0(VALU_DEP_2) | instskip(NEXT) | instid1(VALU_DEP_1)
	v_minmax_f32 v5, v5, s9, 0xc3e00000
	v_and_b32_e32 v7, 0x7fffffff, v5
	s_delay_alu instid0(VALU_DEP_1)
	v_cmpx_gt_u32_e32 0x43f00000, v7
	s_cbranch_execz .LBB3_30
; %bb.32:                               ;   in Loop: Header=BB3_31 Depth=1
	s_mov_b32 s11, exec_lo
                                        ; implicit-def: $vgpr6
	v_cmpx_lt_u32_e32 0x3c7fffff, v7
	s_xor_b32 s11, exec_lo, s11
; %bb.33:                               ;   in Loop: Header=BB3_31 Depth=1
	v_bfe_u32 v6, v5, 20, 1
	s_delay_alu instid0(VALU_DEP_1) | instskip(NEXT) | instid1(VALU_DEP_1)
	v_add3_u32 v6, v5, v6, 0x407ffff
	v_lshrrev_b32_e32 v6, 20, v6
; %bb.34:                               ;   in Loop: Header=BB3_31 Depth=1
	s_and_not1_saveexec_b32 s11, s11
	s_cbranch_execz .LBB3_29
; %bb.35:                               ;   in Loop: Header=BB3_31 Depth=1
	v_add_f32_e64 v6, 0x46800000, |v5|
	s_branch .LBB3_29
.LBB3_36:
	s_or_b32 exec_lo, exec_lo, s3
	s_branch .LBB3_177
.LBB3_37:
	s_cbranch_execz .LBB3_177
; %bb.38:
	s_load_b32 s3, s[0:1], 0x40
	s_ashr_i32 s2, s22, 31
	s_mul_hi_u32 s4, s22, s24
	s_mul_i32 s2, s2, s24
	v_mov_b32_e32 v10, 0
	s_add_i32 s5, s4, s2
	s_mul_i32 s4, s22, s24
	s_mov_b32 s25, 0
	s_lshl_b64 s[4:5], s[4:5], 2
	s_delay_alu instid0(SALU_CYCLE_1)
	s_add_u32 s9, s16, s4
	s_addc_u32 s10, s17, s5
	s_ashr_i32 s11, s21, 2
	s_add_u32 s0, s0, 64
	v_cmp_gt_u32_e64 s2, s11, v0
	s_addc_u32 s1, s1, 0
	s_delay_alu instid0(VALU_DEP_1)
	s_and_saveexec_b32 s4, s2
	s_cbranch_execz .LBB3_48
; %bb.39:
	s_waitcnt lgkmcnt(0)
	s_cmp_lt_u32 s24, s3
	v_mov_b32_e32 v2, 0
	s_cselect_b32 s5, 12, 18
	v_mov_b32_e32 v1, v0
	s_add_u32 s6, s0, s5
	s_addc_u32 s7, s1, 0
	s_mov_b32 s5, s25
	global_load_u16 v6, v2, s[6:7]
                                        ; implicit-def: $sgpr6
	s_waitcnt vmcnt(0)
	v_add_nc_u32_e32 v9, v6, v6
	v_mul_lo_u32 v7, v6, 3
	v_lshlrev_b32_e32 v8, 1, v6
	v_mov_b32_e32 v10, v2
	s_branch .LBB3_43
.LBB3_40:                               ;   in Loop: Header=BB3_43 Depth=1
	s_or_b32 exec_lo, exec_lo, s16
	s_delay_alu instid0(SALU_CYCLE_1)
	s_or_not1_b32 s16, s17, exec_lo
.LBB3_41:                               ;   in Loop: Header=BB3_43 Depth=1
	s_or_b32 exec_lo, exec_lo, s8
	s_delay_alu instid0(SALU_CYCLE_1) | instskip(SKIP_1) | instid1(SALU_CYCLE_1)
	s_and_not1_b32 s6, s6, exec_lo
	s_and_b32 s8, s16, exec_lo
	s_or_b32 s6, s6, s8
.LBB3_42:                               ;   in Loop: Header=BB3_43 Depth=1
	s_or_b32 exec_lo, exec_lo, s7
	s_delay_alu instid0(SALU_CYCLE_1) | instskip(NEXT) | instid1(SALU_CYCLE_1)
	s_and_b32 s7, exec_lo, s6
	s_or_b32 s5, s7, s5
	s_delay_alu instid0(SALU_CYCLE_1)
	s_and_not1_b32 exec_lo, exec_lo, s5
	s_cbranch_execz .LBB3_47
.LBB3_43:                               ; =>This Inner Loop Header: Depth=1
	v_lshlrev_b64 v[3:4], 4, v[1:2]
	s_or_b32 s6, s6, exec_lo
	s_mov_b32 s7, exec_lo
	s_delay_alu instid0(VALU_DEP_1) | instskip(NEXT) | instid1(VALU_DEP_2)
	v_add_co_u32 v3, vcc_lo, s9, v3
	v_add_co_ci_u32_e32 v4, vcc_lo, s10, v4, vcc_lo
	global_load_b128 v[11:14], v[3:4], off
	s_waitcnt vmcnt(0)
	v_dual_fmac_f32 v10, v11, v11 :: v_dual_add_nc_u32 v3, v1, v6
	s_delay_alu instid0(VALU_DEP_1) | instskip(NEXT) | instid1(VALU_DEP_1)
	v_fmac_f32_e32 v10, v12, v12
	v_fmac_f32_e32 v10, v13, v13
	s_delay_alu instid0(VALU_DEP_1) | instskip(NEXT) | instid1(VALU_DEP_4)
	v_fmac_f32_e32 v10, v14, v14
	v_cmpx_gt_u32_e64 s11, v3
	s_cbranch_execz .LBB3_42
; %bb.44:                               ;   in Loop: Header=BB3_43 Depth=1
	v_mov_b32_e32 v4, v2
	s_mov_b32 s16, -1
	s_mov_b32 s8, exec_lo
	s_delay_alu instid0(VALU_DEP_1) | instskip(NEXT) | instid1(VALU_DEP_1)
	v_lshlrev_b64 v[4:5], 4, v[3:4]
	v_add_co_u32 v4, vcc_lo, s9, v4
	s_delay_alu instid0(VALU_DEP_2) | instskip(SKIP_4) | instid1(VALU_DEP_1)
	v_add_co_ci_u32_e32 v5, vcc_lo, s10, v5, vcc_lo
	global_load_b128 v[11:14], v[4:5], off
	v_add_nc_u32_e32 v4, v8, v1
	s_waitcnt vmcnt(0)
	v_fmac_f32_e32 v10, v11, v11
	v_fmac_f32_e32 v10, v12, v12
	s_delay_alu instid0(VALU_DEP_1) | instskip(NEXT) | instid1(VALU_DEP_1)
	v_fmac_f32_e32 v10, v13, v13
	v_fmac_f32_e32 v10, v14, v14
	v_cmpx_gt_u32_e64 s11, v4
	s_cbranch_execz .LBB3_41
; %bb.45:                               ;   in Loop: Header=BB3_43 Depth=1
	v_mov_b32_e32 v5, v2
	s_mov_b32 s17, -1
	s_mov_b32 s16, exec_lo
	v_add_nc_u32_e32 v1, v7, v1
	s_delay_alu instid0(VALU_DEP_2) | instskip(NEXT) | instid1(VALU_DEP_1)
	v_lshlrev_b64 v[4:5], 4, v[4:5]
	v_add_co_u32 v4, vcc_lo, s9, v4
	s_delay_alu instid0(VALU_DEP_2) | instskip(SKIP_3) | instid1(VALU_DEP_1)
	v_add_co_ci_u32_e32 v5, vcc_lo, s10, v5, vcc_lo
	global_load_b128 v[11:14], v[4:5], off
	s_waitcnt vmcnt(0)
	v_fmac_f32_e32 v10, v11, v11
	v_fmac_f32_e32 v10, v12, v12
	s_delay_alu instid0(VALU_DEP_1) | instskip(NEXT) | instid1(VALU_DEP_1)
	v_fmac_f32_e32 v10, v13, v13
	v_fmac_f32_e32 v10, v14, v14
	v_cmpx_gt_u32_e64 s11, v1
	s_xor_b32 s16, exec_lo, s16
	s_cbranch_execz .LBB3_40
; %bb.46:                               ;   in Loop: Header=BB3_43 Depth=1
	v_lshlrev_b64 v[4:5], 4, v[1:2]
	v_add3_u32 v1, v9, v6, v3
	s_delay_alu instid0(VALU_DEP_2) | instskip(NEXT) | instid1(VALU_DEP_3)
	v_add_co_u32 v4, vcc_lo, s9, v4
	v_add_co_ci_u32_e32 v5, vcc_lo, s10, v5, vcc_lo
	s_delay_alu instid0(VALU_DEP_3) | instskip(SKIP_4) | instid1(VALU_DEP_1)
	v_cmp_le_u32_e32 vcc_lo, s11, v1
	global_load_b128 v[11:14], v[4:5], off
	s_or_not1_b32 s17, vcc_lo, exec_lo
	s_waitcnt vmcnt(0)
	v_fmac_f32_e32 v10, v11, v11
	v_fmac_f32_e32 v10, v12, v12
	s_delay_alu instid0(VALU_DEP_1) | instskip(NEXT) | instid1(VALU_DEP_1)
	v_fmac_f32_e32 v10, v13, v13
	v_fmac_f32_e32 v10, v14, v14
	s_branch .LBB3_40
.LBB3_47:
	s_or_b32 exec_lo, exec_lo, s5
.LBB3_48:
	s_delay_alu instid0(SALU_CYCLE_1)
	s_or_b32 exec_lo, exec_lo, s4
	s_waitcnt lgkmcnt(0)
	s_cmp_lt_u32 s24, s3
	v_dual_mov_b32 v1, 0 :: v_dual_and_b32 v4, 0x3e0, v0
	s_cselect_b32 s3, 12, 18
	v_mbcnt_lo_u32_b32 v6, -1, 0
	s_add_u32 s0, s0, s3
	s_addc_u32 s1, s1, 0
	global_load_u16 v1, v1, s[0:1]
	v_cmp_ne_u32_e32 vcc_lo, 31, v6
	v_add_nc_u32_e32 v8, 1, v6
	v_add_nc_u32_e32 v11, 2, v6
	;; [unrolled: 1-line block ×3, first 2 shown]
	v_cmp_eq_u32_e64 s6, 0, v6
	v_add_co_ci_u32_e32 v2, vcc_lo, 0, v6, vcc_lo
	v_cmp_gt_u32_e32 vcc_lo, 30, v6
	s_delay_alu instid0(VALU_DEP_2)
	v_lshlrev_b32_e32 v7, 2, v2
	v_cndmask_b32_e64 v3, 0, 1, vcc_lo
	v_cmp_gt_u32_e32 vcc_lo, 28, v6
	ds_bpermute_b32 v2, v7, v10
	v_lshlrev_b32_e32 v3, 1, v3
	v_cndmask_b32_e64 v5, 0, 1, vcc_lo
	v_cmp_gt_u32_e32 vcc_lo, 24, v6
	s_waitcnt lgkmcnt(0)
	s_delay_alu instid0(VALU_DEP_2) | instskip(SKIP_4) | instid1(VALU_DEP_2)
	v_dual_add_f32 v2, v10, v2 :: v_dual_lshlrev_b32 v5, 2, v5
	v_add_lshl_u32 v9, v3, v6, 2
	s_waitcnt vmcnt(0)
	v_sub_nc_u32_e64 v4, v1, v4 clamp
	v_readfirstlane_b32 s16, v1
	v_cmp_lt_u32_e64 s0, v8, v4
	v_cmp_lt_u32_e64 s1, v11, v4
	;; [unrolled: 1-line block ×3, first 2 shown]
	s_delay_alu instid0(VALU_DEP_3)
	v_cndmask_b32_e64 v2, v10, v2, s0
	v_add_lshl_u32 v10, v5, v6, 2
	v_cndmask_b32_e64 v5, 0, 1, vcc_lo
	v_cmp_gt_u32_e32 vcc_lo, 16, v6
	ds_bpermute_b32 v3, v9, v2
	v_lshlrev_b32_e32 v5, 3, v5
	s_delay_alu instid0(VALU_DEP_1) | instskip(SKIP_1) | instid1(VALU_DEP_1)
	v_add_lshl_u32 v12, v5, v6, 2
	v_cndmask_b32_e64 v5, 0, 1, vcc_lo
	v_lshlrev_b32_e32 v5, 4, v5
	s_delay_alu instid0(VALU_DEP_1) | instskip(SKIP_2) | instid1(VALU_DEP_1)
	v_add_lshl_u32 v15, v5, v6, 2
	s_waitcnt lgkmcnt(0)
	v_add_f32_e32 v3, v2, v3
	v_cndmask_b32_e64 v2, v2, v3, s1
	ds_bpermute_b32 v3, v10, v2
	s_waitcnt lgkmcnt(0)
	v_dual_add_f32 v3, v2, v3 :: v_dual_add_nc_u32 v14, 4, v6
	s_delay_alu instid0(VALU_DEP_1) | instskip(NEXT) | instid1(VALU_DEP_1)
	v_cmp_lt_u32_e64 s3, v14, v4
	v_cndmask_b32_e64 v2, v2, v3, s3
	ds_bpermute_b32 v3, v12, v2
	s_waitcnt lgkmcnt(0)
	v_dual_add_f32 v3, v2, v3 :: v_dual_add_nc_u32 v16, 8, v6
	s_delay_alu instid0(VALU_DEP_1) | instskip(NEXT) | instid1(VALU_DEP_1)
	v_cmp_lt_u32_e64 s5, v16, v4
	v_cndmask_b32_e64 v2, v2, v3, s5
	ds_bpermute_b32 v3, v15, v2
	s_waitcnt lgkmcnt(0)
	v_add_f32_e32 v3, v2, v3
	s_delay_alu instid0(VALU_DEP_1)
	v_cndmask_b32_e64 v1, v2, v3, s8
	s_and_saveexec_b32 s4, s6
	s_cbranch_execz .LBB3_50
; %bb.49:
	v_lshrrev_b32_e32 v2, 3, v0
	s_delay_alu instid0(VALU_DEP_1)
	v_and_b32_e32 v2, 0x7c, v2
	ds_store_b32 v2, v1
.LBB3_50:
	s_or_b32 exec_lo, exec_lo, s4
	v_cmp_gt_u32_e64 s7, 32, v0
	s_waitcnt lgkmcnt(0)
	s_waitcnt_vscnt null, 0x0
	s_barrier
	buffer_gl0_inv
	s_and_saveexec_b32 s4, s7
	s_cbranch_execz .LBB3_52
; %bb.51:
	v_lshlrev_b32_e32 v1, 2, v6
	s_add_i32 s17, s16, 31
	s_delay_alu instid0(SALU_CYCLE_1) | instskip(NEXT) | instid1(SALU_CYCLE_1)
	s_lshr_b32 s17, s17, 5
	v_cmp_gt_u32_e32 vcc_lo, s17, v8
	ds_load_b32 v1, v1
	s_waitcnt lgkmcnt(0)
	ds_bpermute_b32 v2, v7, v1
	s_waitcnt lgkmcnt(0)
	v_add_f32_e32 v2, v1, v2
	s_delay_alu instid0(VALU_DEP_1) | instskip(SKIP_4) | instid1(VALU_DEP_1)
	v_cndmask_b32_e32 v1, v1, v2, vcc_lo
	v_cmp_gt_u32_e32 vcc_lo, s17, v11
	ds_bpermute_b32 v2, v9, v1
	s_waitcnt lgkmcnt(0)
	v_add_f32_e32 v2, v1, v2
	v_cndmask_b32_e32 v1, v1, v2, vcc_lo
	v_cmp_gt_u32_e32 vcc_lo, s17, v14
	ds_bpermute_b32 v2, v10, v1
	s_waitcnt lgkmcnt(0)
	v_add_f32_e32 v2, v1, v2
	s_delay_alu instid0(VALU_DEP_1) | instskip(SKIP_4) | instid1(VALU_DEP_1)
	v_cndmask_b32_e32 v1, v1, v2, vcc_lo
	v_cmp_gt_u32_e32 vcc_lo, s17, v16
	ds_bpermute_b32 v2, v12, v1
	s_waitcnt lgkmcnt(0)
	v_add_f32_e32 v2, v1, v2
	v_cndmask_b32_e32 v1, v1, v2, vcc_lo
	v_cmp_gt_u32_e32 vcc_lo, s17, v17
	ds_bpermute_b32 v2, v15, v1
	s_waitcnt lgkmcnt(0)
	v_add_f32_e32 v2, v1, v2
	s_delay_alu instid0(VALU_DEP_1)
	v_cndmask_b32_e32 v1, v1, v2, vcc_lo
.LBB3_52:
	s_or_b32 exec_lo, exec_lo, s4
	v_cmp_eq_u32_e64 s4, 0, v0
	s_delay_alu instid0(VALU_DEP_1)
	s_and_saveexec_b32 s17, s4
	s_cbranch_execz .LBB3_54
; %bb.53:
	v_cvt_f32_i32_e32 v2, s21
	s_delay_alu instid0(VALU_DEP_1) | instskip(SKIP_1) | instid1(VALU_DEP_2)
	v_div_scale_f32 v3, null, v2, v2, v1
	v_div_scale_f32 v13, vcc_lo, v1, v2, v1
	v_rcp_f32_e32 v4, v3
	s_waitcnt_depctr 0xfff
	v_fma_f32 v5, -v3, v4, 1.0
	s_delay_alu instid0(VALU_DEP_1) | instskip(NEXT) | instid1(VALU_DEP_1)
	v_fmac_f32_e32 v4, v5, v4
	v_mul_f32_e32 v5, v13, v4
	s_delay_alu instid0(VALU_DEP_1) | instskip(NEXT) | instid1(VALU_DEP_1)
	v_fma_f32 v18, -v3, v5, v13
	v_fmac_f32_e32 v5, v18, v4
	s_delay_alu instid0(VALU_DEP_1) | instskip(NEXT) | instid1(VALU_DEP_1)
	v_fma_f32 v3, -v3, v5, v13
	v_div_fmas_f32 v3, v3, v4, v5
	s_delay_alu instid0(VALU_DEP_1) | instskip(NEXT) | instid1(VALU_DEP_1)
	v_div_fixup_f32 v1, v3, v2, v1
	v_add_f32_e32 v1, s20, v1
	s_delay_alu instid0(VALU_DEP_1) | instskip(SKIP_1) | instid1(VALU_DEP_2)
	v_mul_f32_e32 v2, 0x4b800000, v1
	v_cmp_gt_f32_e32 vcc_lo, 0x800000, v1
	v_cndmask_b32_e32 v1, v1, v2, vcc_lo
	s_delay_alu instid0(VALU_DEP_1) | instskip(SKIP_2) | instid1(VALU_DEP_1)
	v_rsq_f32_e32 v1, v1
	s_waitcnt_depctr 0xfff
	v_mul_f32_e32 v2, 0x45800000, v1
	v_dual_cndmask_b32 v1, v1, v2 :: v_dual_mov_b32 v2, 0
	ds_store_b32 v2, v1 offset:512
.LBB3_54:
	s_or_b32 exec_lo, exec_lo, s17
	v_mov_b32_e32 v18, 0
	s_waitcnt lgkmcnt(0)
	s_barrier
	buffer_gl0_inv
	ds_load_b32 v13, v18 offset:512
	s_and_saveexec_b32 s17, s2
	s_cbranch_execz .LBB3_64
; %bb.55:
	v_dual_mov_b32 v2, 0 :: v_dual_mov_b32 v1, v0
	v_mov_b32_e32 v18, 0
	s_mul_i32 s20, s16, 3
	s_lshl_b32 s23, s16, 1
	s_mov_b32 s22, 0
	s_add_i32 s28, s16, s16
                                        ; implicit-def: $sgpr29
	s_branch .LBB3_59
.LBB3_56:                               ;   in Loop: Header=BB3_59 Depth=1
	s_or_b32 exec_lo, exec_lo, s33
	s_delay_alu instid0(SALU_CYCLE_1)
	s_or_not1_b32 s33, s34, exec_lo
.LBB3_57:                               ;   in Loop: Header=BB3_59 Depth=1
	s_or_b32 exec_lo, exec_lo, s31
	s_delay_alu instid0(SALU_CYCLE_1) | instskip(SKIP_1) | instid1(SALU_CYCLE_1)
	s_and_not1_b32 s29, s29, exec_lo
	s_and_b32 s31, s33, exec_lo
	s_or_b32 s29, s29, s31
.LBB3_58:                               ;   in Loop: Header=BB3_59 Depth=1
	s_or_b32 exec_lo, exec_lo, s30
	s_delay_alu instid0(SALU_CYCLE_1) | instskip(NEXT) | instid1(SALU_CYCLE_1)
	s_and_b32 s30, exec_lo, s29
	s_or_b32 s22, s30, s22
	s_delay_alu instid0(SALU_CYCLE_1)
	s_and_not1_b32 exec_lo, exec_lo, s22
	s_cbranch_execz .LBB3_63
.LBB3_59:                               ; =>This Inner Loop Header: Depth=1
	v_lshlrev_b64 v[3:4], 4, v[1:2]
	s_or_b32 s29, s29, exec_lo
	s_mov_b32 s30, exec_lo
	s_delay_alu instid0(VALU_DEP_1) | instskip(NEXT) | instid1(VALU_DEP_2)
	v_add_co_u32 v19, vcc_lo, s9, v3
	v_add_co_ci_u32_e32 v20, vcc_lo, s10, v4, vcc_lo
	v_add_co_u32 v3, vcc_lo, s18, v3
	v_add_co_ci_u32_e32 v4, vcc_lo, s19, v4, vcc_lo
	global_load_b128 v[19:22], v[19:20], off
	global_load_b128 v[23:26], v[3:4], off
	s_waitcnt vmcnt(1) lgkmcnt(0)
	v_mul_f32_e32 v4, v13, v20
	v_mul_f32_e32 v3, v13, v19
	;; [unrolled: 1-line block ×3, first 2 shown]
	s_waitcnt vmcnt(0)
	s_delay_alu instid0(VALU_DEP_3) | instskip(NEXT) | instid1(VALU_DEP_3)
	v_dual_mul_f32 v19, v13, v22 :: v_dual_mul_f32 v4, v4, v24
	v_mul_f32_e32 v3, v3, v23
	s_delay_alu instid0(VALU_DEP_3) | instskip(NEXT) | instid1(VALU_DEP_3)
	v_mul_f32_e32 v5, v5, v25
	v_mul_f32_e32 v19, v19, v26
	s_delay_alu instid0(VALU_DEP_3) | instskip(SKIP_1) | instid1(VALU_DEP_2)
	v_max3_f32 v4, v18, |v3|, |v4|
	v_add_nc_u32_e32 v3, s16, v1
	v_max3_f32 v18, v4, |v5|, |v19|
	s_delay_alu instid0(VALU_DEP_2)
	v_cmpx_gt_u32_e64 s11, v3
	s_cbranch_execz .LBB3_58
; %bb.60:                               ;   in Loop: Header=BB3_59 Depth=1
	v_mov_b32_e32 v4, v2
	s_mov_b32 s33, -1
	s_mov_b32 s31, exec_lo
	s_delay_alu instid0(VALU_DEP_1) | instskip(NEXT) | instid1(VALU_DEP_1)
	v_lshlrev_b64 v[4:5], 4, v[3:4]
	v_add_co_u32 v19, vcc_lo, s9, v4
	s_delay_alu instid0(VALU_DEP_2)
	v_add_co_ci_u32_e32 v20, vcc_lo, s10, v5, vcc_lo
	v_add_co_u32 v4, vcc_lo, s18, v4
	v_add_co_ci_u32_e32 v5, vcc_lo, s19, v5, vcc_lo
	global_load_b128 v[19:22], v[19:20], off
	global_load_b128 v[23:26], v[4:5], off
	s_waitcnt vmcnt(1)
	v_mul_f32_e32 v5, v13, v20
	v_mul_f32_e32 v4, v13, v19
	;; [unrolled: 1-line block ×4, first 2 shown]
	s_waitcnt vmcnt(0)
	v_mul_f32_e32 v5, v5, v24
	s_delay_alu instid0(VALU_DEP_2) | instskip(SKIP_1) | instid1(VALU_DEP_1)
	v_dual_mul_f32 v19, v19, v25 :: v_dual_mul_f32 v20, v20, v26
	v_mul_f32_e32 v4, v4, v23
	v_max3_f32 v5, v18, |v4|, |v5|
	v_add_nc_u32_e32 v4, s23, v1
	s_delay_alu instid0(VALU_DEP_2) | instskip(NEXT) | instid1(VALU_DEP_2)
	v_max3_f32 v18, v5, |v19|, |v20|
	v_cmpx_gt_u32_e64 s11, v4
	s_cbranch_execz .LBB3_57
; %bb.61:                               ;   in Loop: Header=BB3_59 Depth=1
	v_mov_b32_e32 v5, v2
	v_add_nc_u32_e32 v1, s20, v1
	s_mov_b32 s34, -1
	s_mov_b32 s33, exec_lo
	s_delay_alu instid0(VALU_DEP_2) | instskip(NEXT) | instid1(VALU_DEP_1)
	v_lshlrev_b64 v[4:5], 4, v[4:5]
	v_add_co_u32 v19, vcc_lo, s9, v4
	s_delay_alu instid0(VALU_DEP_2)
	v_add_co_ci_u32_e32 v20, vcc_lo, s10, v5, vcc_lo
	v_add_co_u32 v4, vcc_lo, s18, v4
	v_add_co_ci_u32_e32 v5, vcc_lo, s19, v5, vcc_lo
	global_load_b128 v[19:22], v[19:20], off
	global_load_b128 v[23:26], v[4:5], off
	s_waitcnt vmcnt(1)
	v_mul_f32_e32 v4, v13, v19
	v_mul_f32_e32 v5, v13, v20
	;; [unrolled: 1-line block ×3, first 2 shown]
	s_waitcnt vmcnt(0)
	s_delay_alu instid0(VALU_DEP_3) | instskip(NEXT) | instid1(VALU_DEP_2)
	v_dual_mul_f32 v19, v13, v21 :: v_dual_mul_f32 v4, v4, v23
	v_dual_mul_f32 v5, v5, v24 :: v_dual_mul_f32 v20, v20, v26
	s_delay_alu instid0(VALU_DEP_2) | instskip(NEXT) | instid1(VALU_DEP_2)
	v_mul_f32_e32 v19, v19, v25
	v_max3_f32 v4, v18, |v4|, |v5|
	s_delay_alu instid0(VALU_DEP_1)
	v_max3_f32 v18, v4, |v19|, |v20|
	v_cmpx_gt_u32_e64 s11, v1
	s_xor_b32 s33, exec_lo, s33
	s_cbranch_execz .LBB3_56
; %bb.62:                               ;   in Loop: Header=BB3_59 Depth=1
	v_lshlrev_b64 v[4:5], 4, v[1:2]
	s_delay_alu instid0(VALU_DEP_1) | instskip(NEXT) | instid1(VALU_DEP_2)
	v_add_co_u32 v19, vcc_lo, s9, v4
	v_add_co_ci_u32_e32 v20, vcc_lo, s10, v5, vcc_lo
	v_add_co_u32 v4, vcc_lo, s18, v4
	v_add_co_ci_u32_e32 v5, vcc_lo, s19, v5, vcc_lo
	global_load_b128 v[19:22], v[19:20], off
	global_load_b128 v[23:26], v[4:5], off
	s_waitcnt vmcnt(1)
	v_mul_f32_e32 v4, v13, v20
	v_mul_f32_e32 v1, v13, v19
	;; [unrolled: 1-line block ×4, first 2 shown]
	s_waitcnt vmcnt(0)
	s_delay_alu instid0(VALU_DEP_3) | instskip(SKIP_3) | instid1(VALU_DEP_4)
	v_dual_mul_f32 v4, v4, v24 :: v_dual_mul_f32 v19, v1, v23
	v_add3_u32 v1, s28, s16, v3
	v_mul_f32_e32 v3, v5, v25
	v_mul_f32_e32 v5, v20, v26
	v_max3_f32 v4, v18, |v19|, |v4|
	s_delay_alu instid0(VALU_DEP_4) | instskip(NEXT) | instid1(VALU_DEP_2)
	v_cmp_le_u32_e32 vcc_lo, s11, v1
	v_max3_f32 v18, v4, |v3|, |v5|
	s_or_not1_b32 s34, vcc_lo, exec_lo
	s_branch .LBB3_56
.LBB3_63:
	s_or_b32 exec_lo, exec_lo, s22
.LBB3_64:
	s_delay_alu instid0(SALU_CYCLE_1) | instskip(SKIP_4) | instid1(VALU_DEP_1)
	s_or_b32 exec_lo, exec_lo, s17
	ds_bpermute_b32 v1, v7, v18
	s_waitcnt lgkmcnt(0)
	v_cmp_lt_f32_e32 vcc_lo, v18, v1
	v_cndmask_b32_e32 v1, v18, v1, vcc_lo
	v_cndmask_b32_e64 v1, v18, v1, s0
	s_or_b32 s0, s0, s1
	s_delay_alu instid0(SALU_CYCLE_1) | instskip(NEXT) | instid1(SALU_CYCLE_1)
	s_or_b32 s0, s3, s0
	s_or_b32 s0, s5, s0
	ds_bpermute_b32 v2, v9, v1
	s_waitcnt lgkmcnt(0)
	v_cmp_lt_f32_e32 vcc_lo, v1, v2
	v_cndmask_b32_e32 v2, v1, v2, vcc_lo
	s_delay_alu instid0(VALU_DEP_1) | instskip(SKIP_4) | instid1(VALU_DEP_1)
	v_cndmask_b32_e64 v1, v1, v2, s1
	ds_bpermute_b32 v2, v10, v1
	s_waitcnt lgkmcnt(0)
	v_cmp_lt_f32_e32 vcc_lo, v1, v2
	v_cndmask_b32_e32 v2, v1, v2, vcc_lo
	v_cndmask_b32_e64 v1, v1, v2, s3
	ds_bpermute_b32 v2, v12, v1
	s_waitcnt lgkmcnt(0)
	v_cmp_lt_f32_e32 vcc_lo, v1, v2
	v_cndmask_b32_e32 v2, v1, v2, vcc_lo
	s_delay_alu instid0(VALU_DEP_1)
	v_cndmask_b32_e64 v1, v1, v2, s5
	ds_bpermute_b32 v2, v15, v1
	s_waitcnt lgkmcnt(0)
	v_cmp_lt_f32_e32 vcc_lo, v1, v2
	s_and_b32 vcc_lo, s8, vcc_lo
	v_cndmask_b32_e32 v1, v1, v2, vcc_lo
	s_or_b32 vcc_lo, s8, s0
	s_delay_alu instid0(VALU_DEP_1)
	v_cndmask_b32_e32 v1, v18, v1, vcc_lo
	s_and_saveexec_b32 s0, s6
	s_cbranch_execz .LBB3_66
; %bb.65:
	v_lshrrev_b32_e32 v2, 3, v0
	s_delay_alu instid0(VALU_DEP_1)
	v_and_b32_e32 v2, 0x7c, v2
	ds_store_b32 v2, v1 offset:128
.LBB3_66:
	s_or_b32 exec_lo, exec_lo, s0
	s_waitcnt lgkmcnt(0)
	s_barrier
	buffer_gl0_inv
	s_and_saveexec_b32 s8, s7
	s_cbranch_execz .LBB3_68
; %bb.67:
	v_lshlrev_b32_e32 v1, 2, v6
	s_add_i32 s0, s16, 31
	s_delay_alu instid0(SALU_CYCLE_1)
	s_lshr_b32 s5, s0, 5
	ds_load_b32 v1, v1 offset:128
	s_waitcnt lgkmcnt(0)
	ds_bpermute_b32 v2, v7, v1
	s_waitcnt lgkmcnt(0)
	v_cmp_lt_f32_e32 vcc_lo, v1, v2
	v_cndmask_b32_e32 v2, v1, v2, vcc_lo
	v_cmp_gt_u32_e32 vcc_lo, s5, v8
	s_delay_alu instid0(VALU_DEP_2) | instskip(SKIP_3) | instid1(VALU_DEP_1)
	v_cndmask_b32_e32 v2, v1, v2, vcc_lo
	ds_bpermute_b32 v3, v9, v2
	s_waitcnt lgkmcnt(0)
	v_cmp_lt_f32_e64 s0, v2, v3
	v_cndmask_b32_e64 v3, v2, v3, s0
	v_cmp_gt_u32_e64 s0, s5, v11
	s_delay_alu instid0(VALU_DEP_1) | instskip(SKIP_4) | instid1(VALU_DEP_1)
	v_cndmask_b32_e64 v2, v2, v3, s0
	s_or_b32 s0, vcc_lo, s0
	ds_bpermute_b32 v3, v10, v2
	s_waitcnt lgkmcnt(0)
	v_cmp_lt_f32_e64 s1, v2, v3
	v_cndmask_b32_e64 v3, v2, v3, s1
	v_cmp_gt_u32_e64 s1, s5, v14
	s_delay_alu instid0(VALU_DEP_1) | instskip(SKIP_4) | instid1(VALU_DEP_1)
	v_cndmask_b32_e64 v2, v2, v3, s1
	s_or_b32 s0, s1, s0
	ds_bpermute_b32 v3, v12, v2
	s_waitcnt lgkmcnt(0)
	v_cmp_lt_f32_e64 s3, v2, v3
	v_cndmask_b32_e64 v3, v2, v3, s3
	v_cmp_gt_u32_e64 s3, s5, v16
	v_cmp_gt_u32_e64 s5, s5, v17
	s_delay_alu instid0(VALU_DEP_2) | instskip(SKIP_4) | instid1(VALU_DEP_1)
	v_cndmask_b32_e64 v2, v2, v3, s3
	s_or_b32 s0, s3, s0
	ds_bpermute_b32 v3, v15, v2
	s_waitcnt lgkmcnt(0)
	v_cmp_lt_f32_e64 s6, v2, v3
	s_and_b32 vcc_lo, s5, s6
	v_cndmask_b32_e32 v2, v2, v3, vcc_lo
	s_or_b32 vcc_lo, s5, s0
	s_delay_alu instid0(VALU_DEP_1)
	v_cndmask_b32_e32 v1, v1, v2, vcc_lo
.LBB3_68:
	s_or_b32 exec_lo, exec_lo, s8
	s_and_saveexec_b32 s0, s4
	s_cbranch_execz .LBB3_72
; %bb.69:
	s_cmp_eq_u64 s[26:27], 0
	s_cbranch_scc1 .LBB3_71
; %bb.70:
	s_load_b32 s1, s[26:27], 0x0
	v_max_f32_e32 v1, v1, v1
	s_waitcnt lgkmcnt(0)
	v_max_f32_e64 v2, s1, s1
	s_delay_alu instid0(VALU_DEP_1)
	v_min_f32_e32 v1, v1, v2
.LBB3_71:
	s_delay_alu instid0(VALU_DEP_1) | instskip(SKIP_2) | instid1(VALU_DEP_2)
	v_div_scale_f32 v2, null, 0x43e00000, 0x43e00000, v1
	v_div_scale_f32 v5, vcc_lo, v1, 0x43e00000, v1
	s_lshl_b64 s[4:5], s[24:25], 2
	v_rcp_f32_e32 v3, v2
	s_add_u32 s4, s14, s4
	s_addc_u32 s5, s15, s5
	s_waitcnt_depctr 0xfff
	v_fma_f32 v4, -v2, v3, 1.0
	s_delay_alu instid0(VALU_DEP_1) | instskip(NEXT) | instid1(VALU_DEP_1)
	v_fmac_f32_e32 v3, v4, v3
	v_mul_f32_e32 v4, v5, v3
	s_delay_alu instid0(VALU_DEP_1) | instskip(NEXT) | instid1(VALU_DEP_1)
	v_fma_f32 v6, -v2, v4, v5
	v_fmac_f32_e32 v4, v6, v3
	s_delay_alu instid0(VALU_DEP_1) | instskip(NEXT) | instid1(VALU_DEP_1)
	v_fma_f32 v2, -v2, v4, v5
	v_div_fmas_f32 v2, v2, v3, v4
	s_delay_alu instid0(VALU_DEP_1) | instskip(NEXT) | instid1(VALU_DEP_1)
	v_div_fixup_f32 v1, v2, 0x43e00000, v1
	v_dual_mov_b32 v2, 0 :: v_dual_max_f32 v1, 0x36924925, v1
	ds_store_b32 v2, v1 offset:516
	global_store_b32 v2, v1, s[4:5]
.LBB3_72:
	s_or_b32 exec_lo, exec_lo, s0
	s_waitcnt lgkmcnt(0)
	s_waitcnt_vscnt null, 0x0
	s_barrier
	buffer_gl0_inv
	s_and_saveexec_b32 s0, s2
	s_cbranch_execz .LBB3_177
; %bb.73:
	v_mov_b32_e32 v1, 0
	s_ashr_i32 s0, s21, 31
	s_mul_hi_u32 s1, s21, s24
	s_mul_i32 s0, s0, s24
	s_mul_i32 s2, s21, s24
	ds_load_b32 v14, v1 offset:516
	s_add_i32 s1, s1, s0
	s_add_u32 s0, s12, s2
	s_addc_u32 s1, s13, s1
	s_mul_i32 s2, s16, 3
	s_lshl_b32 s3, s16, 1
	s_mov_b32 s4, 0
	s_mov_b32 s5, 0x43e00000
	s_add_i32 s6, s16, s16
	s_branch .LBB3_79
.LBB3_74:                               ;   in Loop: Header=BB3_79 Depth=1
	s_or_b32 exec_lo, exec_lo, s14
.LBB3_75:                               ;   in Loop: Header=BB3_79 Depth=1
	s_delay_alu instid0(SALU_CYCLE_1)
	s_or_b32 exec_lo, exec_lo, s13
	v_lshrrev_b32_e32 v8, 24, v8
	v_lshrrev_b32_e32 v3, 24, v3
	;; [unrolled: 1-line block ×3, first 2 shown]
	v_lshlrev_b32_e32 v4, 24, v4
	v_and_b32_e32 v5, 0x80000000, v5
	v_and_b32_e32 v8, 0x80, v8
	;; [unrolled: 1-line block ×4, first 2 shown]
	s_delay_alu instid0(VALU_DEP_3) | instskip(NEXT) | instid1(VALU_DEP_3)
	v_and_or_b32 v7, 0xff, v7, v8
	v_and_or_b32 v8, 0xff, v2, v3
	v_lshlrev_b64 v[2:3], 2, v[0:1]
	v_add3_u32 v0, s6, s16, v10
	v_and_or_b32 v6, 0x80, v9, v6
	v_lshlrev_b32_e32 v7, 16, v7
	v_lshlrev_b32_e32 v8, 8, v8
	v_add_co_u32 v2, vcc_lo, s0, v2
	s_delay_alu instid0(VALU_DEP_3) | instskip(SKIP_2) | instid1(VALU_DEP_3)
	v_or3_b32 v4, v5, v4, v7
	v_add_co_ci_u32_e32 v3, vcc_lo, s1, v3, vcc_lo
	v_cmp_le_u32_e32 vcc_lo, s11, v0
	v_or3_b32 v4, v4, v8, v6
	s_or_not1_b32 s13, vcc_lo, exec_lo
	global_store_b32 v[2:3], v4, off
.LBB3_76:                               ;   in Loop: Header=BB3_79 Depth=1
	s_or_b32 exec_lo, exec_lo, s12
	s_delay_alu instid0(SALU_CYCLE_1)
	s_or_not1_b32 s12, s13, exec_lo
.LBB3_77:                               ;   in Loop: Header=BB3_79 Depth=1
	s_or_b32 exec_lo, exec_lo, s8
	s_delay_alu instid0(SALU_CYCLE_1)
	s_or_not1_b32 s8, s12, exec_lo
.LBB3_78:                               ;   in Loop: Header=BB3_79 Depth=1
	s_or_b32 exec_lo, exec_lo, s7
	s_delay_alu instid0(SALU_CYCLE_1) | instskip(NEXT) | instid1(SALU_CYCLE_1)
	s_and_b32 s7, exec_lo, s8
	s_or_b32 s4, s7, s4
	s_delay_alu instid0(SALU_CYCLE_1)
	s_and_not1_b32 exec_lo, exec_lo, s4
	s_cbranch_execz .LBB3_177
.LBB3_79:                               ; =>This Inner Loop Header: Depth=1
	v_lshlrev_b64 v[2:3], 4, v[0:1]
	s_mov_b32 s7, exec_lo
	s_delay_alu instid0(VALU_DEP_1) | instskip(NEXT) | instid1(VALU_DEP_2)
	v_add_co_u32 v4, vcc_lo, s9, v2
	v_add_co_ci_u32_e32 v5, vcc_lo, s10, v3, vcc_lo
	v_add_co_u32 v6, vcc_lo, s18, v2
	v_add_co_ci_u32_e32 v7, vcc_lo, s19, v3, vcc_lo
	global_load_b128 v[2:5], v[4:5], off
	global_load_b128 v[6:9], v[6:7], off
	s_waitcnt vmcnt(1)
	v_mul_f32_e32 v2, v13, v2
	s_waitcnt vmcnt(0)
	s_delay_alu instid0(VALU_DEP_1) | instskip(SKIP_1) | instid1(VALU_DEP_1)
	v_mul_f32_e32 v2, v2, v6
	s_waitcnt lgkmcnt(0)
	v_div_scale_f32 v6, null, v14, v14, v2
	v_div_scale_f32 v12, vcc_lo, v2, v14, v2
	s_delay_alu instid0(VALU_DEP_2) | instskip(SKIP_2) | instid1(VALU_DEP_1)
	v_rcp_f32_e32 v10, v6
	s_waitcnt_depctr 0xfff
	v_fma_f32 v11, -v6, v10, 1.0
	v_fmac_f32_e32 v10, v11, v10
	s_delay_alu instid0(VALU_DEP_1) | instskip(NEXT) | instid1(VALU_DEP_1)
	v_mul_f32_e32 v11, v12, v10
	v_fma_f32 v15, -v6, v11, v12
	s_delay_alu instid0(VALU_DEP_1) | instskip(NEXT) | instid1(VALU_DEP_1)
	v_fmac_f32_e32 v11, v15, v10
	v_fma_f32 v6, -v6, v11, v12
	s_delay_alu instid0(VALU_DEP_1) | instskip(NEXT) | instid1(VALU_DEP_1)
	v_div_fmas_f32 v6, v6, v10, v11
	v_div_fixup_f32 v2, v6, v14, v2
	v_mov_b32_e32 v6, 0x7f
	s_delay_alu instid0(VALU_DEP_2) | instskip(SKIP_1) | instid1(VALU_DEP_2)
	v_minmax_f32 v10, v2, s5, 0xc3e00000
	v_mov_b32_e32 v2, 0x7f
	v_and_b32_e32 v11, 0x7fffffff, v10
	s_delay_alu instid0(VALU_DEP_1)
	v_cmpx_gt_u32_e32 0x43f00000, v11
	s_cbranch_execz .LBB3_85
; %bb.80:                               ;   in Loop: Header=BB3_79 Depth=1
	s_mov_b32 s8, exec_lo
                                        ; implicit-def: $vgpr6
	v_cmpx_lt_u32_e32 0x3c7fffff, v11
	s_xor_b32 s8, exec_lo, s8
; %bb.81:                               ;   in Loop: Header=BB3_79 Depth=1
	v_bfe_u32 v6, v10, 20, 1
	s_delay_alu instid0(VALU_DEP_1) | instskip(NEXT) | instid1(VALU_DEP_1)
	v_add3_u32 v6, v10, v6, 0x407ffff
	v_lshrrev_b32_e32 v6, 20, v6
; %bb.82:                               ;   in Loop: Header=BB3_79 Depth=1
	s_and_not1_saveexec_b32 s8, s8
; %bb.83:                               ;   in Loop: Header=BB3_79 Depth=1
	v_add_f32_e64 v6, 0x46800000, |v10|
; %bb.84:                               ;   in Loop: Header=BB3_79 Depth=1
	s_or_b32 exec_lo, exec_lo, s8
.LBB3_85:                               ;   in Loop: Header=BB3_79 Depth=1
	s_delay_alu instid0(SALU_CYCLE_1) | instskip(SKIP_2) | instid1(VALU_DEP_1)
	s_or_b32 exec_lo, exec_lo, s7
	v_mul_f32_e32 v3, v13, v3
	s_mov_b32 s7, exec_lo
	v_mul_f32_e32 v3, v3, v7
	s_delay_alu instid0(VALU_DEP_1) | instskip(NEXT) | instid1(VALU_DEP_1)
	v_div_scale_f32 v7, null, v14, v14, v3
	v_rcp_f32_e32 v11, v7
	s_waitcnt_depctr 0xfff
	v_fma_f32 v12, -v7, v11, 1.0
	s_delay_alu instid0(VALU_DEP_1) | instskip(SKIP_1) | instid1(VALU_DEP_1)
	v_fmac_f32_e32 v11, v12, v11
	v_div_scale_f32 v12, vcc_lo, v3, v14, v3
	v_mul_f32_e32 v15, v12, v11
	s_delay_alu instid0(VALU_DEP_1) | instskip(NEXT) | instid1(VALU_DEP_1)
	v_fma_f32 v16, -v7, v15, v12
	v_fmac_f32_e32 v15, v16, v11
	s_delay_alu instid0(VALU_DEP_1) | instskip(NEXT) | instid1(VALU_DEP_1)
	v_fma_f32 v7, -v7, v15, v12
	v_div_fmas_f32 v7, v7, v11, v15
	s_delay_alu instid0(VALU_DEP_1) | instskip(NEXT) | instid1(VALU_DEP_1)
	v_div_fixup_f32 v3, v7, v14, v3
	v_minmax_f32 v3, v3, s5, 0xc3e00000
	s_delay_alu instid0(VALU_DEP_1) | instskip(NEXT) | instid1(VALU_DEP_1)
	v_and_b32_e32 v7, 0x7fffffff, v3
	v_cmpx_gt_u32_e32 0x43f00000, v7
	s_cbranch_execz .LBB3_91
; %bb.86:                               ;   in Loop: Header=BB3_79 Depth=1
	s_mov_b32 s8, exec_lo
                                        ; implicit-def: $vgpr2
	v_cmpx_lt_u32_e32 0x3c7fffff, v7
	s_xor_b32 s8, exec_lo, s8
; %bb.87:                               ;   in Loop: Header=BB3_79 Depth=1
	v_bfe_u32 v2, v3, 20, 1
	s_delay_alu instid0(VALU_DEP_1) | instskip(NEXT) | instid1(VALU_DEP_1)
	v_add3_u32 v2, v3, v2, 0x407ffff
	v_lshrrev_b32_e32 v2, 20, v2
; %bb.88:                               ;   in Loop: Header=BB3_79 Depth=1
	s_and_not1_saveexec_b32 s8, s8
; %bb.89:                               ;   in Loop: Header=BB3_79 Depth=1
	v_add_f32_e64 v2, 0x46800000, |v3|
; %bb.90:                               ;   in Loop: Header=BB3_79 Depth=1
	s_or_b32 exec_lo, exec_lo, s8
.LBB3_91:                               ;   in Loop: Header=BB3_79 Depth=1
	s_delay_alu instid0(SALU_CYCLE_1) | instskip(SKIP_2) | instid1(VALU_DEP_1)
	s_or_b32 exec_lo, exec_lo, s7
	v_mul_f32_e32 v4, v13, v4
	s_mov_b32 s7, exec_lo
	v_mul_f32_e32 v4, v4, v8
	s_delay_alu instid0(VALU_DEP_1) | instskip(SKIP_1) | instid1(VALU_DEP_2)
	v_div_scale_f32 v7, null, v14, v14, v4
	v_div_scale_f32 v12, vcc_lo, v4, v14, v4
	v_rcp_f32_e32 v8, v7
	s_waitcnt_depctr 0xfff
	v_fma_f32 v11, -v7, v8, 1.0
	s_delay_alu instid0(VALU_DEP_1) | instskip(NEXT) | instid1(VALU_DEP_1)
	v_fmac_f32_e32 v8, v11, v8
	v_mul_f32_e32 v11, v12, v8
	s_delay_alu instid0(VALU_DEP_1) | instskip(NEXT) | instid1(VALU_DEP_1)
	v_fma_f32 v15, -v7, v11, v12
	v_fmac_f32_e32 v11, v15, v8
	s_delay_alu instid0(VALU_DEP_1) | instskip(NEXT) | instid1(VALU_DEP_1)
	v_fma_f32 v7, -v7, v11, v12
	v_div_fmas_f32 v7, v7, v8, v11
	s_delay_alu instid0(VALU_DEP_1) | instskip(SKIP_1) | instid1(VALU_DEP_2)
	v_div_fixup_f32 v4, v7, v14, v4
	v_mov_b32_e32 v7, 0x7f
	v_minmax_f32 v8, v4, s5, 0xc3e00000
	v_mov_b32_e32 v4, 0x7f
	s_delay_alu instid0(VALU_DEP_2) | instskip(NEXT) | instid1(VALU_DEP_1)
	v_and_b32_e32 v11, 0x7fffffff, v8
	v_cmpx_gt_u32_e32 0x43f00000, v11
	s_cbranch_execz .LBB3_97
; %bb.92:                               ;   in Loop: Header=BB3_79 Depth=1
	s_mov_b32 s8, exec_lo
                                        ; implicit-def: $vgpr7
	v_cmpx_lt_u32_e32 0x3c7fffff, v11
	s_xor_b32 s8, exec_lo, s8
; %bb.93:                               ;   in Loop: Header=BB3_79 Depth=1
	v_bfe_u32 v7, v8, 20, 1
	s_delay_alu instid0(VALU_DEP_1) | instskip(NEXT) | instid1(VALU_DEP_1)
	v_add3_u32 v7, v8, v7, 0x407ffff
	v_lshrrev_b32_e32 v7, 20, v7
; %bb.94:                               ;   in Loop: Header=BB3_79 Depth=1
	s_and_not1_saveexec_b32 s8, s8
; %bb.95:                               ;   in Loop: Header=BB3_79 Depth=1
	v_add_f32_e64 v7, 0x46800000, |v8|
; %bb.96:                               ;   in Loop: Header=BB3_79 Depth=1
	s_or_b32 exec_lo, exec_lo, s8
.LBB3_97:                               ;   in Loop: Header=BB3_79 Depth=1
	s_delay_alu instid0(SALU_CYCLE_1) | instskip(SKIP_2) | instid1(VALU_DEP_1)
	s_or_b32 exec_lo, exec_lo, s7
	v_mul_f32_e32 v5, v13, v5
	s_mov_b32 s7, exec_lo
	v_mul_f32_e32 v5, v5, v9
	s_delay_alu instid0(VALU_DEP_1) | instskip(NEXT) | instid1(VALU_DEP_1)
	v_div_scale_f32 v9, null, v14, v14, v5
	v_rcp_f32_e32 v11, v9
	s_waitcnt_depctr 0xfff
	v_fma_f32 v12, -v9, v11, 1.0
	s_delay_alu instid0(VALU_DEP_1) | instskip(SKIP_1) | instid1(VALU_DEP_1)
	v_fmac_f32_e32 v11, v12, v11
	v_div_scale_f32 v12, vcc_lo, v5, v14, v5
	v_mul_f32_e32 v15, v12, v11
	s_delay_alu instid0(VALU_DEP_1) | instskip(NEXT) | instid1(VALU_DEP_1)
	v_fma_f32 v16, -v9, v15, v12
	v_fmac_f32_e32 v15, v16, v11
	s_delay_alu instid0(VALU_DEP_1) | instskip(NEXT) | instid1(VALU_DEP_1)
	v_fma_f32 v9, -v9, v15, v12
	v_div_fmas_f32 v9, v9, v11, v15
	s_delay_alu instid0(VALU_DEP_1) | instskip(NEXT) | instid1(VALU_DEP_1)
	v_div_fixup_f32 v5, v9, v14, v5
	v_minmax_f32 v5, v5, s5, 0xc3e00000
	s_delay_alu instid0(VALU_DEP_1) | instskip(NEXT) | instid1(VALU_DEP_1)
	v_and_b32_e32 v9, 0x7fffffff, v5
	v_cmpx_gt_u32_e32 0x43f00000, v9
	s_cbranch_execz .LBB3_103
; %bb.98:                               ;   in Loop: Header=BB3_79 Depth=1
	s_mov_b32 s8, exec_lo
                                        ; implicit-def: $vgpr4
	v_cmpx_lt_u32_e32 0x3c7fffff, v9
	s_xor_b32 s8, exec_lo, s8
; %bb.99:                               ;   in Loop: Header=BB3_79 Depth=1
	v_bfe_u32 v4, v5, 20, 1
	s_delay_alu instid0(VALU_DEP_1) | instskip(NEXT) | instid1(VALU_DEP_1)
	v_add3_u32 v4, v5, v4, 0x407ffff
	v_lshrrev_b32_e32 v4, 20, v4
; %bb.100:                              ;   in Loop: Header=BB3_79 Depth=1
	s_and_not1_saveexec_b32 s8, s8
; %bb.101:                              ;   in Loop: Header=BB3_79 Depth=1
	v_add_f32_e64 v4, 0x46800000, |v5|
; %bb.102:                              ;   in Loop: Header=BB3_79 Depth=1
	s_or_b32 exec_lo, exec_lo, s8
.LBB3_103:                              ;   in Loop: Header=BB3_79 Depth=1
	s_delay_alu instid0(SALU_CYCLE_1)
	s_or_b32 exec_lo, exec_lo, s7
	v_lshrrev_b32_e32 v8, 24, v8
	v_lshrrev_b32_e32 v3, 24, v3
	;; [unrolled: 1-line block ×3, first 2 shown]
	v_lshlrev_b32_e32 v4, 24, v4
	v_and_b32_e32 v5, 0x80000000, v5
	v_and_b32_e32 v8, 0x80, v8
	;; [unrolled: 1-line block ×4, first 2 shown]
	v_add_nc_u32_e32 v10, s16, v0
	s_mov_b32 s8, -1
	v_and_or_b32 v7, 0xff, v7, v8
	v_and_or_b32 v8, 0xff, v2, v3
	v_lshlrev_b64 v[2:3], 2, v[0:1]
	v_and_or_b32 v6, 0x80, v9, v6
	s_mov_b32 s7, exec_lo
	v_lshlrev_b32_e32 v7, 16, v7
	v_lshlrev_b32_e32 v8, 8, v8
	s_delay_alu instid0(VALU_DEP_4) | instskip(NEXT) | instid1(VALU_DEP_3)
	v_add_co_u32 v2, vcc_lo, s0, v2
	v_or3_b32 v4, v5, v4, v7
	v_add_co_ci_u32_e32 v3, vcc_lo, s1, v3, vcc_lo
	s_delay_alu instid0(VALU_DEP_2)
	v_or3_b32 v4, v4, v8, v6
	global_store_b32 v[2:3], v4, off
	v_cmpx_gt_u32_e64 s11, v10
	s_cbranch_execz .LBB3_78
; %bb.104:                              ;   in Loop: Header=BB3_79 Depth=1
	v_mov_b32_e32 v11, v1
	s_mov_b32 s8, exec_lo
	s_delay_alu instid0(VALU_DEP_1) | instskip(NEXT) | instid1(VALU_DEP_1)
	v_lshlrev_b64 v[2:3], 4, v[10:11]
	v_add_co_u32 v4, vcc_lo, s9, v2
	s_delay_alu instid0(VALU_DEP_2)
	v_add_co_ci_u32_e32 v5, vcc_lo, s10, v3, vcc_lo
	v_add_co_u32 v6, vcc_lo, s18, v2
	v_add_co_ci_u32_e32 v7, vcc_lo, s19, v3, vcc_lo
	global_load_b128 v[2:5], v[4:5], off
	global_load_b128 v[6:9], v[6:7], off
	s_waitcnt vmcnt(1)
	v_mul_f32_e32 v2, v13, v2
	s_waitcnt vmcnt(0)
	s_delay_alu instid0(VALU_DEP_1) | instskip(NEXT) | instid1(VALU_DEP_1)
	v_mul_f32_e32 v2, v2, v6
	v_div_scale_f32 v6, null, v14, v14, v2
	v_div_scale_f32 v16, vcc_lo, v2, v14, v2
	s_delay_alu instid0(VALU_DEP_2) | instskip(SKIP_2) | instid1(VALU_DEP_1)
	v_rcp_f32_e32 v12, v6
	s_waitcnt_depctr 0xfff
	v_fma_f32 v15, -v6, v12, 1.0
	v_fmac_f32_e32 v12, v15, v12
	s_delay_alu instid0(VALU_DEP_1) | instskip(NEXT) | instid1(VALU_DEP_1)
	v_mul_f32_e32 v15, v16, v12
	v_fma_f32 v17, -v6, v15, v16
	s_delay_alu instid0(VALU_DEP_1) | instskip(NEXT) | instid1(VALU_DEP_1)
	v_fmac_f32_e32 v15, v17, v12
	v_fma_f32 v6, -v6, v15, v16
	s_delay_alu instid0(VALU_DEP_1) | instskip(NEXT) | instid1(VALU_DEP_1)
	v_div_fmas_f32 v6, v6, v12, v15
	v_div_fixup_f32 v2, v6, v14, v2
	v_mov_b32_e32 v6, 0x7f
	s_delay_alu instid0(VALU_DEP_2) | instskip(SKIP_1) | instid1(VALU_DEP_2)
	v_minmax_f32 v12, v2, s5, 0xc3e00000
	v_mov_b32_e32 v2, 0x7f
	v_and_b32_e32 v15, 0x7fffffff, v12
	s_delay_alu instid0(VALU_DEP_1)
	v_cmpx_gt_u32_e32 0x43f00000, v15
	s_cbranch_execz .LBB3_110
; %bb.105:                              ;   in Loop: Header=BB3_79 Depth=1
	s_mov_b32 s12, exec_lo
                                        ; implicit-def: $vgpr6
	v_cmpx_lt_u32_e32 0x3c7fffff, v15
	s_xor_b32 s12, exec_lo, s12
; %bb.106:                              ;   in Loop: Header=BB3_79 Depth=1
	v_bfe_u32 v6, v12, 20, 1
	s_delay_alu instid0(VALU_DEP_1) | instskip(NEXT) | instid1(VALU_DEP_1)
	v_add3_u32 v6, v12, v6, 0x407ffff
	v_lshrrev_b32_e32 v6, 20, v6
; %bb.107:                              ;   in Loop: Header=BB3_79 Depth=1
	s_and_not1_saveexec_b32 s12, s12
; %bb.108:                              ;   in Loop: Header=BB3_79 Depth=1
	v_add_f32_e64 v6, 0x46800000, |v12|
; %bb.109:                              ;   in Loop: Header=BB3_79 Depth=1
	s_or_b32 exec_lo, exec_lo, s12
.LBB3_110:                              ;   in Loop: Header=BB3_79 Depth=1
	s_delay_alu instid0(SALU_CYCLE_1) | instskip(SKIP_2) | instid1(VALU_DEP_1)
	s_or_b32 exec_lo, exec_lo, s8
	v_mul_f32_e32 v3, v13, v3
	s_mov_b32 s8, exec_lo
	v_mul_f32_e32 v3, v3, v7
	s_delay_alu instid0(VALU_DEP_1) | instskip(NEXT) | instid1(VALU_DEP_1)
	v_div_scale_f32 v7, null, v14, v14, v3
	v_rcp_f32_e32 v15, v7
	s_waitcnt_depctr 0xfff
	v_fma_f32 v16, -v7, v15, 1.0
	s_delay_alu instid0(VALU_DEP_1) | instskip(SKIP_1) | instid1(VALU_DEP_1)
	v_fmac_f32_e32 v15, v16, v15
	v_div_scale_f32 v16, vcc_lo, v3, v14, v3
	v_mul_f32_e32 v17, v16, v15
	s_delay_alu instid0(VALU_DEP_1) | instskip(NEXT) | instid1(VALU_DEP_1)
	v_fma_f32 v18, -v7, v17, v16
	v_fmac_f32_e32 v17, v18, v15
	s_delay_alu instid0(VALU_DEP_1) | instskip(NEXT) | instid1(VALU_DEP_1)
	v_fma_f32 v7, -v7, v17, v16
	v_div_fmas_f32 v7, v7, v15, v17
	s_delay_alu instid0(VALU_DEP_1) | instskip(NEXT) | instid1(VALU_DEP_1)
	v_div_fixup_f32 v3, v7, v14, v3
	v_minmax_f32 v3, v3, s5, 0xc3e00000
	s_delay_alu instid0(VALU_DEP_1) | instskip(NEXT) | instid1(VALU_DEP_1)
	v_and_b32_e32 v7, 0x7fffffff, v3
	v_cmpx_gt_u32_e32 0x43f00000, v7
	s_cbranch_execz .LBB3_116
; %bb.111:                              ;   in Loop: Header=BB3_79 Depth=1
	s_mov_b32 s12, exec_lo
                                        ; implicit-def: $vgpr2
	v_cmpx_lt_u32_e32 0x3c7fffff, v7
	s_xor_b32 s12, exec_lo, s12
; %bb.112:                              ;   in Loop: Header=BB3_79 Depth=1
	v_bfe_u32 v2, v3, 20, 1
	s_delay_alu instid0(VALU_DEP_1) | instskip(NEXT) | instid1(VALU_DEP_1)
	v_add3_u32 v2, v3, v2, 0x407ffff
	v_lshrrev_b32_e32 v2, 20, v2
; %bb.113:                              ;   in Loop: Header=BB3_79 Depth=1
	s_and_not1_saveexec_b32 s12, s12
; %bb.114:                              ;   in Loop: Header=BB3_79 Depth=1
	v_add_f32_e64 v2, 0x46800000, |v3|
; %bb.115:                              ;   in Loop: Header=BB3_79 Depth=1
	s_or_b32 exec_lo, exec_lo, s12
.LBB3_116:                              ;   in Loop: Header=BB3_79 Depth=1
	s_delay_alu instid0(SALU_CYCLE_1) | instskip(SKIP_2) | instid1(VALU_DEP_1)
	s_or_b32 exec_lo, exec_lo, s8
	v_mul_f32_e32 v4, v13, v4
	s_mov_b32 s8, exec_lo
	v_mul_f32_e32 v4, v4, v8
	s_delay_alu instid0(VALU_DEP_1) | instskip(SKIP_1) | instid1(VALU_DEP_2)
	v_div_scale_f32 v7, null, v14, v14, v4
	v_div_scale_f32 v16, vcc_lo, v4, v14, v4
	v_rcp_f32_e32 v8, v7
	s_waitcnt_depctr 0xfff
	v_fma_f32 v15, -v7, v8, 1.0
	s_delay_alu instid0(VALU_DEP_1) | instskip(NEXT) | instid1(VALU_DEP_1)
	v_fmac_f32_e32 v8, v15, v8
	v_mul_f32_e32 v15, v16, v8
	s_delay_alu instid0(VALU_DEP_1) | instskip(NEXT) | instid1(VALU_DEP_1)
	v_fma_f32 v17, -v7, v15, v16
	v_fmac_f32_e32 v15, v17, v8
	s_delay_alu instid0(VALU_DEP_1) | instskip(NEXT) | instid1(VALU_DEP_1)
	v_fma_f32 v7, -v7, v15, v16
	v_div_fmas_f32 v7, v7, v8, v15
	s_delay_alu instid0(VALU_DEP_1) | instskip(SKIP_1) | instid1(VALU_DEP_2)
	v_div_fixup_f32 v4, v7, v14, v4
	v_mov_b32_e32 v7, 0x7f
	v_minmax_f32 v8, v4, s5, 0xc3e00000
	v_mov_b32_e32 v4, 0x7f
	s_delay_alu instid0(VALU_DEP_2) | instskip(NEXT) | instid1(VALU_DEP_1)
	v_and_b32_e32 v15, 0x7fffffff, v8
	v_cmpx_gt_u32_e32 0x43f00000, v15
	s_cbranch_execz .LBB3_122
; %bb.117:                              ;   in Loop: Header=BB3_79 Depth=1
	s_mov_b32 s12, exec_lo
                                        ; implicit-def: $vgpr7
	v_cmpx_lt_u32_e32 0x3c7fffff, v15
	s_xor_b32 s12, exec_lo, s12
; %bb.118:                              ;   in Loop: Header=BB3_79 Depth=1
	v_bfe_u32 v7, v8, 20, 1
	s_delay_alu instid0(VALU_DEP_1) | instskip(NEXT) | instid1(VALU_DEP_1)
	v_add3_u32 v7, v8, v7, 0x407ffff
	v_lshrrev_b32_e32 v7, 20, v7
; %bb.119:                              ;   in Loop: Header=BB3_79 Depth=1
	s_and_not1_saveexec_b32 s12, s12
; %bb.120:                              ;   in Loop: Header=BB3_79 Depth=1
	v_add_f32_e64 v7, 0x46800000, |v8|
; %bb.121:                              ;   in Loop: Header=BB3_79 Depth=1
	s_or_b32 exec_lo, exec_lo, s12
.LBB3_122:                              ;   in Loop: Header=BB3_79 Depth=1
	s_delay_alu instid0(SALU_CYCLE_1) | instskip(SKIP_2) | instid1(VALU_DEP_1)
	s_or_b32 exec_lo, exec_lo, s8
	v_mul_f32_e32 v5, v13, v5
	s_mov_b32 s8, exec_lo
	v_mul_f32_e32 v5, v5, v9
	s_delay_alu instid0(VALU_DEP_1) | instskip(NEXT) | instid1(VALU_DEP_1)
	v_div_scale_f32 v9, null, v14, v14, v5
	v_rcp_f32_e32 v15, v9
	s_waitcnt_depctr 0xfff
	v_fma_f32 v16, -v9, v15, 1.0
	s_delay_alu instid0(VALU_DEP_1) | instskip(SKIP_1) | instid1(VALU_DEP_1)
	v_fmac_f32_e32 v15, v16, v15
	v_div_scale_f32 v16, vcc_lo, v5, v14, v5
	v_mul_f32_e32 v17, v16, v15
	s_delay_alu instid0(VALU_DEP_1) | instskip(NEXT) | instid1(VALU_DEP_1)
	v_fma_f32 v18, -v9, v17, v16
	v_fmac_f32_e32 v17, v18, v15
	s_delay_alu instid0(VALU_DEP_1) | instskip(NEXT) | instid1(VALU_DEP_1)
	v_fma_f32 v9, -v9, v17, v16
	v_div_fmas_f32 v9, v9, v15, v17
	s_delay_alu instid0(VALU_DEP_1) | instskip(NEXT) | instid1(VALU_DEP_1)
	v_div_fixup_f32 v5, v9, v14, v5
	v_minmax_f32 v5, v5, s5, 0xc3e00000
	s_delay_alu instid0(VALU_DEP_1) | instskip(NEXT) | instid1(VALU_DEP_1)
	v_and_b32_e32 v9, 0x7fffffff, v5
	v_cmpx_gt_u32_e32 0x43f00000, v9
	s_cbranch_execz .LBB3_128
; %bb.123:                              ;   in Loop: Header=BB3_79 Depth=1
	s_mov_b32 s12, exec_lo
                                        ; implicit-def: $vgpr4
	v_cmpx_lt_u32_e32 0x3c7fffff, v9
	s_xor_b32 s12, exec_lo, s12
; %bb.124:                              ;   in Loop: Header=BB3_79 Depth=1
	v_bfe_u32 v4, v5, 20, 1
	s_delay_alu instid0(VALU_DEP_1) | instskip(NEXT) | instid1(VALU_DEP_1)
	v_add3_u32 v4, v5, v4, 0x407ffff
	v_lshrrev_b32_e32 v4, 20, v4
; %bb.125:                              ;   in Loop: Header=BB3_79 Depth=1
	s_and_not1_saveexec_b32 s12, s12
; %bb.126:                              ;   in Loop: Header=BB3_79 Depth=1
	v_add_f32_e64 v4, 0x46800000, |v5|
; %bb.127:                              ;   in Loop: Header=BB3_79 Depth=1
	s_or_b32 exec_lo, exec_lo, s12
.LBB3_128:                              ;   in Loop: Header=BB3_79 Depth=1
	s_delay_alu instid0(SALU_CYCLE_1)
	s_or_b32 exec_lo, exec_lo, s8
	v_lshrrev_b32_e32 v8, 24, v8
	v_lshrrev_b32_e32 v3, 24, v3
	;; [unrolled: 1-line block ×3, first 2 shown]
	v_lshlrev_b32_e32 v4, 24, v4
	v_and_b32_e32 v5, 0x80000000, v5
	v_and_b32_e32 v8, 0x80, v8
	;; [unrolled: 1-line block ×4, first 2 shown]
	s_mov_b32 s12, -1
	s_mov_b32 s8, exec_lo
	v_and_or_b32 v7, 0xff, v7, v8
	v_and_or_b32 v8, 0xff, v2, v3
	v_lshlrev_b64 v[2:3], 2, v[10:11]
	v_and_or_b32 v6, 0x80, v9, v6
	v_add_nc_u32_e32 v11, s3, v0
	v_lshlrev_b32_e32 v7, 16, v7
	v_lshlrev_b32_e32 v8, 8, v8
	v_add_co_u32 v2, vcc_lo, s0, v2
	s_delay_alu instid0(VALU_DEP_3) | instskip(SKIP_1) | instid1(VALU_DEP_2)
	v_or3_b32 v4, v5, v4, v7
	v_add_co_ci_u32_e32 v3, vcc_lo, s1, v3, vcc_lo
	v_or3_b32 v4, v4, v8, v6
	global_store_b32 v[2:3], v4, off
	v_cmpx_gt_u32_e64 s11, v11
	s_cbranch_execz .LBB3_77
; %bb.129:                              ;   in Loop: Header=BB3_79 Depth=1
	v_mov_b32_e32 v12, v1
	s_mov_b32 s12, exec_lo
	s_delay_alu instid0(VALU_DEP_1) | instskip(NEXT) | instid1(VALU_DEP_1)
	v_lshlrev_b64 v[2:3], 4, v[11:12]
	v_add_co_u32 v4, vcc_lo, s9, v2
	s_delay_alu instid0(VALU_DEP_2)
	v_add_co_ci_u32_e32 v5, vcc_lo, s10, v3, vcc_lo
	v_add_co_u32 v6, vcc_lo, s18, v2
	v_add_co_ci_u32_e32 v7, vcc_lo, s19, v3, vcc_lo
	global_load_b128 v[2:5], v[4:5], off
	global_load_b128 v[6:9], v[6:7], off
	s_waitcnt vmcnt(1)
	v_mul_f32_e32 v2, v13, v2
	s_waitcnt vmcnt(0)
	s_delay_alu instid0(VALU_DEP_1) | instskip(NEXT) | instid1(VALU_DEP_1)
	v_mul_f32_e32 v2, v2, v6
	v_div_scale_f32 v6, null, v14, v14, v2
	v_div_scale_f32 v17, vcc_lo, v2, v14, v2
	s_delay_alu instid0(VALU_DEP_2) | instskip(SKIP_2) | instid1(VALU_DEP_1)
	v_rcp_f32_e32 v15, v6
	s_waitcnt_depctr 0xfff
	v_fma_f32 v16, -v6, v15, 1.0
	v_fmac_f32_e32 v15, v16, v15
	s_delay_alu instid0(VALU_DEP_1) | instskip(NEXT) | instid1(VALU_DEP_1)
	v_mul_f32_e32 v16, v17, v15
	v_fma_f32 v18, -v6, v16, v17
	s_delay_alu instid0(VALU_DEP_1) | instskip(NEXT) | instid1(VALU_DEP_1)
	v_fmac_f32_e32 v16, v18, v15
	v_fma_f32 v6, -v6, v16, v17
	s_delay_alu instid0(VALU_DEP_1) | instskip(NEXT) | instid1(VALU_DEP_1)
	v_div_fmas_f32 v6, v6, v15, v16
	v_div_fixup_f32 v2, v6, v14, v2
	v_mov_b32_e32 v6, 0x7f
	s_delay_alu instid0(VALU_DEP_2) | instskip(SKIP_1) | instid1(VALU_DEP_2)
	v_minmax_f32 v15, v2, s5, 0xc3e00000
	v_mov_b32_e32 v2, 0x7f
	v_and_b32_e32 v16, 0x7fffffff, v15
	s_delay_alu instid0(VALU_DEP_1)
	v_cmpx_gt_u32_e32 0x43f00000, v16
	s_cbranch_execz .LBB3_135
; %bb.130:                              ;   in Loop: Header=BB3_79 Depth=1
	s_mov_b32 s13, exec_lo
                                        ; implicit-def: $vgpr6
	v_cmpx_lt_u32_e32 0x3c7fffff, v16
	s_xor_b32 s13, exec_lo, s13
; %bb.131:                              ;   in Loop: Header=BB3_79 Depth=1
	v_bfe_u32 v6, v15, 20, 1
	s_delay_alu instid0(VALU_DEP_1) | instskip(NEXT) | instid1(VALU_DEP_1)
	v_add3_u32 v6, v15, v6, 0x407ffff
	v_lshrrev_b32_e32 v6, 20, v6
; %bb.132:                              ;   in Loop: Header=BB3_79 Depth=1
	s_and_not1_saveexec_b32 s13, s13
; %bb.133:                              ;   in Loop: Header=BB3_79 Depth=1
	v_add_f32_e64 v6, 0x46800000, |v15|
; %bb.134:                              ;   in Loop: Header=BB3_79 Depth=1
	s_or_b32 exec_lo, exec_lo, s13
.LBB3_135:                              ;   in Loop: Header=BB3_79 Depth=1
	s_delay_alu instid0(SALU_CYCLE_1) | instskip(SKIP_2) | instid1(VALU_DEP_1)
	s_or_b32 exec_lo, exec_lo, s12
	v_mul_f32_e32 v3, v13, v3
	s_mov_b32 s12, exec_lo
	v_mul_f32_e32 v3, v3, v7
	s_delay_alu instid0(VALU_DEP_1) | instskip(NEXT) | instid1(VALU_DEP_1)
	v_div_scale_f32 v7, null, v14, v14, v3
	v_rcp_f32_e32 v16, v7
	s_waitcnt_depctr 0xfff
	v_fma_f32 v17, -v7, v16, 1.0
	s_delay_alu instid0(VALU_DEP_1) | instskip(SKIP_1) | instid1(VALU_DEP_1)
	v_fmac_f32_e32 v16, v17, v16
	v_div_scale_f32 v17, vcc_lo, v3, v14, v3
	v_mul_f32_e32 v18, v17, v16
	s_delay_alu instid0(VALU_DEP_1) | instskip(NEXT) | instid1(VALU_DEP_1)
	v_fma_f32 v19, -v7, v18, v17
	v_fmac_f32_e32 v18, v19, v16
	s_delay_alu instid0(VALU_DEP_1) | instskip(NEXT) | instid1(VALU_DEP_1)
	v_fma_f32 v7, -v7, v18, v17
	v_div_fmas_f32 v7, v7, v16, v18
	s_delay_alu instid0(VALU_DEP_1) | instskip(NEXT) | instid1(VALU_DEP_1)
	v_div_fixup_f32 v3, v7, v14, v3
	v_minmax_f32 v3, v3, s5, 0xc3e00000
	s_delay_alu instid0(VALU_DEP_1) | instskip(NEXT) | instid1(VALU_DEP_1)
	v_and_b32_e32 v7, 0x7fffffff, v3
	v_cmpx_gt_u32_e32 0x43f00000, v7
	s_cbranch_execz .LBB3_141
; %bb.136:                              ;   in Loop: Header=BB3_79 Depth=1
	s_mov_b32 s13, exec_lo
                                        ; implicit-def: $vgpr2
	v_cmpx_lt_u32_e32 0x3c7fffff, v7
	s_xor_b32 s13, exec_lo, s13
; %bb.137:                              ;   in Loop: Header=BB3_79 Depth=1
	v_bfe_u32 v2, v3, 20, 1
	s_delay_alu instid0(VALU_DEP_1) | instskip(NEXT) | instid1(VALU_DEP_1)
	v_add3_u32 v2, v3, v2, 0x407ffff
	v_lshrrev_b32_e32 v2, 20, v2
; %bb.138:                              ;   in Loop: Header=BB3_79 Depth=1
	s_and_not1_saveexec_b32 s13, s13
; %bb.139:                              ;   in Loop: Header=BB3_79 Depth=1
	v_add_f32_e64 v2, 0x46800000, |v3|
; %bb.140:                              ;   in Loop: Header=BB3_79 Depth=1
	s_or_b32 exec_lo, exec_lo, s13
.LBB3_141:                              ;   in Loop: Header=BB3_79 Depth=1
	s_delay_alu instid0(SALU_CYCLE_1) | instskip(SKIP_2) | instid1(VALU_DEP_1)
	s_or_b32 exec_lo, exec_lo, s12
	v_mul_f32_e32 v4, v13, v4
	s_mov_b32 s12, exec_lo
	v_mul_f32_e32 v4, v4, v8
	s_delay_alu instid0(VALU_DEP_1) | instskip(SKIP_1) | instid1(VALU_DEP_2)
	v_div_scale_f32 v7, null, v14, v14, v4
	v_div_scale_f32 v17, vcc_lo, v4, v14, v4
	v_rcp_f32_e32 v8, v7
	s_waitcnt_depctr 0xfff
	v_fma_f32 v16, -v7, v8, 1.0
	s_delay_alu instid0(VALU_DEP_1) | instskip(NEXT) | instid1(VALU_DEP_1)
	v_fmac_f32_e32 v8, v16, v8
	v_mul_f32_e32 v16, v17, v8
	s_delay_alu instid0(VALU_DEP_1) | instskip(NEXT) | instid1(VALU_DEP_1)
	v_fma_f32 v18, -v7, v16, v17
	v_fmac_f32_e32 v16, v18, v8
	s_delay_alu instid0(VALU_DEP_1) | instskip(NEXT) | instid1(VALU_DEP_1)
	v_fma_f32 v7, -v7, v16, v17
	v_div_fmas_f32 v7, v7, v8, v16
	s_delay_alu instid0(VALU_DEP_1) | instskip(SKIP_1) | instid1(VALU_DEP_2)
	v_div_fixup_f32 v4, v7, v14, v4
	v_mov_b32_e32 v7, 0x7f
	v_minmax_f32 v8, v4, s5, 0xc3e00000
	v_mov_b32_e32 v4, 0x7f
	s_delay_alu instid0(VALU_DEP_2) | instskip(NEXT) | instid1(VALU_DEP_1)
	v_and_b32_e32 v16, 0x7fffffff, v8
	v_cmpx_gt_u32_e32 0x43f00000, v16
	s_cbranch_execz .LBB3_147
; %bb.142:                              ;   in Loop: Header=BB3_79 Depth=1
	s_mov_b32 s13, exec_lo
                                        ; implicit-def: $vgpr7
	v_cmpx_lt_u32_e32 0x3c7fffff, v16
	s_xor_b32 s13, exec_lo, s13
; %bb.143:                              ;   in Loop: Header=BB3_79 Depth=1
	v_bfe_u32 v7, v8, 20, 1
	s_delay_alu instid0(VALU_DEP_1) | instskip(NEXT) | instid1(VALU_DEP_1)
	v_add3_u32 v7, v8, v7, 0x407ffff
	v_lshrrev_b32_e32 v7, 20, v7
; %bb.144:                              ;   in Loop: Header=BB3_79 Depth=1
	s_and_not1_saveexec_b32 s13, s13
; %bb.145:                              ;   in Loop: Header=BB3_79 Depth=1
	v_add_f32_e64 v7, 0x46800000, |v8|
; %bb.146:                              ;   in Loop: Header=BB3_79 Depth=1
	s_or_b32 exec_lo, exec_lo, s13
.LBB3_147:                              ;   in Loop: Header=BB3_79 Depth=1
	s_delay_alu instid0(SALU_CYCLE_1) | instskip(SKIP_2) | instid1(VALU_DEP_1)
	s_or_b32 exec_lo, exec_lo, s12
	v_mul_f32_e32 v5, v13, v5
	s_mov_b32 s12, exec_lo
	v_mul_f32_e32 v5, v5, v9
	s_delay_alu instid0(VALU_DEP_1) | instskip(NEXT) | instid1(VALU_DEP_1)
	v_div_scale_f32 v9, null, v14, v14, v5
	v_rcp_f32_e32 v16, v9
	s_waitcnt_depctr 0xfff
	v_fma_f32 v17, -v9, v16, 1.0
	s_delay_alu instid0(VALU_DEP_1) | instskip(SKIP_1) | instid1(VALU_DEP_1)
	v_fmac_f32_e32 v16, v17, v16
	v_div_scale_f32 v17, vcc_lo, v5, v14, v5
	v_mul_f32_e32 v18, v17, v16
	s_delay_alu instid0(VALU_DEP_1) | instskip(NEXT) | instid1(VALU_DEP_1)
	v_fma_f32 v19, -v9, v18, v17
	v_fmac_f32_e32 v18, v19, v16
	s_delay_alu instid0(VALU_DEP_1) | instskip(NEXT) | instid1(VALU_DEP_1)
	v_fma_f32 v9, -v9, v18, v17
	v_div_fmas_f32 v9, v9, v16, v18
	s_delay_alu instid0(VALU_DEP_1) | instskip(NEXT) | instid1(VALU_DEP_1)
	v_div_fixup_f32 v5, v9, v14, v5
	v_minmax_f32 v5, v5, s5, 0xc3e00000
	s_delay_alu instid0(VALU_DEP_1) | instskip(NEXT) | instid1(VALU_DEP_1)
	v_and_b32_e32 v9, 0x7fffffff, v5
	v_cmpx_gt_u32_e32 0x43f00000, v9
	s_cbranch_execz .LBB3_153
; %bb.148:                              ;   in Loop: Header=BB3_79 Depth=1
	s_mov_b32 s13, exec_lo
                                        ; implicit-def: $vgpr4
	v_cmpx_lt_u32_e32 0x3c7fffff, v9
	s_xor_b32 s13, exec_lo, s13
; %bb.149:                              ;   in Loop: Header=BB3_79 Depth=1
	v_bfe_u32 v4, v5, 20, 1
	s_delay_alu instid0(VALU_DEP_1) | instskip(NEXT) | instid1(VALU_DEP_1)
	v_add3_u32 v4, v5, v4, 0x407ffff
	v_lshrrev_b32_e32 v4, 20, v4
; %bb.150:                              ;   in Loop: Header=BB3_79 Depth=1
	s_and_not1_saveexec_b32 s13, s13
; %bb.151:                              ;   in Loop: Header=BB3_79 Depth=1
	v_add_f32_e64 v4, 0x46800000, |v5|
; %bb.152:                              ;   in Loop: Header=BB3_79 Depth=1
	s_or_b32 exec_lo, exec_lo, s13
.LBB3_153:                              ;   in Loop: Header=BB3_79 Depth=1
	s_delay_alu instid0(SALU_CYCLE_1)
	s_or_b32 exec_lo, exec_lo, s12
	v_lshrrev_b32_e32 v8, 24, v8
	v_lshrrev_b32_e32 v3, 24, v3
	v_lshrrev_b32_e32 v9, 24, v15
	v_lshlrev_b32_e32 v4, 24, v4
	v_and_b32_e32 v5, 0x80000000, v5
	v_and_b32_e32 v8, 0x80, v8
	;; [unrolled: 1-line block ×4, first 2 shown]
	v_add_nc_u32_e32 v0, s2, v0
	s_mov_b32 s13, -1
	v_and_or_b32 v7, 0xff, v7, v8
	v_and_or_b32 v8, 0xff, v2, v3
	v_lshlrev_b64 v[2:3], 2, v[11:12]
	v_and_or_b32 v6, 0x80, v9, v6
	s_mov_b32 s12, exec_lo
	v_lshlrev_b32_e32 v7, 16, v7
	v_lshlrev_b32_e32 v8, 8, v8
	s_delay_alu instid0(VALU_DEP_4) | instskip(NEXT) | instid1(VALU_DEP_3)
	v_add_co_u32 v2, vcc_lo, s0, v2
	v_or3_b32 v4, v5, v4, v7
	v_add_co_ci_u32_e32 v3, vcc_lo, s1, v3, vcc_lo
	s_delay_alu instid0(VALU_DEP_2)
	v_or3_b32 v4, v4, v8, v6
	global_store_b32 v[2:3], v4, off
	v_cmpx_gt_u32_e64 s11, v0
	s_cbranch_execz .LBB3_76
; %bb.154:                              ;   in Loop: Header=BB3_79 Depth=1
	v_lshlrev_b64 v[2:3], 4, v[0:1]
	s_mov_b32 s13, exec_lo
	s_delay_alu instid0(VALU_DEP_1) | instskip(NEXT) | instid1(VALU_DEP_2)
	v_add_co_u32 v4, vcc_lo, s9, v2
	v_add_co_ci_u32_e32 v5, vcc_lo, s10, v3, vcc_lo
	v_add_co_u32 v6, vcc_lo, s18, v2
	v_add_co_ci_u32_e32 v7, vcc_lo, s19, v3, vcc_lo
	global_load_b128 v[2:5], v[4:5], off
	global_load_b128 v[6:9], v[6:7], off
	s_waitcnt vmcnt(1)
	v_mul_f32_e32 v2, v13, v2
	s_waitcnt vmcnt(0)
	s_delay_alu instid0(VALU_DEP_1) | instskip(NEXT) | instid1(VALU_DEP_1)
	v_mul_f32_e32 v2, v2, v6
	v_div_scale_f32 v6, null, v14, v14, v2
	v_div_scale_f32 v15, vcc_lo, v2, v14, v2
	s_delay_alu instid0(VALU_DEP_2) | instskip(SKIP_2) | instid1(VALU_DEP_1)
	v_rcp_f32_e32 v11, v6
	s_waitcnt_depctr 0xfff
	v_fma_f32 v12, -v6, v11, 1.0
	v_fmac_f32_e32 v11, v12, v11
	s_delay_alu instid0(VALU_DEP_1) | instskip(NEXT) | instid1(VALU_DEP_1)
	v_mul_f32_e32 v12, v15, v11
	v_fma_f32 v16, -v6, v12, v15
	s_delay_alu instid0(VALU_DEP_1) | instskip(NEXT) | instid1(VALU_DEP_1)
	v_fmac_f32_e32 v12, v16, v11
	v_fma_f32 v6, -v6, v12, v15
	s_delay_alu instid0(VALU_DEP_1) | instskip(NEXT) | instid1(VALU_DEP_1)
	v_div_fmas_f32 v6, v6, v11, v12
	v_div_fixup_f32 v2, v6, v14, v2
	v_mov_b32_e32 v6, 0x7f
	s_delay_alu instid0(VALU_DEP_2) | instskip(SKIP_1) | instid1(VALU_DEP_2)
	v_minmax_f32 v11, v2, s5, 0xc3e00000
	v_mov_b32_e32 v2, 0x7f
	v_and_b32_e32 v12, 0x7fffffff, v11
	s_delay_alu instid0(VALU_DEP_1)
	v_cmpx_gt_u32_e32 0x43f00000, v12
	s_cbranch_execz .LBB3_160
; %bb.155:                              ;   in Loop: Header=BB3_79 Depth=1
	s_mov_b32 s14, exec_lo
                                        ; implicit-def: $vgpr6
	v_cmpx_lt_u32_e32 0x3c7fffff, v12
	s_xor_b32 s14, exec_lo, s14
; %bb.156:                              ;   in Loop: Header=BB3_79 Depth=1
	v_bfe_u32 v6, v11, 20, 1
	s_delay_alu instid0(VALU_DEP_1) | instskip(NEXT) | instid1(VALU_DEP_1)
	v_add3_u32 v6, v11, v6, 0x407ffff
	v_lshrrev_b32_e32 v6, 20, v6
; %bb.157:                              ;   in Loop: Header=BB3_79 Depth=1
	s_and_not1_saveexec_b32 s14, s14
; %bb.158:                              ;   in Loop: Header=BB3_79 Depth=1
	v_add_f32_e64 v6, 0x46800000, |v11|
; %bb.159:                              ;   in Loop: Header=BB3_79 Depth=1
	s_or_b32 exec_lo, exec_lo, s14
.LBB3_160:                              ;   in Loop: Header=BB3_79 Depth=1
	s_delay_alu instid0(SALU_CYCLE_1) | instskip(SKIP_2) | instid1(VALU_DEP_1)
	s_or_b32 exec_lo, exec_lo, s13
	v_mul_f32_e32 v3, v13, v3
	s_mov_b32 s13, exec_lo
	v_mul_f32_e32 v3, v3, v7
	s_delay_alu instid0(VALU_DEP_1) | instskip(NEXT) | instid1(VALU_DEP_1)
	v_div_scale_f32 v7, null, v14, v14, v3
	v_rcp_f32_e32 v12, v7
	s_waitcnt_depctr 0xfff
	v_fma_f32 v15, -v7, v12, 1.0
	s_delay_alu instid0(VALU_DEP_1) | instskip(SKIP_1) | instid1(VALU_DEP_1)
	v_fmac_f32_e32 v12, v15, v12
	v_div_scale_f32 v15, vcc_lo, v3, v14, v3
	v_mul_f32_e32 v16, v15, v12
	s_delay_alu instid0(VALU_DEP_1) | instskip(NEXT) | instid1(VALU_DEP_1)
	v_fma_f32 v17, -v7, v16, v15
	v_fmac_f32_e32 v16, v17, v12
	s_delay_alu instid0(VALU_DEP_1) | instskip(NEXT) | instid1(VALU_DEP_1)
	v_fma_f32 v7, -v7, v16, v15
	v_div_fmas_f32 v7, v7, v12, v16
	s_delay_alu instid0(VALU_DEP_1) | instskip(NEXT) | instid1(VALU_DEP_1)
	v_div_fixup_f32 v3, v7, v14, v3
	v_minmax_f32 v3, v3, s5, 0xc3e00000
	s_delay_alu instid0(VALU_DEP_1) | instskip(NEXT) | instid1(VALU_DEP_1)
	v_and_b32_e32 v7, 0x7fffffff, v3
	v_cmpx_gt_u32_e32 0x43f00000, v7
	s_cbranch_execz .LBB3_166
; %bb.161:                              ;   in Loop: Header=BB3_79 Depth=1
	s_mov_b32 s14, exec_lo
                                        ; implicit-def: $vgpr2
	v_cmpx_lt_u32_e32 0x3c7fffff, v7
	s_xor_b32 s14, exec_lo, s14
; %bb.162:                              ;   in Loop: Header=BB3_79 Depth=1
	v_bfe_u32 v2, v3, 20, 1
	s_delay_alu instid0(VALU_DEP_1) | instskip(NEXT) | instid1(VALU_DEP_1)
	v_add3_u32 v2, v3, v2, 0x407ffff
	v_lshrrev_b32_e32 v2, 20, v2
; %bb.163:                              ;   in Loop: Header=BB3_79 Depth=1
	s_and_not1_saveexec_b32 s14, s14
; %bb.164:                              ;   in Loop: Header=BB3_79 Depth=1
	v_add_f32_e64 v2, 0x46800000, |v3|
; %bb.165:                              ;   in Loop: Header=BB3_79 Depth=1
	s_or_b32 exec_lo, exec_lo, s14
.LBB3_166:                              ;   in Loop: Header=BB3_79 Depth=1
	s_delay_alu instid0(SALU_CYCLE_1) | instskip(SKIP_2) | instid1(VALU_DEP_1)
	s_or_b32 exec_lo, exec_lo, s13
	v_mul_f32_e32 v4, v13, v4
	s_mov_b32 s13, exec_lo
	v_mul_f32_e32 v4, v4, v8
	s_delay_alu instid0(VALU_DEP_1) | instskip(SKIP_1) | instid1(VALU_DEP_2)
	v_div_scale_f32 v7, null, v14, v14, v4
	v_div_scale_f32 v15, vcc_lo, v4, v14, v4
	v_rcp_f32_e32 v8, v7
	s_waitcnt_depctr 0xfff
	v_fma_f32 v12, -v7, v8, 1.0
	s_delay_alu instid0(VALU_DEP_1) | instskip(NEXT) | instid1(VALU_DEP_1)
	v_fmac_f32_e32 v8, v12, v8
	v_mul_f32_e32 v12, v15, v8
	s_delay_alu instid0(VALU_DEP_1) | instskip(NEXT) | instid1(VALU_DEP_1)
	v_fma_f32 v16, -v7, v12, v15
	v_fmac_f32_e32 v12, v16, v8
	s_delay_alu instid0(VALU_DEP_1) | instskip(NEXT) | instid1(VALU_DEP_1)
	v_fma_f32 v7, -v7, v12, v15
	v_div_fmas_f32 v7, v7, v8, v12
	s_delay_alu instid0(VALU_DEP_1) | instskip(SKIP_1) | instid1(VALU_DEP_2)
	v_div_fixup_f32 v4, v7, v14, v4
	v_mov_b32_e32 v7, 0x7f
	v_minmax_f32 v8, v4, s5, 0xc3e00000
	v_mov_b32_e32 v4, 0x7f
	s_delay_alu instid0(VALU_DEP_2) | instskip(NEXT) | instid1(VALU_DEP_1)
	v_and_b32_e32 v12, 0x7fffffff, v8
	v_cmpx_gt_u32_e32 0x43f00000, v12
	s_cbranch_execz .LBB3_172
; %bb.167:                              ;   in Loop: Header=BB3_79 Depth=1
	s_mov_b32 s14, exec_lo
                                        ; implicit-def: $vgpr7
	v_cmpx_lt_u32_e32 0x3c7fffff, v12
	s_xor_b32 s14, exec_lo, s14
; %bb.168:                              ;   in Loop: Header=BB3_79 Depth=1
	v_bfe_u32 v7, v8, 20, 1
	s_delay_alu instid0(VALU_DEP_1) | instskip(NEXT) | instid1(VALU_DEP_1)
	v_add3_u32 v7, v8, v7, 0x407ffff
	v_lshrrev_b32_e32 v7, 20, v7
; %bb.169:                              ;   in Loop: Header=BB3_79 Depth=1
	s_and_not1_saveexec_b32 s14, s14
; %bb.170:                              ;   in Loop: Header=BB3_79 Depth=1
	v_add_f32_e64 v7, 0x46800000, |v8|
; %bb.171:                              ;   in Loop: Header=BB3_79 Depth=1
	s_or_b32 exec_lo, exec_lo, s14
.LBB3_172:                              ;   in Loop: Header=BB3_79 Depth=1
	s_delay_alu instid0(SALU_CYCLE_1) | instskip(SKIP_2) | instid1(VALU_DEP_1)
	s_or_b32 exec_lo, exec_lo, s13
	v_mul_f32_e32 v5, v13, v5
	s_mov_b32 s13, exec_lo
	v_mul_f32_e32 v5, v5, v9
	s_delay_alu instid0(VALU_DEP_1) | instskip(NEXT) | instid1(VALU_DEP_1)
	v_div_scale_f32 v9, null, v14, v14, v5
	v_rcp_f32_e32 v12, v9
	s_waitcnt_depctr 0xfff
	v_fma_f32 v15, -v9, v12, 1.0
	s_delay_alu instid0(VALU_DEP_1) | instskip(SKIP_1) | instid1(VALU_DEP_1)
	v_fmac_f32_e32 v12, v15, v12
	v_div_scale_f32 v15, vcc_lo, v5, v14, v5
	v_mul_f32_e32 v16, v15, v12
	s_delay_alu instid0(VALU_DEP_1) | instskip(NEXT) | instid1(VALU_DEP_1)
	v_fma_f32 v17, -v9, v16, v15
	v_fmac_f32_e32 v16, v17, v12
	s_delay_alu instid0(VALU_DEP_1) | instskip(NEXT) | instid1(VALU_DEP_1)
	v_fma_f32 v9, -v9, v16, v15
	v_div_fmas_f32 v9, v9, v12, v16
	s_delay_alu instid0(VALU_DEP_1) | instskip(NEXT) | instid1(VALU_DEP_1)
	v_div_fixup_f32 v5, v9, v14, v5
	v_minmax_f32 v5, v5, s5, 0xc3e00000
	s_delay_alu instid0(VALU_DEP_1) | instskip(NEXT) | instid1(VALU_DEP_1)
	v_and_b32_e32 v9, 0x7fffffff, v5
	v_cmpx_gt_u32_e32 0x43f00000, v9
	s_cbranch_execz .LBB3_75
; %bb.173:                              ;   in Loop: Header=BB3_79 Depth=1
	s_mov_b32 s14, exec_lo
                                        ; implicit-def: $vgpr4
	v_cmpx_lt_u32_e32 0x3c7fffff, v9
	s_xor_b32 s14, exec_lo, s14
; %bb.174:                              ;   in Loop: Header=BB3_79 Depth=1
	v_bfe_u32 v4, v5, 20, 1
	s_delay_alu instid0(VALU_DEP_1) | instskip(NEXT) | instid1(VALU_DEP_1)
	v_add3_u32 v4, v5, v4, 0x407ffff
	v_lshrrev_b32_e32 v4, 20, v4
; %bb.175:                              ;   in Loop: Header=BB3_79 Depth=1
	s_and_not1_saveexec_b32 s14, s14
	s_cbranch_execz .LBB3_74
; %bb.176:                              ;   in Loop: Header=BB3_79 Depth=1
	v_add_f32_e64 v4, 0x46800000, |v5|
	s_branch .LBB3_74
.LBB3_177:
	s_nop 0
	s_sendmsg sendmsg(MSG_DEALLOC_VGPRS)
	s_endpgm
	.section	.rodata,"a",@progbits
	.p2align	6, 0x0
	.amdhsa_kernel _ZN4vllm39rms_norm_dynamic_per_token_quant_kernelIfN3c1013Float8_e4m3fnELb0EEEvPT0_PfPKT_S8_PKffiiPS6_
		.amdhsa_group_segment_fixed_size 528
		.amdhsa_private_segment_fixed_size 0
		.amdhsa_kernarg_size 320
		.amdhsa_user_sgpr_count 15
		.amdhsa_user_sgpr_dispatch_ptr 0
		.amdhsa_user_sgpr_queue_ptr 0
		.amdhsa_user_sgpr_kernarg_segment_ptr 1
		.amdhsa_user_sgpr_dispatch_id 0
		.amdhsa_user_sgpr_private_segment_size 0
		.amdhsa_wavefront_size32 1
		.amdhsa_uses_dynamic_stack 0
		.amdhsa_enable_private_segment 0
		.amdhsa_system_sgpr_workgroup_id_x 1
		.amdhsa_system_sgpr_workgroup_id_y 0
		.amdhsa_system_sgpr_workgroup_id_z 0
		.amdhsa_system_sgpr_workgroup_info 0
		.amdhsa_system_vgpr_workitem_id 0
		.amdhsa_next_free_vgpr 27
		.amdhsa_next_free_sgpr 35
		.amdhsa_reserve_vcc 1
		.amdhsa_float_round_mode_32 0
		.amdhsa_float_round_mode_16_64 0
		.amdhsa_float_denorm_mode_32 3
		.amdhsa_float_denorm_mode_16_64 3
		.amdhsa_dx10_clamp 1
		.amdhsa_ieee_mode 1
		.amdhsa_fp16_overflow 0
		.amdhsa_workgroup_processor_mode 1
		.amdhsa_memory_ordered 1
		.amdhsa_forward_progress 0
		.amdhsa_shared_vgpr_count 0
		.amdhsa_exception_fp_ieee_invalid_op 0
		.amdhsa_exception_fp_denorm_src 0
		.amdhsa_exception_fp_ieee_div_zero 0
		.amdhsa_exception_fp_ieee_overflow 0
		.amdhsa_exception_fp_ieee_underflow 0
		.amdhsa_exception_fp_ieee_inexact 0
		.amdhsa_exception_int_div_zero 0
	.end_amdhsa_kernel
	.section	.text._ZN4vllm39rms_norm_dynamic_per_token_quant_kernelIfN3c1013Float8_e4m3fnELb0EEEvPT0_PfPKT_S8_PKffiiPS6_,"axG",@progbits,_ZN4vllm39rms_norm_dynamic_per_token_quant_kernelIfN3c1013Float8_e4m3fnELb0EEEvPT0_PfPKT_S8_PKffiiPS6_,comdat
.Lfunc_end3:
	.size	_ZN4vllm39rms_norm_dynamic_per_token_quant_kernelIfN3c1013Float8_e4m3fnELb0EEEvPT0_PfPKT_S8_PKffiiPS6_, .Lfunc_end3-_ZN4vllm39rms_norm_dynamic_per_token_quant_kernelIfN3c1013Float8_e4m3fnELb0EEEvPT0_PfPKT_S8_PKffiiPS6_
                                        ; -- End function
	.section	.AMDGPU.csdata,"",@progbits
; Kernel info:
; codeLenInByte = 10188
; NumSgprs: 37
; NumVgprs: 27
; ScratchSize: 0
; MemoryBound: 0
; FloatMode: 240
; IeeeMode: 1
; LDSByteSize: 528 bytes/workgroup (compile time only)
; SGPRBlocks: 4
; VGPRBlocks: 3
; NumSGPRsForWavesPerEU: 37
; NumVGPRsForWavesPerEU: 27
; Occupancy: 16
; WaveLimiterHint : 0
; COMPUTE_PGM_RSRC2:SCRATCH_EN: 0
; COMPUTE_PGM_RSRC2:USER_SGPR: 15
; COMPUTE_PGM_RSRC2:TRAP_HANDLER: 0
; COMPUTE_PGM_RSRC2:TGID_X_EN: 1
; COMPUTE_PGM_RSRC2:TGID_Y_EN: 0
; COMPUTE_PGM_RSRC2:TGID_Z_EN: 0
; COMPUTE_PGM_RSRC2:TIDIG_COMP_CNT: 0
	.section	.text._ZN4vllm39rms_norm_dynamic_per_token_quant_kernelIfN3c1015Float8_e4m3fnuzELb0EEEvPT0_PfPKT_S8_PKffiiPS6_,"axG",@progbits,_ZN4vllm39rms_norm_dynamic_per_token_quant_kernelIfN3c1015Float8_e4m3fnuzELb0EEEvPT0_PfPKT_S8_PKffiiPS6_,comdat
	.protected	_ZN4vllm39rms_norm_dynamic_per_token_quant_kernelIfN3c1015Float8_e4m3fnuzELb0EEEvPT0_PfPKT_S8_PKffiiPS6_ ; -- Begin function _ZN4vllm39rms_norm_dynamic_per_token_quant_kernelIfN3c1015Float8_e4m3fnuzELb0EEEvPT0_PfPKT_S8_PKffiiPS6_
	.globl	_ZN4vllm39rms_norm_dynamic_per_token_quant_kernelIfN3c1015Float8_e4m3fnuzELb0EEEvPT0_PfPKT_S8_PKffiiPS6_
	.p2align	8
	.type	_ZN4vllm39rms_norm_dynamic_per_token_quant_kernelIfN3c1015Float8_e4m3fnuzELb0EEEvPT0_PfPKT_S8_PKffiiPS6_,@function
_ZN4vllm39rms_norm_dynamic_per_token_quant_kernelIfN3c1015Float8_e4m3fnuzELb0EEEvPT0_PfPKT_S8_PKffiiPS6_: ; @_ZN4vllm39rms_norm_dynamic_per_token_quant_kernelIfN3c1015Float8_e4m3fnuzELb0EEEvPT0_PfPKT_S8_PKffiiPS6_
; %bb.0:
	s_mov_b32 s24, s15
	s_clause 0x2
	s_load_b128 s[20:23], s[0:1], 0x28
	s_load_b64 s[26:27], s[0:1], 0x20
	s_load_b256 s[12:19], s[0:1], 0x0
	s_waitcnt lgkmcnt(0)
	s_or_b32 s2, s22, s21
	s_delay_alu instid0(SALU_CYCLE_1) | instskip(NEXT) | instid1(SALU_CYCLE_1)
	s_and_b32 s2, s2, 3
	s_cmp_lg_u32 s2, 0
	s_cbranch_scc0 .LBB4_39
; %bb.1:
	v_cmp_gt_u32_e64 s2, s21, v0
	v_cmp_le_u32_e64 s3, s21, v0
                                        ; implicit-def: $sgpr7
                                        ; implicit-def: $sgpr4_sgpr5
	s_delay_alu instid0(VALU_DEP_1) | instskip(NEXT) | instid1(SALU_CYCLE_1)
	s_and_saveexec_b32 s6, s3
	s_xor_b32 s6, exec_lo, s6
; %bb.2:
	s_add_u32 s4, s0, 64
	s_addc_u32 s5, s1, 0
	s_mov_b32 s7, 0
; %bb.3:
	s_or_saveexec_b32 s6, s6
	v_dual_mov_b32 v1, s4 :: v_dual_mov_b32 v4, s24
	v_dual_mov_b32 v3, s7 :: v_dual_mov_b32 v2, s5
	s_xor_b32 exec_lo, exec_lo, s6
	s_cbranch_execz .LBB4_7
; %bb.4:
	s_load_b32 s9, s[0:1], 0x4c
	s_ashr_i32 s5, s22, 31
	s_mul_hi_u32 s7, s22, s24
	s_mul_i32 s5, s5, s24
	s_mul_i32 s4, s22, s24
	s_add_i32 s5, s7, s5
	v_dual_mov_b32 v2, 0 :: v_dual_mov_b32 v3, 0
	s_lshl_b64 s[4:5], s[4:5], 2
	v_mov_b32_e32 v1, v0
	s_add_u32 s7, s16, s4
	s_addc_u32 s8, s17, s5
	s_add_u32 s4, s0, 64
	s_addc_u32 s5, s1, 0
	s_waitcnt lgkmcnt(0)
	s_and_b32 s10, s9, 0xffff
	s_mov_b32 s9, 0
.LBB4_5:                                ; =>This Inner Loop Header: Depth=1
	v_lshlrev_b64 v[4:5], 2, v[1:2]
	v_add_nc_u32_e32 v1, s10, v1
	s_delay_alu instid0(VALU_DEP_2) | instskip(NEXT) | instid1(VALU_DEP_3)
	v_add_co_u32 v4, vcc_lo, s7, v4
	v_add_co_ci_u32_e32 v5, vcc_lo, s8, v5, vcc_lo
	s_delay_alu instid0(VALU_DEP_3)
	v_cmp_le_u32_e32 vcc_lo, s21, v1
	global_load_b32 v4, v[4:5], off
	s_or_b32 s9, vcc_lo, s9
	s_waitcnt vmcnt(0)
	v_fmac_f32_e32 v3, v4, v4
	s_and_not1_b32 exec_lo, exec_lo, s9
	s_cbranch_execnz .LBB4_5
; %bb.6:
	s_or_b32 exec_lo, exec_lo, s9
	v_dual_mov_b32 v1, s4 :: v_dual_mov_b32 v2, s5
	v_mov_b32_e32 v4, s24
.LBB4_7:
	s_or_b32 exec_lo, exec_lo, s6
	global_load_b32 v5, v[1:2], off
	v_and_b32_e32 v14, 0x3e0, v0
	s_waitcnt vmcnt(0)
	v_cmp_lt_u32_e32 vcc_lo, v4, v5
	v_cndmask_b32_e64 v4, 18, 12, vcc_lo
	s_delay_alu instid0(VALU_DEP_1) | instskip(SKIP_3) | instid1(VALU_DEP_1)
	v_add_co_u32 v1, vcc_lo, v1, v4
	v_add_co_ci_u32_e32 v2, vcc_lo, 0, v2, vcc_lo
	global_load_u16 v1, v[1:2], off
	v_mbcnt_lo_u32_b32 v2, -1, 0
	v_cmp_ne_u32_e32 vcc_lo, 31, v2
	v_add_nc_u32_e32 v5, 1, v2
	v_cmp_eq_u32_e64 s5, 0, v2
	v_add_co_ci_u32_e32 v4, vcc_lo, 0, v2, vcc_lo
	v_cmp_gt_u32_e32 vcc_lo, 30, v2
	s_delay_alu instid0(VALU_DEP_2) | instskip(SKIP_4) | instid1(VALU_DEP_1)
	v_lshlrev_b32_e32 v4, 2, v4
	v_cndmask_b32_e64 v7, 0, 1, vcc_lo
	ds_bpermute_b32 v6, v4, v3
	s_waitcnt lgkmcnt(0)
	v_dual_add_f32 v8, v3, v6 :: v_dual_lshlrev_b32 v7, 1, v7
	v_add_lshl_u32 v6, v7, v2, 2
	s_waitcnt vmcnt(0)
	v_sub_nc_u32_e64 v15, v1, v14 clamp
	s_delay_alu instid0(VALU_DEP_1) | instskip(SKIP_3) | instid1(VALU_DEP_1)
	v_cmp_lt_u32_e32 vcc_lo, v5, v15
	v_cndmask_b32_e32 v3, v3, v8, vcc_lo
	v_cmp_gt_u32_e32 vcc_lo, 28, v2
	v_cndmask_b32_e64 v8, 0, 1, vcc_lo
	v_lshlrev_b32_e32 v9, 2, v8
	v_add_nc_u32_e32 v8, 2, v2
	ds_bpermute_b32 v7, v6, v3
	v_cmp_lt_u32_e32 vcc_lo, v8, v15
	s_waitcnt lgkmcnt(0)
	v_add_f32_e32 v10, v3, v7
	v_add_lshl_u32 v7, v9, v2, 2
	s_delay_alu instid0(VALU_DEP_2) | instskip(SKIP_4) | instid1(VALU_DEP_1)
	v_cndmask_b32_e32 v3, v3, v10, vcc_lo
	v_cmp_gt_u32_e32 vcc_lo, 24, v2
	ds_bpermute_b32 v9, v7, v3
	v_cndmask_b32_e64 v10, 0, 1, vcc_lo
	s_waitcnt lgkmcnt(0)
	v_dual_add_f32 v12, v3, v9 :: v_dual_lshlrev_b32 v11, 3, v10
	v_add_nc_u32_e32 v10, 4, v2
	s_delay_alu instid0(VALU_DEP_2) | instskip(NEXT) | instid1(VALU_DEP_2)
	v_add_lshl_u32 v9, v11, v2, 2
	v_cmp_lt_u32_e32 vcc_lo, v10, v15
	s_delay_alu instid0(VALU_DEP_4) | instskip(SKIP_4) | instid1(VALU_DEP_1)
	v_cndmask_b32_e32 v3, v3, v12, vcc_lo
	v_cmp_gt_u32_e32 vcc_lo, 16, v2
	ds_bpermute_b32 v11, v9, v3
	v_cndmask_b32_e64 v12, 0, 1, vcc_lo
	s_waitcnt lgkmcnt(0)
	v_dual_add_f32 v16, v3, v11 :: v_dual_lshlrev_b32 v13, 4, v12
	v_add_nc_u32_e32 v12, 8, v2
	s_delay_alu instid0(VALU_DEP_2) | instskip(NEXT) | instid1(VALU_DEP_2)
	v_add_lshl_u32 v11, v13, v2, 2
	v_cmp_lt_u32_e32 vcc_lo, v12, v15
	s_delay_alu instid0(VALU_DEP_4) | instskip(SKIP_3) | instid1(VALU_DEP_1)
	v_cndmask_b32_e32 v3, v3, v16, vcc_lo
	ds_bpermute_b32 v16, v11, v3
	s_waitcnt lgkmcnt(0)
	v_dual_add_f32 v16, v3, v16 :: v_dual_add_nc_u32 v13, 16, v2
	v_cmp_lt_u32_e32 vcc_lo, v13, v15
	s_delay_alu instid0(VALU_DEP_2)
	v_cndmask_b32_e32 v3, v3, v16, vcc_lo
	s_and_saveexec_b32 s4, s5
	s_cbranch_execz .LBB4_9
; %bb.8:
	v_lshrrev_b32_e32 v15, 3, v0
	s_delay_alu instid0(VALU_DEP_1)
	v_and_b32_e32 v15, 0x7c, v15
	ds_store_b32 v15, v3 offset:256
.LBB4_9:
	s_or_b32 exec_lo, exec_lo, s4
	v_cmp_gt_u32_e64 s6, 32, v0
	v_lshlrev_b32_e32 v15, 2, v2
	s_waitcnt lgkmcnt(0)
	s_barrier
	buffer_gl0_inv
	s_and_saveexec_b32 s4, s6
	s_cbranch_execz .LBB4_11
; %bb.10:
	ds_load_b32 v2, v15 offset:256
	s_waitcnt lgkmcnt(0)
	ds_bpermute_b32 v3, v4, v2
	s_waitcnt lgkmcnt(0)
	v_add_f32_e32 v3, v2, v3
	v_add_nc_u32_e32 v1, 31, v1
	s_delay_alu instid0(VALU_DEP_1) | instskip(NEXT) | instid1(VALU_DEP_1)
	v_lshrrev_b32_e32 v1, 5, v1
	v_cmp_lt_u32_e32 vcc_lo, v5, v1
	s_delay_alu instid0(VALU_DEP_4) | instskip(SKIP_4) | instid1(VALU_DEP_1)
	v_cndmask_b32_e32 v2, v2, v3, vcc_lo
	v_cmp_lt_u32_e32 vcc_lo, v8, v1
	ds_bpermute_b32 v3, v6, v2
	s_waitcnt lgkmcnt(0)
	v_add_f32_e32 v3, v2, v3
	v_cndmask_b32_e32 v2, v2, v3, vcc_lo
	v_cmp_lt_u32_e32 vcc_lo, v10, v1
	ds_bpermute_b32 v3, v7, v2
	s_waitcnt lgkmcnt(0)
	v_add_f32_e32 v3, v2, v3
	s_delay_alu instid0(VALU_DEP_1) | instskip(SKIP_4) | instid1(VALU_DEP_1)
	v_cndmask_b32_e32 v2, v2, v3, vcc_lo
	v_cmp_lt_u32_e32 vcc_lo, v12, v1
	ds_bpermute_b32 v3, v9, v2
	s_waitcnt lgkmcnt(0)
	v_add_f32_e32 v3, v2, v3
	v_cndmask_b32_e32 v2, v2, v3, vcc_lo
	v_cmp_lt_u32_e32 vcc_lo, v13, v1
	ds_bpermute_b32 v3, v11, v2
	s_waitcnt lgkmcnt(0)
	v_add_f32_e32 v3, v2, v3
	s_delay_alu instid0(VALU_DEP_1)
	v_cndmask_b32_e32 v3, v2, v3, vcc_lo
.LBB4_11:
	s_or_b32 exec_lo, exec_lo, s4
	v_cmp_eq_u32_e64 s4, 0, v0
	s_mov_b32 s25, 0
	s_delay_alu instid0(VALU_DEP_1)
	s_and_saveexec_b32 s7, s4
	s_cbranch_execz .LBB4_13
; %bb.12:
	v_cvt_f32_i32_e32 v1, s21
	s_delay_alu instid0(VALU_DEP_1) | instskip(SKIP_1) | instid1(VALU_DEP_2)
	v_div_scale_f32 v2, null, v1, v1, v3
	v_div_scale_f32 v18, vcc_lo, v3, v1, v3
	v_rcp_f32_e32 v16, v2
	s_waitcnt_depctr 0xfff
	v_fma_f32 v17, -v2, v16, 1.0
	s_delay_alu instid0(VALU_DEP_1) | instskip(NEXT) | instid1(VALU_DEP_1)
	v_fmac_f32_e32 v16, v17, v16
	v_mul_f32_e32 v17, v18, v16
	s_delay_alu instid0(VALU_DEP_1) | instskip(NEXT) | instid1(VALU_DEP_1)
	v_fma_f32 v19, -v2, v17, v18
	v_fmac_f32_e32 v17, v19, v16
	s_delay_alu instid0(VALU_DEP_1) | instskip(NEXT) | instid1(VALU_DEP_1)
	v_fma_f32 v2, -v2, v17, v18
	v_div_fmas_f32 v2, v2, v16, v17
	s_delay_alu instid0(VALU_DEP_1) | instskip(NEXT) | instid1(VALU_DEP_1)
	v_div_fixup_f32 v1, v2, v1, v3
	v_add_f32_e32 v1, s20, v1
	s_delay_alu instid0(VALU_DEP_1) | instskip(SKIP_1) | instid1(VALU_DEP_2)
	v_mul_f32_e32 v2, 0x4b800000, v1
	v_cmp_gt_f32_e32 vcc_lo, 0x800000, v1
	v_cndmask_b32_e32 v1, v1, v2, vcc_lo
	s_delay_alu instid0(VALU_DEP_1) | instskip(SKIP_2) | instid1(VALU_DEP_1)
	v_rsq_f32_e32 v1, v1
	s_waitcnt_depctr 0xfff
	v_mul_f32_e32 v2, 0x45800000, v1
	v_dual_cndmask_b32 v1, v1, v2 :: v_dual_mov_b32 v2, 0
	ds_store_b32 v2, v1 offset:520
.LBB4_13:
	s_or_b32 exec_lo, exec_lo, s7
	v_mov_b32_e32 v1, 0
	s_waitcnt lgkmcnt(0)
	s_barrier
	buffer_gl0_inv
                                        ; implicit-def: $sgpr7
                                        ; implicit-def: $sgpr8_sgpr9
	ds_load_b32 v3, v1 offset:520
	s_waitcnt lgkmcnt(0)
	s_barrier
	buffer_gl0_inv
	s_and_saveexec_b32 s10, s3
	s_delay_alu instid0(SALU_CYCLE_1)
	s_xor_b32 s3, exec_lo, s10
; %bb.14:
	s_add_u32 s8, s0, 64
	s_addc_u32 s9, s1, 0
	s_mov_b32 s7, 0
; %bb.15:
	s_or_saveexec_b32 s3, s3
	v_dual_mov_b32 v16, s7 :: v_dual_mov_b32 v1, s8
	v_mov_b32_e32 v2, s9
	s_mul_hi_u32 s11, s22, s24
	s_mul_i32 s28, s22, s24
	s_xor_b32 exec_lo, exec_lo, s3
	s_cbranch_execz .LBB4_19
; %bb.16:
	s_load_b32 s23, s[0:1], 0x4c
	s_ashr_i32 s7, s22, 31
	v_dual_mov_b32 v2, 0 :: v_dual_mov_b32 v1, v0
	s_mul_i32 s7, s7, s24
	v_mov_b32_e32 v16, 0
	s_add_i32 s29, s11, s7
	s_delay_alu instid0(SALU_CYCLE_1) | instskip(NEXT) | instid1(SALU_CYCLE_1)
	s_lshl_b64 s[8:9], s[28:29], 2
	s_add_u32 s7, s16, s8
	s_addc_u32 s10, s17, s9
	s_add_u32 s8, s0, 64
	s_addc_u32 s9, s1, 0
	s_waitcnt lgkmcnt(0)
	s_and_b32 s29, s23, 0xffff
	s_mov_b32 s23, 0
	.p2align	6
.LBB4_17:                               ; =>This Inner Loop Header: Depth=1
	v_lshlrev_b64 v[17:18], 2, v[1:2]
	v_add_nc_u32_e32 v1, s29, v1
	s_delay_alu instid0(VALU_DEP_2) | instskip(NEXT) | instid1(VALU_DEP_3)
	v_add_co_u32 v19, vcc_lo, s7, v17
	v_add_co_ci_u32_e32 v20, vcc_lo, s10, v18, vcc_lo
	v_add_co_u32 v17, vcc_lo, s18, v17
	v_add_co_ci_u32_e32 v18, vcc_lo, s19, v18, vcc_lo
	global_load_b32 v19, v[19:20], off
	global_load_b32 v17, v[17:18], off
	v_cmp_le_u32_e32 vcc_lo, s21, v1
	s_or_b32 s23, vcc_lo, s23
	s_waitcnt vmcnt(1)
	v_mul_f32_e32 v18, v3, v19
	s_waitcnt vmcnt(0)
	s_delay_alu instid0(VALU_DEP_1) | instskip(NEXT) | instid1(VALU_DEP_1)
	v_dual_max_f32 v16, v16, v16 :: v_dual_mul_f32 v17, v18, v17
	v_max_f32_e64 v16, v16, |v17|
	s_and_not1_b32 exec_lo, exec_lo, s23
	s_cbranch_execnz .LBB4_17
; %bb.18:
	s_or_b32 exec_lo, exec_lo, s23
	v_dual_mov_b32 v1, s8 :: v_dual_mov_b32 v2, s9
.LBB4_19:
	s_or_b32 exec_lo, exec_lo, s3
	global_load_b32 v17, v[1:2], off
	s_waitcnt vmcnt(0)
	v_cmp_lt_u32_e32 vcc_lo, s24, v17
	v_cndmask_b32_e64 v17, 18, 12, vcc_lo
	s_delay_alu instid0(VALU_DEP_1)
	v_add_co_u32 v1, vcc_lo, v1, v17
	v_add_co_ci_u32_e32 v2, vcc_lo, 0, v2, vcc_lo
	global_load_u16 v1, v[1:2], off
	ds_bpermute_b32 v2, v4, v16
	s_waitcnt lgkmcnt(0)
	v_cmp_lt_f32_e32 vcc_lo, v16, v2
	v_cndmask_b32_e32 v2, v16, v2, vcc_lo
	s_waitcnt vmcnt(0)
	v_sub_nc_u32_e64 v14, v1, v14 clamp
	s_delay_alu instid0(VALU_DEP_1)
	v_cmp_lt_u32_e32 vcc_lo, v5, v14
	v_cmp_lt_u32_e64 s9, v13, v14
	v_cndmask_b32_e32 v2, v16, v2, vcc_lo
	ds_bpermute_b32 v17, v6, v2
	s_waitcnt lgkmcnt(0)
	v_cmp_lt_f32_e64 s3, v2, v17
	s_delay_alu instid0(VALU_DEP_1) | instskip(SKIP_1) | instid1(VALU_DEP_1)
	v_cndmask_b32_e64 v17, v2, v17, s3
	v_cmp_lt_u32_e64 s3, v8, v14
	v_cndmask_b32_e64 v2, v2, v17, s3
	s_or_b32 s3, vcc_lo, s3
	ds_bpermute_b32 v17, v7, v2
	s_waitcnt lgkmcnt(0)
	v_cmp_lt_f32_e64 s7, v2, v17
	s_delay_alu instid0(VALU_DEP_1) | instskip(SKIP_1) | instid1(VALU_DEP_1)
	v_cndmask_b32_e64 v17, v2, v17, s7
	v_cmp_lt_u32_e64 s7, v10, v14
	v_cndmask_b32_e64 v2, v2, v17, s7
	s_or_b32 s3, s7, s3
	ds_bpermute_b32 v17, v9, v2
	s_waitcnt lgkmcnt(0)
	v_cmp_lt_f32_e64 s8, v2, v17
	s_delay_alu instid0(VALU_DEP_1) | instskip(SKIP_1) | instid1(VALU_DEP_1)
	v_cndmask_b32_e64 v17, v2, v17, s8
	v_cmp_lt_u32_e64 s8, v12, v14
	v_cndmask_b32_e64 v2, v2, v17, s8
	s_or_b32 s3, s8, s3
	ds_bpermute_b32 v17, v11, v2
	s_waitcnt lgkmcnt(0)
	v_cmp_lt_f32_e64 s10, v2, v17
	s_delay_alu instid0(VALU_DEP_1) | instskip(SKIP_2) | instid1(VALU_DEP_1)
	s_and_b32 vcc_lo, s9, s10
	v_cndmask_b32_e32 v2, v2, v17, vcc_lo
	s_or_b32 vcc_lo, s9, s3
	v_cndmask_b32_e32 v2, v16, v2, vcc_lo
	s_and_saveexec_b32 s3, s5
	s_cbranch_execz .LBB4_21
; %bb.20:
	v_lshrrev_b32_e32 v14, 3, v0
	s_delay_alu instid0(VALU_DEP_1)
	v_and_b32_e32 v14, 0x7c, v14
	ds_store_b32 v14, v2 offset:384
.LBB4_21:
	s_or_b32 exec_lo, exec_lo, s3
	s_waitcnt lgkmcnt(0)
	s_barrier
	buffer_gl0_inv
	s_and_saveexec_b32 s9, s6
	s_cbranch_execz .LBB4_23
; %bb.22:
	ds_load_b32 v2, v15 offset:384
	s_waitcnt lgkmcnt(0)
	ds_bpermute_b32 v4, v4, v2
	s_waitcnt lgkmcnt(0)
	v_cmp_lt_f32_e32 vcc_lo, v2, v4
	v_dual_cndmask_b32 v4, v2, v4 :: v_dual_add_nc_u32 v1, 31, v1
	s_delay_alu instid0(VALU_DEP_1) | instskip(NEXT) | instid1(VALU_DEP_1)
	v_lshrrev_b32_e32 v1, 5, v1
	v_cmp_lt_u32_e32 vcc_lo, v5, v1
	v_cmp_lt_u32_e64 s7, v13, v1
	s_delay_alu instid0(VALU_DEP_4) | instskip(SKIP_3) | instid1(VALU_DEP_1)
	v_cndmask_b32_e32 v4, v2, v4, vcc_lo
	ds_bpermute_b32 v5, v6, v4
	s_waitcnt lgkmcnt(0)
	v_cmp_lt_f32_e64 s3, v4, v5
	v_cndmask_b32_e64 v5, v4, v5, s3
	v_cmp_lt_u32_e64 s3, v8, v1
	s_delay_alu instid0(VALU_DEP_1) | instskip(SKIP_4) | instid1(VALU_DEP_1)
	v_cndmask_b32_e64 v4, v4, v5, s3
	s_or_b32 s3, vcc_lo, s3
	ds_bpermute_b32 v5, v7, v4
	s_waitcnt lgkmcnt(0)
	v_cmp_lt_f32_e64 s5, v4, v5
	v_cndmask_b32_e64 v5, v4, v5, s5
	v_cmp_lt_u32_e64 s5, v10, v1
	s_delay_alu instid0(VALU_DEP_1) | instskip(SKIP_4) | instid1(VALU_DEP_1)
	v_cndmask_b32_e64 v4, v4, v5, s5
	s_or_b32 s3, s5, s3
	ds_bpermute_b32 v5, v9, v4
	s_waitcnt lgkmcnt(0)
	v_cmp_lt_f32_e64 s6, v4, v5
	v_cndmask_b32_e64 v5, v4, v5, s6
	v_cmp_lt_u32_e64 s6, v12, v1
	s_delay_alu instid0(VALU_DEP_1) | instskip(SKIP_4) | instid1(VALU_DEP_1)
	v_cndmask_b32_e64 v4, v4, v5, s6
	s_or_b32 s3, s6, s3
	ds_bpermute_b32 v5, v11, v4
	s_waitcnt lgkmcnt(0)
	v_cmp_lt_f32_e64 s8, v4, v5
	s_and_b32 vcc_lo, s7, s8
	v_cndmask_b32_e32 v1, v4, v5, vcc_lo
	s_or_b32 vcc_lo, s7, s3
	s_delay_alu instid0(VALU_DEP_1)
	v_cndmask_b32_e32 v2, v2, v1, vcc_lo
.LBB4_23:
	s_or_b32 exec_lo, exec_lo, s9
	s_and_saveexec_b32 s3, s4
	s_cbranch_execz .LBB4_27
; %bb.24:
	s_cmp_eq_u64 s[26:27], 0
	s_cbranch_scc1 .LBB4_26
; %bb.25:
	s_load_b32 s4, s[26:27], 0x0
	v_max_f32_e32 v1, v2, v2
	s_waitcnt lgkmcnt(0)
	v_max_f32_e64 v2, s4, s4
	s_delay_alu instid0(VALU_DEP_1)
	v_min_f32_e32 v2, v1, v2
.LBB4_26:
	s_delay_alu instid0(VALU_DEP_1) | instskip(SKIP_2) | instid1(VALU_DEP_2)
	v_div_scale_f32 v1, null, 0x43600000, 0x43600000, v2
	v_div_scale_f32 v6, vcc_lo, v2, 0x43600000, v2
	s_lshl_b64 s[4:5], s[24:25], 2
	v_rcp_f32_e32 v4, v1
	s_add_u32 s4, s14, s4
	s_addc_u32 s5, s15, s5
	s_waitcnt_depctr 0xfff
	v_fma_f32 v5, -v1, v4, 1.0
	s_delay_alu instid0(VALU_DEP_1) | instskip(NEXT) | instid1(VALU_DEP_1)
	v_fmac_f32_e32 v4, v5, v4
	v_mul_f32_e32 v5, v6, v4
	s_delay_alu instid0(VALU_DEP_1) | instskip(NEXT) | instid1(VALU_DEP_1)
	v_fma_f32 v7, -v1, v5, v6
	v_fmac_f32_e32 v5, v7, v4
	s_delay_alu instid0(VALU_DEP_1) | instskip(NEXT) | instid1(VALU_DEP_1)
	v_fma_f32 v1, -v1, v5, v6
	v_div_fmas_f32 v1, v1, v4, v5
	s_delay_alu instid0(VALU_DEP_1) | instskip(NEXT) | instid1(VALU_DEP_1)
	v_div_fixup_f32 v1, v1, 0x43600000, v2
	v_dual_mov_b32 v2, 0 :: v_dual_max_f32 v1, 0x37124925, v1
	ds_store_b32 v2, v1 offset:524
	global_store_b32 v2, v1, s[4:5]
.LBB4_27:
	s_or_b32 exec_lo, exec_lo, s3
	s_waitcnt lgkmcnt(0)
	s_waitcnt_vscnt null, 0x0
	s_barrier
	buffer_gl0_inv
	s_and_saveexec_b32 s3, s2
	s_cbranch_execz .LBB4_38
; %bb.28:
	v_dual_mov_b32 v2, 0 :: v_dual_mov_b32 v1, v0
	s_load_b32 s7, s[0:1], 0x4c
	s_ashr_i32 s4, s22, 31
	s_ashr_i32 s2, s21, 31
	ds_load_b32 v4, v2 offset:524
	s_mul_i32 s4, s4, s24
	s_mul_hi_u32 s5, s21, s24
	s_mul_i32 s2, s2, s24
	s_add_i32 s29, s11, s4
	s_add_i32 s6, s5, s2
	s_lshl_b64 s[4:5], s[28:29], 2
	s_mul_i32 s8, s21, s24
	s_add_u32 s2, s16, s4
	s_addc_u32 s4, s17, s5
	s_add_u32 s5, s12, s8
	s_addc_u32 s6, s13, s6
	s_mov_b32 s8, 0
	s_mov_b32 s9, 0x43600000
	s_waitcnt lgkmcnt(0)
	s_and_b32 s7, s7, 0xffff
	s_branch .LBB4_31
.LBB4_29:                               ;   in Loop: Header=BB4_31 Depth=1
	s_or_b32 exec_lo, exec_lo, s23
.LBB4_30:                               ;   in Loop: Header=BB4_31 Depth=1
	s_delay_alu instid0(SALU_CYCLE_1) | instskip(SKIP_3) | instid1(VALU_DEP_2)
	s_or_b32 exec_lo, exec_lo, s10
	v_add_co_u32 v5, s10, s5, v1
	v_add_nc_u32_e32 v1, s7, v1
	v_add_co_ci_u32_e64 v6, null, s6, 0, s10
	v_cmp_le_u32_e32 vcc_lo, s21, v1
	global_store_b8 v[5:6], v7, off
	s_or_b32 s8, vcc_lo, s8
	s_delay_alu instid0(SALU_CYCLE_1)
	s_and_not1_b32 exec_lo, exec_lo, s8
	s_cbranch_execz .LBB4_38
.LBB4_31:                               ; =>This Inner Loop Header: Depth=1
	v_lshlrev_b64 v[5:6], 2, v[1:2]
	s_mov_b32 s10, exec_lo
	s_delay_alu instid0(VALU_DEP_1) | instskip(NEXT) | instid1(VALU_DEP_2)
	v_add_co_u32 v7, vcc_lo, s2, v5
	v_add_co_ci_u32_e32 v8, vcc_lo, s4, v6, vcc_lo
	v_add_co_u32 v5, vcc_lo, s18, v5
	v_add_co_ci_u32_e32 v6, vcc_lo, s19, v6, vcc_lo
	global_load_b32 v7, v[7:8], off
	global_load_b32 v5, v[5:6], off
	s_waitcnt vmcnt(1)
	v_mul_f32_e32 v6, v3, v7
	s_waitcnt vmcnt(0)
	s_delay_alu instid0(VALU_DEP_1) | instskip(NEXT) | instid1(VALU_DEP_1)
	v_mul_f32_e32 v5, v6, v5
	v_div_scale_f32 v6, null, v4, v4, v5
	v_div_scale_f32 v9, vcc_lo, v5, v4, v5
	s_delay_alu instid0(VALU_DEP_2) | instskip(SKIP_2) | instid1(VALU_DEP_1)
	v_rcp_f32_e32 v7, v6
	s_waitcnt_depctr 0xfff
	v_fma_f32 v8, -v6, v7, 1.0
	v_fmac_f32_e32 v7, v8, v7
	s_delay_alu instid0(VALU_DEP_1) | instskip(NEXT) | instid1(VALU_DEP_1)
	v_mul_f32_e32 v8, v9, v7
	v_fma_f32 v10, -v6, v8, v9
	s_delay_alu instid0(VALU_DEP_1) | instskip(NEXT) | instid1(VALU_DEP_1)
	v_fmac_f32_e32 v8, v10, v7
	v_fma_f32 v6, -v6, v8, v9
	s_delay_alu instid0(VALU_DEP_1) | instskip(SKIP_1) | instid1(VALU_DEP_2)
	v_div_fmas_f32 v6, v6, v7, v8
	v_mov_b32_e32 v7, 0x80
	v_div_fixup_f32 v5, v6, v4, v5
	s_delay_alu instid0(VALU_DEP_1) | instskip(NEXT) | instid1(VALU_DEP_1)
	v_minmax_f32 v5, v5, s9, 0xc3600000
	v_and_b32_e32 v6, 0x7fffffff, v5
	s_delay_alu instid0(VALU_DEP_1)
	v_cmpx_gt_u32_e32 0x43800000, v6
	s_cbranch_execz .LBB4_30
; %bb.32:                               ;   in Loop: Header=BB4_31 Depth=1
	v_cmp_lt_u32_e32 vcc_lo, 0x3bffffff, v6
	s_mov_b32 s11, 0
                                        ; implicit-def: $vgpr6
	s_and_saveexec_b32 s23, vcc_lo
	s_delay_alu instid0(SALU_CYCLE_1)
	s_xor_b32 s23, exec_lo, s23
	s_cbranch_execnz .LBB4_35
; %bb.33:                               ;   in Loop: Header=BB4_31 Depth=1
	s_or_saveexec_b32 s23, s23
                                        ; implicit-def: $sgpr25
	s_delay_alu instid0(SALU_CYCLE_1)
	s_xor_b32 exec_lo, exec_lo, s23
	s_cbranch_execnz .LBB4_36
.LBB4_34:                               ;   in Loop: Header=BB4_31 Depth=1
	s_or_b32 exec_lo, exec_lo, s23
	v_mov_b32_e32 v7, s25
	s_and_saveexec_b32 s23, s11
	s_cbranch_execz .LBB4_29
	s_branch .LBB4_37
.LBB4_35:                               ;   in Loop: Header=BB4_31 Depth=1
	v_bfe_u32 v6, v5, 20, 1
	s_mov_b32 s11, exec_lo
	s_delay_alu instid0(VALU_DEP_1) | instskip(NEXT) | instid1(VALU_DEP_1)
	v_add3_u32 v6, v5, v6, 0x487ffff
	v_lshrrev_b32_e32 v6, 20, v6
	s_or_saveexec_b32 s23, s23
                                        ; implicit-def: $sgpr25
	s_delay_alu instid0(SALU_CYCLE_1)
	s_xor_b32 exec_lo, exec_lo, s23
	s_cbranch_execz .LBB4_34
.LBB4_36:                               ;   in Loop: Header=BB4_31 Depth=1
	v_add_f32_e64 v6, 0x46000000, |v5|
	s_and_not1_b32 s11, s11, exec_lo
	s_mov_b32 s25, 0
	s_delay_alu instid0(VALU_DEP_1) | instskip(NEXT) | instid1(VALU_DEP_1)
	v_and_b32_e32 v6, 0xff, v6
	v_cmp_ne_u32_e32 vcc_lo, 0, v6
	s_and_b32 s28, vcc_lo, exec_lo
	s_delay_alu instid0(SALU_CYCLE_1)
	s_or_b32 s11, s11, s28
	s_or_b32 exec_lo, exec_lo, s23
	v_mov_b32_e32 v7, s25
	s_and_saveexec_b32 s23, s11
	s_cbranch_execz .LBB4_29
.LBB4_37:                               ;   in Loop: Header=BB4_31 Depth=1
	v_lshrrev_b32_e32 v5, 24, v5
	s_delay_alu instid0(VALU_DEP_1)
	v_and_or_b32 v7, 0x80, v5, v6
	s_branch .LBB4_29
.LBB4_38:
	s_or_b32 exec_lo, exec_lo, s3
	s_branch .LBB4_211
.LBB4_39:
	s_cbranch_execz .LBB4_211
; %bb.40:
	s_load_b32 s3, s[0:1], 0x40
	s_ashr_i32 s2, s22, 31
	s_mul_hi_u32 s4, s22, s24
	s_mul_i32 s2, s2, s24
	v_mov_b32_e32 v10, 0
	s_add_i32 s5, s4, s2
	s_mul_i32 s4, s22, s24
	s_mov_b32 s25, 0
	s_lshl_b64 s[4:5], s[4:5], 2
	s_delay_alu instid0(SALU_CYCLE_1)
	s_add_u32 s9, s16, s4
	s_addc_u32 s10, s17, s5
	s_ashr_i32 s11, s21, 2
	s_add_u32 s0, s0, 64
	v_cmp_gt_u32_e64 s2, s11, v0
	s_addc_u32 s1, s1, 0
	s_delay_alu instid0(VALU_DEP_1)
	s_and_saveexec_b32 s4, s2
	s_cbranch_execz .LBB4_50
; %bb.41:
	s_waitcnt lgkmcnt(0)
	s_cmp_lt_u32 s24, s3
	v_mov_b32_e32 v2, 0
	s_cselect_b32 s5, 12, 18
	v_mov_b32_e32 v1, v0
	s_add_u32 s6, s0, s5
	s_addc_u32 s7, s1, 0
	s_mov_b32 s5, s25
	global_load_u16 v6, v2, s[6:7]
                                        ; implicit-def: $sgpr6
	s_waitcnt vmcnt(0)
	v_add_nc_u32_e32 v9, v6, v6
	v_mul_lo_u32 v7, v6, 3
	v_lshlrev_b32_e32 v8, 1, v6
	v_mov_b32_e32 v10, v2
	s_branch .LBB4_45
.LBB4_42:                               ;   in Loop: Header=BB4_45 Depth=1
	s_or_b32 exec_lo, exec_lo, s16
	s_delay_alu instid0(SALU_CYCLE_1)
	s_or_not1_b32 s16, s17, exec_lo
.LBB4_43:                               ;   in Loop: Header=BB4_45 Depth=1
	s_or_b32 exec_lo, exec_lo, s8
	s_delay_alu instid0(SALU_CYCLE_1) | instskip(SKIP_1) | instid1(SALU_CYCLE_1)
	s_and_not1_b32 s6, s6, exec_lo
	s_and_b32 s8, s16, exec_lo
	s_or_b32 s6, s6, s8
.LBB4_44:                               ;   in Loop: Header=BB4_45 Depth=1
	s_or_b32 exec_lo, exec_lo, s7
	s_delay_alu instid0(SALU_CYCLE_1) | instskip(NEXT) | instid1(SALU_CYCLE_1)
	s_and_b32 s7, exec_lo, s6
	s_or_b32 s5, s7, s5
	s_delay_alu instid0(SALU_CYCLE_1)
	s_and_not1_b32 exec_lo, exec_lo, s5
	s_cbranch_execz .LBB4_49
.LBB4_45:                               ; =>This Inner Loop Header: Depth=1
	v_lshlrev_b64 v[3:4], 4, v[1:2]
	s_or_b32 s6, s6, exec_lo
	s_mov_b32 s7, exec_lo
	s_delay_alu instid0(VALU_DEP_1) | instskip(NEXT) | instid1(VALU_DEP_2)
	v_add_co_u32 v3, vcc_lo, s9, v3
	v_add_co_ci_u32_e32 v4, vcc_lo, s10, v4, vcc_lo
	global_load_b128 v[11:14], v[3:4], off
	s_waitcnt vmcnt(0)
	v_dual_fmac_f32 v10, v11, v11 :: v_dual_add_nc_u32 v3, v1, v6
	s_delay_alu instid0(VALU_DEP_1) | instskip(NEXT) | instid1(VALU_DEP_1)
	v_fmac_f32_e32 v10, v12, v12
	v_fmac_f32_e32 v10, v13, v13
	s_delay_alu instid0(VALU_DEP_1) | instskip(NEXT) | instid1(VALU_DEP_4)
	v_fmac_f32_e32 v10, v14, v14
	v_cmpx_gt_u32_e64 s11, v3
	s_cbranch_execz .LBB4_44
; %bb.46:                               ;   in Loop: Header=BB4_45 Depth=1
	v_mov_b32_e32 v4, v2
	s_mov_b32 s16, -1
	s_mov_b32 s8, exec_lo
	s_delay_alu instid0(VALU_DEP_1) | instskip(NEXT) | instid1(VALU_DEP_1)
	v_lshlrev_b64 v[4:5], 4, v[3:4]
	v_add_co_u32 v4, vcc_lo, s9, v4
	s_delay_alu instid0(VALU_DEP_2) | instskip(SKIP_4) | instid1(VALU_DEP_1)
	v_add_co_ci_u32_e32 v5, vcc_lo, s10, v5, vcc_lo
	global_load_b128 v[11:14], v[4:5], off
	v_add_nc_u32_e32 v4, v8, v1
	s_waitcnt vmcnt(0)
	v_fmac_f32_e32 v10, v11, v11
	v_fmac_f32_e32 v10, v12, v12
	s_delay_alu instid0(VALU_DEP_1) | instskip(NEXT) | instid1(VALU_DEP_1)
	v_fmac_f32_e32 v10, v13, v13
	v_fmac_f32_e32 v10, v14, v14
	v_cmpx_gt_u32_e64 s11, v4
	s_cbranch_execz .LBB4_43
; %bb.47:                               ;   in Loop: Header=BB4_45 Depth=1
	v_mov_b32_e32 v5, v2
	s_mov_b32 s17, -1
	s_mov_b32 s16, exec_lo
	v_add_nc_u32_e32 v1, v7, v1
	s_delay_alu instid0(VALU_DEP_2) | instskip(NEXT) | instid1(VALU_DEP_1)
	v_lshlrev_b64 v[4:5], 4, v[4:5]
	v_add_co_u32 v4, vcc_lo, s9, v4
	s_delay_alu instid0(VALU_DEP_2) | instskip(SKIP_3) | instid1(VALU_DEP_1)
	v_add_co_ci_u32_e32 v5, vcc_lo, s10, v5, vcc_lo
	global_load_b128 v[11:14], v[4:5], off
	s_waitcnt vmcnt(0)
	v_fmac_f32_e32 v10, v11, v11
	v_fmac_f32_e32 v10, v12, v12
	s_delay_alu instid0(VALU_DEP_1) | instskip(NEXT) | instid1(VALU_DEP_1)
	v_fmac_f32_e32 v10, v13, v13
	v_fmac_f32_e32 v10, v14, v14
	v_cmpx_gt_u32_e64 s11, v1
	s_xor_b32 s16, exec_lo, s16
	s_cbranch_execz .LBB4_42
; %bb.48:                               ;   in Loop: Header=BB4_45 Depth=1
	v_lshlrev_b64 v[4:5], 4, v[1:2]
	v_add3_u32 v1, v9, v6, v3
	s_delay_alu instid0(VALU_DEP_2) | instskip(NEXT) | instid1(VALU_DEP_3)
	v_add_co_u32 v4, vcc_lo, s9, v4
	v_add_co_ci_u32_e32 v5, vcc_lo, s10, v5, vcc_lo
	s_delay_alu instid0(VALU_DEP_3) | instskip(SKIP_4) | instid1(VALU_DEP_1)
	v_cmp_le_u32_e32 vcc_lo, s11, v1
	global_load_b128 v[11:14], v[4:5], off
	s_or_not1_b32 s17, vcc_lo, exec_lo
	s_waitcnt vmcnt(0)
	v_fmac_f32_e32 v10, v11, v11
	v_fmac_f32_e32 v10, v12, v12
	s_delay_alu instid0(VALU_DEP_1) | instskip(NEXT) | instid1(VALU_DEP_1)
	v_fmac_f32_e32 v10, v13, v13
	v_fmac_f32_e32 v10, v14, v14
	s_branch .LBB4_42
.LBB4_49:
	s_or_b32 exec_lo, exec_lo, s5
.LBB4_50:
	s_delay_alu instid0(SALU_CYCLE_1)
	s_or_b32 exec_lo, exec_lo, s4
	s_waitcnt lgkmcnt(0)
	s_cmp_lt_u32 s24, s3
	v_dual_mov_b32 v1, 0 :: v_dual_and_b32 v4, 0x3e0, v0
	s_cselect_b32 s3, 12, 18
	v_mbcnt_lo_u32_b32 v6, -1, 0
	s_add_u32 s0, s0, s3
	s_addc_u32 s1, s1, 0
	global_load_u16 v1, v1, s[0:1]
	v_cmp_ne_u32_e32 vcc_lo, 31, v6
	v_add_nc_u32_e32 v8, 1, v6
	v_add_nc_u32_e32 v11, 2, v6
	;; [unrolled: 1-line block ×3, first 2 shown]
	v_cmp_eq_u32_e64 s6, 0, v6
	v_add_co_ci_u32_e32 v2, vcc_lo, 0, v6, vcc_lo
	v_cmp_gt_u32_e32 vcc_lo, 30, v6
	s_delay_alu instid0(VALU_DEP_2)
	v_lshlrev_b32_e32 v7, 2, v2
	v_cndmask_b32_e64 v3, 0, 1, vcc_lo
	v_cmp_gt_u32_e32 vcc_lo, 28, v6
	ds_bpermute_b32 v2, v7, v10
	v_lshlrev_b32_e32 v3, 1, v3
	v_cndmask_b32_e64 v5, 0, 1, vcc_lo
	v_cmp_gt_u32_e32 vcc_lo, 24, v6
	s_waitcnt lgkmcnt(0)
	s_delay_alu instid0(VALU_DEP_2) | instskip(SKIP_4) | instid1(VALU_DEP_2)
	v_dual_add_f32 v2, v10, v2 :: v_dual_lshlrev_b32 v5, 2, v5
	v_add_lshl_u32 v9, v3, v6, 2
	s_waitcnt vmcnt(0)
	v_sub_nc_u32_e64 v4, v1, v4 clamp
	v_readfirstlane_b32 s16, v1
	v_cmp_lt_u32_e64 s0, v8, v4
	v_cmp_lt_u32_e64 s1, v11, v4
	;; [unrolled: 1-line block ×3, first 2 shown]
	s_delay_alu instid0(VALU_DEP_3)
	v_cndmask_b32_e64 v2, v10, v2, s0
	v_add_lshl_u32 v10, v5, v6, 2
	v_cndmask_b32_e64 v5, 0, 1, vcc_lo
	v_cmp_gt_u32_e32 vcc_lo, 16, v6
	ds_bpermute_b32 v3, v9, v2
	v_lshlrev_b32_e32 v5, 3, v5
	s_delay_alu instid0(VALU_DEP_1) | instskip(SKIP_1) | instid1(VALU_DEP_1)
	v_add_lshl_u32 v12, v5, v6, 2
	v_cndmask_b32_e64 v5, 0, 1, vcc_lo
	v_lshlrev_b32_e32 v5, 4, v5
	s_delay_alu instid0(VALU_DEP_1) | instskip(SKIP_2) | instid1(VALU_DEP_1)
	v_add_lshl_u32 v15, v5, v6, 2
	s_waitcnt lgkmcnt(0)
	v_add_f32_e32 v3, v2, v3
	v_cndmask_b32_e64 v2, v2, v3, s1
	ds_bpermute_b32 v3, v10, v2
	s_waitcnt lgkmcnt(0)
	v_dual_add_f32 v3, v2, v3 :: v_dual_add_nc_u32 v14, 4, v6
	s_delay_alu instid0(VALU_DEP_1) | instskip(NEXT) | instid1(VALU_DEP_1)
	v_cmp_lt_u32_e64 s3, v14, v4
	v_cndmask_b32_e64 v2, v2, v3, s3
	ds_bpermute_b32 v3, v12, v2
	s_waitcnt lgkmcnt(0)
	v_dual_add_f32 v3, v2, v3 :: v_dual_add_nc_u32 v16, 8, v6
	s_delay_alu instid0(VALU_DEP_1) | instskip(NEXT) | instid1(VALU_DEP_1)
	v_cmp_lt_u32_e64 s5, v16, v4
	v_cndmask_b32_e64 v2, v2, v3, s5
	ds_bpermute_b32 v3, v15, v2
	s_waitcnt lgkmcnt(0)
	v_add_f32_e32 v3, v2, v3
	s_delay_alu instid0(VALU_DEP_1)
	v_cndmask_b32_e64 v1, v2, v3, s8
	s_and_saveexec_b32 s4, s6
	s_cbranch_execz .LBB4_52
; %bb.51:
	v_lshrrev_b32_e32 v2, 3, v0
	s_delay_alu instid0(VALU_DEP_1)
	v_and_b32_e32 v2, 0x7c, v2
	ds_store_b32 v2, v1
.LBB4_52:
	s_or_b32 exec_lo, exec_lo, s4
	v_cmp_gt_u32_e64 s7, 32, v0
	s_waitcnt lgkmcnt(0)
	s_waitcnt_vscnt null, 0x0
	s_barrier
	buffer_gl0_inv
	s_and_saveexec_b32 s4, s7
	s_cbranch_execz .LBB4_54
; %bb.53:
	v_lshlrev_b32_e32 v1, 2, v6
	s_add_i32 s17, s16, 31
	s_delay_alu instid0(SALU_CYCLE_1) | instskip(NEXT) | instid1(SALU_CYCLE_1)
	s_lshr_b32 s17, s17, 5
	v_cmp_gt_u32_e32 vcc_lo, s17, v8
	ds_load_b32 v1, v1
	s_waitcnt lgkmcnt(0)
	ds_bpermute_b32 v2, v7, v1
	s_waitcnt lgkmcnt(0)
	v_add_f32_e32 v2, v1, v2
	s_delay_alu instid0(VALU_DEP_1) | instskip(SKIP_4) | instid1(VALU_DEP_1)
	v_cndmask_b32_e32 v1, v1, v2, vcc_lo
	v_cmp_gt_u32_e32 vcc_lo, s17, v11
	ds_bpermute_b32 v2, v9, v1
	s_waitcnt lgkmcnt(0)
	v_add_f32_e32 v2, v1, v2
	v_cndmask_b32_e32 v1, v1, v2, vcc_lo
	v_cmp_gt_u32_e32 vcc_lo, s17, v14
	ds_bpermute_b32 v2, v10, v1
	s_waitcnt lgkmcnt(0)
	v_add_f32_e32 v2, v1, v2
	s_delay_alu instid0(VALU_DEP_1) | instskip(SKIP_4) | instid1(VALU_DEP_1)
	v_cndmask_b32_e32 v1, v1, v2, vcc_lo
	v_cmp_gt_u32_e32 vcc_lo, s17, v16
	ds_bpermute_b32 v2, v12, v1
	s_waitcnt lgkmcnt(0)
	v_add_f32_e32 v2, v1, v2
	v_cndmask_b32_e32 v1, v1, v2, vcc_lo
	v_cmp_gt_u32_e32 vcc_lo, s17, v17
	ds_bpermute_b32 v2, v15, v1
	s_waitcnt lgkmcnt(0)
	v_add_f32_e32 v2, v1, v2
	s_delay_alu instid0(VALU_DEP_1)
	v_cndmask_b32_e32 v1, v1, v2, vcc_lo
.LBB4_54:
	s_or_b32 exec_lo, exec_lo, s4
	v_cmp_eq_u32_e64 s4, 0, v0
	s_delay_alu instid0(VALU_DEP_1)
	s_and_saveexec_b32 s17, s4
	s_cbranch_execz .LBB4_56
; %bb.55:
	v_cvt_f32_i32_e32 v2, s21
	s_delay_alu instid0(VALU_DEP_1) | instskip(SKIP_1) | instid1(VALU_DEP_2)
	v_div_scale_f32 v3, null, v2, v2, v1
	v_div_scale_f32 v13, vcc_lo, v1, v2, v1
	v_rcp_f32_e32 v4, v3
	s_waitcnt_depctr 0xfff
	v_fma_f32 v5, -v3, v4, 1.0
	s_delay_alu instid0(VALU_DEP_1) | instskip(NEXT) | instid1(VALU_DEP_1)
	v_fmac_f32_e32 v4, v5, v4
	v_mul_f32_e32 v5, v13, v4
	s_delay_alu instid0(VALU_DEP_1) | instskip(NEXT) | instid1(VALU_DEP_1)
	v_fma_f32 v18, -v3, v5, v13
	v_fmac_f32_e32 v5, v18, v4
	s_delay_alu instid0(VALU_DEP_1) | instskip(NEXT) | instid1(VALU_DEP_1)
	v_fma_f32 v3, -v3, v5, v13
	v_div_fmas_f32 v3, v3, v4, v5
	s_delay_alu instid0(VALU_DEP_1) | instskip(NEXT) | instid1(VALU_DEP_1)
	v_div_fixup_f32 v1, v3, v2, v1
	v_add_f32_e32 v1, s20, v1
	s_delay_alu instid0(VALU_DEP_1) | instskip(SKIP_1) | instid1(VALU_DEP_2)
	v_mul_f32_e32 v2, 0x4b800000, v1
	v_cmp_gt_f32_e32 vcc_lo, 0x800000, v1
	v_cndmask_b32_e32 v1, v1, v2, vcc_lo
	s_delay_alu instid0(VALU_DEP_1) | instskip(SKIP_2) | instid1(VALU_DEP_1)
	v_rsq_f32_e32 v1, v1
	s_waitcnt_depctr 0xfff
	v_mul_f32_e32 v2, 0x45800000, v1
	v_dual_cndmask_b32 v1, v1, v2 :: v_dual_mov_b32 v2, 0
	ds_store_b32 v2, v1 offset:512
.LBB4_56:
	s_or_b32 exec_lo, exec_lo, s17
	v_mov_b32_e32 v18, 0
	s_waitcnt lgkmcnt(0)
	s_barrier
	buffer_gl0_inv
	ds_load_b32 v13, v18 offset:512
	s_and_saveexec_b32 s17, s2
	s_cbranch_execz .LBB4_66
; %bb.57:
	v_dual_mov_b32 v2, 0 :: v_dual_mov_b32 v1, v0
	v_mov_b32_e32 v18, 0
	s_mul_i32 s20, s16, 3
	s_lshl_b32 s23, s16, 1
	s_mov_b32 s22, 0
	s_add_i32 s28, s16, s16
                                        ; implicit-def: $sgpr29
	s_branch .LBB4_61
.LBB4_58:                               ;   in Loop: Header=BB4_61 Depth=1
	s_or_b32 exec_lo, exec_lo, s33
	s_delay_alu instid0(SALU_CYCLE_1)
	s_or_not1_b32 s33, s34, exec_lo
.LBB4_59:                               ;   in Loop: Header=BB4_61 Depth=1
	s_or_b32 exec_lo, exec_lo, s31
	s_delay_alu instid0(SALU_CYCLE_1) | instskip(SKIP_1) | instid1(SALU_CYCLE_1)
	s_and_not1_b32 s29, s29, exec_lo
	s_and_b32 s31, s33, exec_lo
	s_or_b32 s29, s29, s31
.LBB4_60:                               ;   in Loop: Header=BB4_61 Depth=1
	s_or_b32 exec_lo, exec_lo, s30
	s_delay_alu instid0(SALU_CYCLE_1) | instskip(NEXT) | instid1(SALU_CYCLE_1)
	s_and_b32 s30, exec_lo, s29
	s_or_b32 s22, s30, s22
	s_delay_alu instid0(SALU_CYCLE_1)
	s_and_not1_b32 exec_lo, exec_lo, s22
	s_cbranch_execz .LBB4_65
.LBB4_61:                               ; =>This Inner Loop Header: Depth=1
	v_lshlrev_b64 v[3:4], 4, v[1:2]
	s_or_b32 s29, s29, exec_lo
	s_mov_b32 s30, exec_lo
	s_delay_alu instid0(VALU_DEP_1) | instskip(NEXT) | instid1(VALU_DEP_2)
	v_add_co_u32 v19, vcc_lo, s9, v3
	v_add_co_ci_u32_e32 v20, vcc_lo, s10, v4, vcc_lo
	v_add_co_u32 v3, vcc_lo, s18, v3
	v_add_co_ci_u32_e32 v4, vcc_lo, s19, v4, vcc_lo
	global_load_b128 v[19:22], v[19:20], off
	global_load_b128 v[23:26], v[3:4], off
	s_waitcnt vmcnt(1) lgkmcnt(0)
	v_mul_f32_e32 v4, v13, v20
	v_mul_f32_e32 v3, v13, v19
	;; [unrolled: 1-line block ×3, first 2 shown]
	s_waitcnt vmcnt(0)
	s_delay_alu instid0(VALU_DEP_3) | instskip(NEXT) | instid1(VALU_DEP_3)
	v_dual_mul_f32 v19, v13, v22 :: v_dual_mul_f32 v4, v4, v24
	v_mul_f32_e32 v3, v3, v23
	s_delay_alu instid0(VALU_DEP_3) | instskip(NEXT) | instid1(VALU_DEP_3)
	v_mul_f32_e32 v5, v5, v25
	v_mul_f32_e32 v19, v19, v26
	s_delay_alu instid0(VALU_DEP_3) | instskip(SKIP_1) | instid1(VALU_DEP_2)
	v_max3_f32 v4, v18, |v3|, |v4|
	v_add_nc_u32_e32 v3, s16, v1
	v_max3_f32 v18, v4, |v5|, |v19|
	s_delay_alu instid0(VALU_DEP_2)
	v_cmpx_gt_u32_e64 s11, v3
	s_cbranch_execz .LBB4_60
; %bb.62:                               ;   in Loop: Header=BB4_61 Depth=1
	v_mov_b32_e32 v4, v2
	s_mov_b32 s33, -1
	s_mov_b32 s31, exec_lo
	s_delay_alu instid0(VALU_DEP_1) | instskip(NEXT) | instid1(VALU_DEP_1)
	v_lshlrev_b64 v[4:5], 4, v[3:4]
	v_add_co_u32 v19, vcc_lo, s9, v4
	s_delay_alu instid0(VALU_DEP_2)
	v_add_co_ci_u32_e32 v20, vcc_lo, s10, v5, vcc_lo
	v_add_co_u32 v4, vcc_lo, s18, v4
	v_add_co_ci_u32_e32 v5, vcc_lo, s19, v5, vcc_lo
	global_load_b128 v[19:22], v[19:20], off
	global_load_b128 v[23:26], v[4:5], off
	s_waitcnt vmcnt(1)
	v_mul_f32_e32 v5, v13, v20
	v_mul_f32_e32 v4, v13, v19
	;; [unrolled: 1-line block ×4, first 2 shown]
	s_waitcnt vmcnt(0)
	v_mul_f32_e32 v5, v5, v24
	s_delay_alu instid0(VALU_DEP_2) | instskip(SKIP_1) | instid1(VALU_DEP_1)
	v_dual_mul_f32 v19, v19, v25 :: v_dual_mul_f32 v20, v20, v26
	v_mul_f32_e32 v4, v4, v23
	v_max3_f32 v5, v18, |v4|, |v5|
	v_add_nc_u32_e32 v4, s23, v1
	s_delay_alu instid0(VALU_DEP_2) | instskip(NEXT) | instid1(VALU_DEP_2)
	v_max3_f32 v18, v5, |v19|, |v20|
	v_cmpx_gt_u32_e64 s11, v4
	s_cbranch_execz .LBB4_59
; %bb.63:                               ;   in Loop: Header=BB4_61 Depth=1
	v_mov_b32_e32 v5, v2
	v_add_nc_u32_e32 v1, s20, v1
	s_mov_b32 s34, -1
	s_mov_b32 s33, exec_lo
	s_delay_alu instid0(VALU_DEP_2) | instskip(NEXT) | instid1(VALU_DEP_1)
	v_lshlrev_b64 v[4:5], 4, v[4:5]
	v_add_co_u32 v19, vcc_lo, s9, v4
	s_delay_alu instid0(VALU_DEP_2)
	v_add_co_ci_u32_e32 v20, vcc_lo, s10, v5, vcc_lo
	v_add_co_u32 v4, vcc_lo, s18, v4
	v_add_co_ci_u32_e32 v5, vcc_lo, s19, v5, vcc_lo
	global_load_b128 v[19:22], v[19:20], off
	global_load_b128 v[23:26], v[4:5], off
	s_waitcnt vmcnt(1)
	v_mul_f32_e32 v4, v13, v19
	v_mul_f32_e32 v5, v13, v20
	;; [unrolled: 1-line block ×3, first 2 shown]
	s_waitcnt vmcnt(0)
	s_delay_alu instid0(VALU_DEP_3) | instskip(NEXT) | instid1(VALU_DEP_2)
	v_dual_mul_f32 v19, v13, v21 :: v_dual_mul_f32 v4, v4, v23
	v_dual_mul_f32 v5, v5, v24 :: v_dual_mul_f32 v20, v20, v26
	s_delay_alu instid0(VALU_DEP_2) | instskip(NEXT) | instid1(VALU_DEP_2)
	v_mul_f32_e32 v19, v19, v25
	v_max3_f32 v4, v18, |v4|, |v5|
	s_delay_alu instid0(VALU_DEP_1)
	v_max3_f32 v18, v4, |v19|, |v20|
	v_cmpx_gt_u32_e64 s11, v1
	s_xor_b32 s33, exec_lo, s33
	s_cbranch_execz .LBB4_58
; %bb.64:                               ;   in Loop: Header=BB4_61 Depth=1
	v_lshlrev_b64 v[4:5], 4, v[1:2]
	s_delay_alu instid0(VALU_DEP_1) | instskip(NEXT) | instid1(VALU_DEP_2)
	v_add_co_u32 v19, vcc_lo, s9, v4
	v_add_co_ci_u32_e32 v20, vcc_lo, s10, v5, vcc_lo
	v_add_co_u32 v4, vcc_lo, s18, v4
	v_add_co_ci_u32_e32 v5, vcc_lo, s19, v5, vcc_lo
	global_load_b128 v[19:22], v[19:20], off
	global_load_b128 v[23:26], v[4:5], off
	s_waitcnt vmcnt(1)
	v_mul_f32_e32 v4, v13, v20
	v_mul_f32_e32 v1, v13, v19
	v_mul_f32_e32 v5, v13, v21
	v_mul_f32_e32 v20, v13, v22
	s_waitcnt vmcnt(0)
	s_delay_alu instid0(VALU_DEP_3) | instskip(SKIP_3) | instid1(VALU_DEP_4)
	v_dual_mul_f32 v4, v4, v24 :: v_dual_mul_f32 v19, v1, v23
	v_add3_u32 v1, s28, s16, v3
	v_mul_f32_e32 v3, v5, v25
	v_mul_f32_e32 v5, v20, v26
	v_max3_f32 v4, v18, |v19|, |v4|
	s_delay_alu instid0(VALU_DEP_4) | instskip(NEXT) | instid1(VALU_DEP_2)
	v_cmp_le_u32_e32 vcc_lo, s11, v1
	v_max3_f32 v18, v4, |v3|, |v5|
	s_or_not1_b32 s34, vcc_lo, exec_lo
	s_branch .LBB4_58
.LBB4_65:
	s_or_b32 exec_lo, exec_lo, s22
.LBB4_66:
	s_delay_alu instid0(SALU_CYCLE_1) | instskip(SKIP_4) | instid1(VALU_DEP_1)
	s_or_b32 exec_lo, exec_lo, s17
	ds_bpermute_b32 v1, v7, v18
	s_waitcnt lgkmcnt(0)
	v_cmp_lt_f32_e32 vcc_lo, v18, v1
	v_cndmask_b32_e32 v1, v18, v1, vcc_lo
	v_cndmask_b32_e64 v1, v18, v1, s0
	s_or_b32 s0, s0, s1
	s_delay_alu instid0(SALU_CYCLE_1) | instskip(NEXT) | instid1(SALU_CYCLE_1)
	s_or_b32 s0, s3, s0
	s_or_b32 s0, s5, s0
	ds_bpermute_b32 v2, v9, v1
	s_waitcnt lgkmcnt(0)
	v_cmp_lt_f32_e32 vcc_lo, v1, v2
	v_cndmask_b32_e32 v2, v1, v2, vcc_lo
	s_delay_alu instid0(VALU_DEP_1) | instskip(SKIP_4) | instid1(VALU_DEP_1)
	v_cndmask_b32_e64 v1, v1, v2, s1
	ds_bpermute_b32 v2, v10, v1
	s_waitcnt lgkmcnt(0)
	v_cmp_lt_f32_e32 vcc_lo, v1, v2
	v_cndmask_b32_e32 v2, v1, v2, vcc_lo
	v_cndmask_b32_e64 v1, v1, v2, s3
	ds_bpermute_b32 v2, v12, v1
	s_waitcnt lgkmcnt(0)
	v_cmp_lt_f32_e32 vcc_lo, v1, v2
	v_cndmask_b32_e32 v2, v1, v2, vcc_lo
	s_delay_alu instid0(VALU_DEP_1)
	v_cndmask_b32_e64 v1, v1, v2, s5
	ds_bpermute_b32 v2, v15, v1
	s_waitcnt lgkmcnt(0)
	v_cmp_lt_f32_e32 vcc_lo, v1, v2
	s_and_b32 vcc_lo, s8, vcc_lo
	v_cndmask_b32_e32 v1, v1, v2, vcc_lo
	s_or_b32 vcc_lo, s8, s0
	s_delay_alu instid0(VALU_DEP_1)
	v_cndmask_b32_e32 v1, v18, v1, vcc_lo
	s_and_saveexec_b32 s0, s6
	s_cbranch_execz .LBB4_68
; %bb.67:
	v_lshrrev_b32_e32 v2, 3, v0
	s_delay_alu instid0(VALU_DEP_1)
	v_and_b32_e32 v2, 0x7c, v2
	ds_store_b32 v2, v1 offset:128
.LBB4_68:
	s_or_b32 exec_lo, exec_lo, s0
	s_waitcnt lgkmcnt(0)
	s_barrier
	buffer_gl0_inv
	s_and_saveexec_b32 s8, s7
	s_cbranch_execz .LBB4_70
; %bb.69:
	v_lshlrev_b32_e32 v1, 2, v6
	s_add_i32 s0, s16, 31
	s_delay_alu instid0(SALU_CYCLE_1)
	s_lshr_b32 s5, s0, 5
	ds_load_b32 v1, v1 offset:128
	s_waitcnt lgkmcnt(0)
	ds_bpermute_b32 v2, v7, v1
	s_waitcnt lgkmcnt(0)
	v_cmp_lt_f32_e32 vcc_lo, v1, v2
	v_cndmask_b32_e32 v2, v1, v2, vcc_lo
	v_cmp_gt_u32_e32 vcc_lo, s5, v8
	s_delay_alu instid0(VALU_DEP_2) | instskip(SKIP_3) | instid1(VALU_DEP_1)
	v_cndmask_b32_e32 v2, v1, v2, vcc_lo
	ds_bpermute_b32 v3, v9, v2
	s_waitcnt lgkmcnt(0)
	v_cmp_lt_f32_e64 s0, v2, v3
	v_cndmask_b32_e64 v3, v2, v3, s0
	v_cmp_gt_u32_e64 s0, s5, v11
	s_delay_alu instid0(VALU_DEP_1) | instskip(SKIP_4) | instid1(VALU_DEP_1)
	v_cndmask_b32_e64 v2, v2, v3, s0
	s_or_b32 s0, vcc_lo, s0
	ds_bpermute_b32 v3, v10, v2
	s_waitcnt lgkmcnt(0)
	v_cmp_lt_f32_e64 s1, v2, v3
	v_cndmask_b32_e64 v3, v2, v3, s1
	v_cmp_gt_u32_e64 s1, s5, v14
	s_delay_alu instid0(VALU_DEP_1) | instskip(SKIP_4) | instid1(VALU_DEP_1)
	v_cndmask_b32_e64 v2, v2, v3, s1
	s_or_b32 s0, s1, s0
	ds_bpermute_b32 v3, v12, v2
	s_waitcnt lgkmcnt(0)
	v_cmp_lt_f32_e64 s3, v2, v3
	v_cndmask_b32_e64 v3, v2, v3, s3
	v_cmp_gt_u32_e64 s3, s5, v16
	v_cmp_gt_u32_e64 s5, s5, v17
	s_delay_alu instid0(VALU_DEP_2) | instskip(SKIP_4) | instid1(VALU_DEP_1)
	v_cndmask_b32_e64 v2, v2, v3, s3
	s_or_b32 s0, s3, s0
	ds_bpermute_b32 v3, v15, v2
	s_waitcnt lgkmcnt(0)
	v_cmp_lt_f32_e64 s6, v2, v3
	s_and_b32 vcc_lo, s5, s6
	v_cndmask_b32_e32 v2, v2, v3, vcc_lo
	s_or_b32 vcc_lo, s5, s0
	s_delay_alu instid0(VALU_DEP_1)
	v_cndmask_b32_e32 v1, v1, v2, vcc_lo
.LBB4_70:
	s_or_b32 exec_lo, exec_lo, s8
	s_and_saveexec_b32 s0, s4
	s_cbranch_execz .LBB4_74
; %bb.71:
	s_cmp_eq_u64 s[26:27], 0
	s_cbranch_scc1 .LBB4_73
; %bb.72:
	s_load_b32 s1, s[26:27], 0x0
	v_max_f32_e32 v1, v1, v1
	s_waitcnt lgkmcnt(0)
	v_max_f32_e64 v2, s1, s1
	s_delay_alu instid0(VALU_DEP_1)
	v_min_f32_e32 v1, v1, v2
.LBB4_73:
	s_delay_alu instid0(VALU_DEP_1) | instskip(SKIP_2) | instid1(VALU_DEP_2)
	v_div_scale_f32 v2, null, 0x43600000, 0x43600000, v1
	v_div_scale_f32 v5, vcc_lo, v1, 0x43600000, v1
	s_lshl_b64 s[4:5], s[24:25], 2
	v_rcp_f32_e32 v3, v2
	s_add_u32 s4, s14, s4
	s_addc_u32 s5, s15, s5
	s_waitcnt_depctr 0xfff
	v_fma_f32 v4, -v2, v3, 1.0
	s_delay_alu instid0(VALU_DEP_1) | instskip(NEXT) | instid1(VALU_DEP_1)
	v_fmac_f32_e32 v3, v4, v3
	v_mul_f32_e32 v4, v5, v3
	s_delay_alu instid0(VALU_DEP_1) | instskip(NEXT) | instid1(VALU_DEP_1)
	v_fma_f32 v6, -v2, v4, v5
	v_fmac_f32_e32 v4, v6, v3
	s_delay_alu instid0(VALU_DEP_1) | instskip(NEXT) | instid1(VALU_DEP_1)
	v_fma_f32 v2, -v2, v4, v5
	v_div_fmas_f32 v2, v2, v3, v4
	s_delay_alu instid0(VALU_DEP_1) | instskip(NEXT) | instid1(VALU_DEP_1)
	v_div_fixup_f32 v1, v2, 0x43600000, v1
	v_dual_mov_b32 v2, 0 :: v_dual_max_f32 v1, 0x37124925, v1
	ds_store_b32 v2, v1 offset:516
	global_store_b32 v2, v1, s[4:5]
.LBB4_74:
	s_or_b32 exec_lo, exec_lo, s0
	s_waitcnt lgkmcnt(0)
	s_waitcnt_vscnt null, 0x0
	s_barrier
	buffer_gl0_inv
	s_and_saveexec_b32 s0, s2
	s_cbranch_execz .LBB4_211
; %bb.75:
	v_mov_b32_e32 v1, 0
	s_ashr_i32 s0, s21, 31
	s_mul_hi_u32 s1, s21, s24
	s_mul_i32 s0, s0, s24
	s_mul_i32 s2, s21, s24
	ds_load_b32 v14, v1 offset:516
	s_add_i32 s1, s1, s0
	s_add_u32 s0, s12, s2
	s_addc_u32 s1, s13, s1
	s_mul_i32 s2, s16, 3
	s_lshl_b32 s3, s16, 1
	s_mov_b32 s4, 0
	s_mov_b32 s5, 0x43600000
	s_branch .LBB4_81
.LBB4_76:                               ;   in Loop: Header=BB4_81 Depth=1
	s_or_b32 exec_lo, exec_lo, s14
.LBB4_77:                               ;   in Loop: Header=BB4_81 Depth=1
	s_delay_alu instid0(SALU_CYCLE_1)
	s_or_b32 exec_lo, exec_lo, s12
	v_lshlrev_b32_e32 v7, 16, v4
	v_lshlrev_b64 v[4:5], 2, v[0:1]
	v_lshlrev_b32_e32 v6, 8, v6
	s_add_i32 s12, s16, s16
	v_and_b32_e32 v8, 0xff, v2
	v_add3_u32 v0, s12, s16, v10
	v_perm_b32 v7, v3, v7, 0x4020c0c
	v_and_b32_e32 v6, 0xff00, v6
	v_add_co_u32 v2, vcc_lo, s0, v4
	v_add_co_ci_u32_e32 v3, vcc_lo, s1, v5, vcc_lo
	v_cmp_le_u32_e32 vcc_lo, s11, v0
	s_delay_alu instid0(VALU_DEP_4)
	v_or3_b32 v4, v7, v6, v8
	s_or_not1_b32 s12, vcc_lo, exec_lo
	global_store_b32 v[2:3], v4, off
.LBB4_78:                               ;   in Loop: Header=BB4_81 Depth=1
	s_or_b32 exec_lo, exec_lo, s8
	s_delay_alu instid0(SALU_CYCLE_1)
	s_or_not1_b32 s8, s12, exec_lo
.LBB4_79:                               ;   in Loop: Header=BB4_81 Depth=1
	s_or_b32 exec_lo, exec_lo, s7
	s_delay_alu instid0(SALU_CYCLE_1)
	s_or_not1_b32 s7, s8, exec_lo
.LBB4_80:                               ;   in Loop: Header=BB4_81 Depth=1
	s_or_b32 exec_lo, exec_lo, s6
	s_delay_alu instid0(SALU_CYCLE_1) | instskip(NEXT) | instid1(SALU_CYCLE_1)
	s_and_b32 s6, exec_lo, s7
	s_or_b32 s4, s6, s4
	s_delay_alu instid0(SALU_CYCLE_1)
	s_and_not1_b32 exec_lo, exec_lo, s4
	s_cbranch_execz .LBB4_211
.LBB4_81:                               ; =>This Inner Loop Header: Depth=1
	v_lshlrev_b64 v[2:3], 4, v[0:1]
	s_mov_b32 s6, exec_lo
	s_delay_alu instid0(VALU_DEP_1) | instskip(NEXT) | instid1(VALU_DEP_2)
	v_add_co_u32 v4, vcc_lo, s9, v2
	v_add_co_ci_u32_e32 v5, vcc_lo, s10, v3, vcc_lo
	v_add_co_u32 v6, vcc_lo, s18, v2
	v_add_co_ci_u32_e32 v7, vcc_lo, s19, v3, vcc_lo
	global_load_b128 v[2:5], v[4:5], off
	global_load_b128 v[6:9], v[6:7], off
	s_waitcnt vmcnt(1)
	v_mul_f32_e32 v2, v13, v2
	s_waitcnt vmcnt(0)
	s_delay_alu instid0(VALU_DEP_1) | instskip(SKIP_1) | instid1(VALU_DEP_1)
	v_mul_f32_e32 v2, v2, v6
	s_waitcnt lgkmcnt(0)
	v_div_scale_f32 v6, null, v14, v14, v2
	v_div_scale_f32 v12, vcc_lo, v2, v14, v2
	s_delay_alu instid0(VALU_DEP_2) | instskip(SKIP_2) | instid1(VALU_DEP_1)
	v_rcp_f32_e32 v10, v6
	s_waitcnt_depctr 0xfff
	v_fma_f32 v11, -v6, v10, 1.0
	v_fmac_f32_e32 v10, v11, v10
	s_delay_alu instid0(VALU_DEP_1) | instskip(NEXT) | instid1(VALU_DEP_1)
	v_mul_f32_e32 v11, v12, v10
	v_fma_f32 v15, -v6, v11, v12
	s_delay_alu instid0(VALU_DEP_1) | instskip(NEXT) | instid1(VALU_DEP_1)
	v_fmac_f32_e32 v11, v15, v10
	v_fma_f32 v6, -v6, v11, v12
	s_delay_alu instid0(VALU_DEP_1) | instskip(NEXT) | instid1(VALU_DEP_1)
	v_div_fmas_f32 v6, v6, v10, v11
	v_div_fixup_f32 v2, v6, v14, v2
	v_mov_b32_e32 v6, 0x80
	s_delay_alu instid0(VALU_DEP_2) | instskip(SKIP_1) | instid1(VALU_DEP_2)
	v_minmax_f32 v10, v2, s5, 0xc3600000
	v_mov_b32_e32 v2, 0x80
	v_and_b32_e32 v11, 0x7fffffff, v10
	s_delay_alu instid0(VALU_DEP_1)
	v_cmpx_gt_u32_e32 0x43800000, v11
	s_cbranch_execz .LBB4_87
; %bb.82:                               ;   in Loop: Header=BB4_81 Depth=1
	v_cmp_lt_u32_e32 vcc_lo, 0x3bffffff, v11
	s_mov_b32 s7, 0
                                        ; implicit-def: $vgpr11
	s_and_saveexec_b32 s8, vcc_lo
	s_delay_alu instid0(SALU_CYCLE_1)
	s_xor_b32 s8, exec_lo, s8
	s_cbranch_execnz .LBB4_178
; %bb.83:                               ;   in Loop: Header=BB4_81 Depth=1
	s_or_saveexec_b32 s8, s8
                                        ; implicit-def: $sgpr12
	s_delay_alu instid0(SALU_CYCLE_1)
	s_xor_b32 exec_lo, exec_lo, s8
	s_cbranch_execnz .LBB4_179
.LBB4_84:                               ;   in Loop: Header=BB4_81 Depth=1
	s_or_b32 exec_lo, exec_lo, s8
	v_mov_b32_e32 v6, s12
	s_and_saveexec_b32 s8, s7
.LBB4_85:                               ;   in Loop: Header=BB4_81 Depth=1
	v_lshrrev_b32_e32 v6, 24, v10
	s_delay_alu instid0(VALU_DEP_1)
	v_and_or_b32 v6, 0x80, v6, v11
.LBB4_86:                               ;   in Loop: Header=BB4_81 Depth=1
	s_or_b32 exec_lo, exec_lo, s8
.LBB4_87:                               ;   in Loop: Header=BB4_81 Depth=1
	s_delay_alu instid0(SALU_CYCLE_1) | instskip(SKIP_2) | instid1(VALU_DEP_1)
	s_or_b32 exec_lo, exec_lo, s6
	v_mul_f32_e32 v3, v13, v3
	s_mov_b32 s6, exec_lo
	v_mul_f32_e32 v3, v3, v7
	s_delay_alu instid0(VALU_DEP_1) | instskip(NEXT) | instid1(VALU_DEP_1)
	v_div_scale_f32 v7, null, v14, v14, v3
	v_rcp_f32_e32 v10, v7
	s_waitcnt_depctr 0xfff
	v_fma_f32 v11, -v7, v10, 1.0
	s_delay_alu instid0(VALU_DEP_1) | instskip(SKIP_1) | instid1(VALU_DEP_1)
	v_fmac_f32_e32 v10, v11, v10
	v_div_scale_f32 v11, vcc_lo, v3, v14, v3
	v_mul_f32_e32 v12, v11, v10
	s_delay_alu instid0(VALU_DEP_1) | instskip(NEXT) | instid1(VALU_DEP_1)
	v_fma_f32 v15, -v7, v12, v11
	v_fmac_f32_e32 v12, v15, v10
	s_delay_alu instid0(VALU_DEP_1) | instskip(NEXT) | instid1(VALU_DEP_1)
	v_fma_f32 v7, -v7, v12, v11
	v_div_fmas_f32 v7, v7, v10, v12
	s_delay_alu instid0(VALU_DEP_1) | instskip(NEXT) | instid1(VALU_DEP_1)
	v_div_fixup_f32 v3, v7, v14, v3
	v_minmax_f32 v3, v3, s5, 0xc3600000
	s_delay_alu instid0(VALU_DEP_1) | instskip(NEXT) | instid1(VALU_DEP_1)
	v_and_b32_e32 v7, 0x7fffffff, v3
	v_cmpx_gt_u32_e32 0x43800000, v7
	s_cbranch_execz .LBB4_93
; %bb.88:                               ;   in Loop: Header=BB4_81 Depth=1
	v_cmp_lt_u32_e32 vcc_lo, 0x3bffffff, v7
	s_mov_b32 s7, 0
                                        ; implicit-def: $vgpr7
	s_and_saveexec_b32 s8, vcc_lo
	s_delay_alu instid0(SALU_CYCLE_1)
	s_xor_b32 s8, exec_lo, s8
	s_cbranch_execnz .LBB4_180
; %bb.89:                               ;   in Loop: Header=BB4_81 Depth=1
	s_or_saveexec_b32 s8, s8
                                        ; implicit-def: $sgpr12
	s_delay_alu instid0(SALU_CYCLE_1)
	s_xor_b32 exec_lo, exec_lo, s8
	s_cbranch_execnz .LBB4_181
.LBB4_90:                               ;   in Loop: Header=BB4_81 Depth=1
	s_or_b32 exec_lo, exec_lo, s8
	v_mov_b32_e32 v2, s12
	s_and_saveexec_b32 s8, s7
.LBB4_91:                               ;   in Loop: Header=BB4_81 Depth=1
	v_lshrrev_b32_e32 v2, 24, v3
	s_delay_alu instid0(VALU_DEP_1)
	v_and_or_b32 v2, 0x80, v2, v7
.LBB4_92:                               ;   in Loop: Header=BB4_81 Depth=1
	s_or_b32 exec_lo, exec_lo, s8
.LBB4_93:                               ;   in Loop: Header=BB4_81 Depth=1
	s_delay_alu instid0(SALU_CYCLE_1) | instskip(SKIP_2) | instid1(VALU_DEP_1)
	s_or_b32 exec_lo, exec_lo, s6
	v_mul_f32_e32 v3, v13, v4
	s_mov_b32 s6, exec_lo
	v_mul_f32_e32 v3, v3, v8
	s_delay_alu instid0(VALU_DEP_1) | instskip(SKIP_1) | instid1(VALU_DEP_2)
	v_div_scale_f32 v4, null, v14, v14, v3
	v_div_scale_f32 v10, vcc_lo, v3, v14, v3
	v_rcp_f32_e32 v7, v4
	s_waitcnt_depctr 0xfff
	v_fma_f32 v8, -v4, v7, 1.0
	s_delay_alu instid0(VALU_DEP_1) | instskip(NEXT) | instid1(VALU_DEP_1)
	v_fmac_f32_e32 v7, v8, v7
	v_mul_f32_e32 v8, v10, v7
	s_delay_alu instid0(VALU_DEP_1) | instskip(NEXT) | instid1(VALU_DEP_1)
	v_fma_f32 v11, -v4, v8, v10
	v_fmac_f32_e32 v8, v11, v7
	s_delay_alu instid0(VALU_DEP_1) | instskip(NEXT) | instid1(VALU_DEP_1)
	v_fma_f32 v4, -v4, v8, v10
	v_div_fmas_f32 v4, v4, v7, v8
	s_delay_alu instid0(VALU_DEP_1) | instskip(SKIP_1) | instid1(VALU_DEP_2)
	v_div_fixup_f32 v3, v4, v14, v3
	v_mov_b32_e32 v4, 0x80
	v_minmax_f32 v7, v3, s5, 0xc3600000
	v_mov_b32_e32 v3, 0x80
	s_delay_alu instid0(VALU_DEP_2) | instskip(NEXT) | instid1(VALU_DEP_1)
	v_and_b32_e32 v8, 0x7fffffff, v7
	v_cmpx_gt_u32_e32 0x43800000, v8
	s_cbranch_execz .LBB4_99
; %bb.94:                               ;   in Loop: Header=BB4_81 Depth=1
	v_cmp_lt_u32_e32 vcc_lo, 0x3bffffff, v8
	s_mov_b32 s7, 0
                                        ; implicit-def: $vgpr8
	s_and_saveexec_b32 s8, vcc_lo
	s_delay_alu instid0(SALU_CYCLE_1)
	s_xor_b32 s8, exec_lo, s8
	s_cbranch_execnz .LBB4_182
; %bb.95:                               ;   in Loop: Header=BB4_81 Depth=1
	s_or_saveexec_b32 s8, s8
                                        ; implicit-def: $sgpr12
	s_delay_alu instid0(SALU_CYCLE_1)
	s_xor_b32 exec_lo, exec_lo, s8
	s_cbranch_execnz .LBB4_183
.LBB4_96:                               ;   in Loop: Header=BB4_81 Depth=1
	s_or_b32 exec_lo, exec_lo, s8
	v_mov_b32_e32 v4, s12
	s_and_saveexec_b32 s8, s7
.LBB4_97:                               ;   in Loop: Header=BB4_81 Depth=1
	v_lshrrev_b32_e32 v4, 24, v7
	s_delay_alu instid0(VALU_DEP_1)
	v_and_or_b32 v4, 0x80, v4, v8
.LBB4_98:                               ;   in Loop: Header=BB4_81 Depth=1
	s_or_b32 exec_lo, exec_lo, s8
.LBB4_99:                               ;   in Loop: Header=BB4_81 Depth=1
	s_delay_alu instid0(SALU_CYCLE_1) | instskip(SKIP_2) | instid1(VALU_DEP_1)
	s_or_b32 exec_lo, exec_lo, s6
	v_mul_f32_e32 v5, v13, v5
	s_mov_b32 s6, exec_lo
	v_mul_f32_e32 v5, v5, v9
	s_delay_alu instid0(VALU_DEP_1) | instskip(NEXT) | instid1(VALU_DEP_1)
	v_div_scale_f32 v7, null, v14, v14, v5
	v_rcp_f32_e32 v8, v7
	s_waitcnt_depctr 0xfff
	v_fma_f32 v9, -v7, v8, 1.0
	s_delay_alu instid0(VALU_DEP_1) | instskip(SKIP_1) | instid1(VALU_DEP_1)
	v_fmac_f32_e32 v8, v9, v8
	v_div_scale_f32 v9, vcc_lo, v5, v14, v5
	v_mul_f32_e32 v10, v9, v8
	s_delay_alu instid0(VALU_DEP_1) | instskip(NEXT) | instid1(VALU_DEP_1)
	v_fma_f32 v11, -v7, v10, v9
	v_fmac_f32_e32 v10, v11, v8
	s_delay_alu instid0(VALU_DEP_1) | instskip(NEXT) | instid1(VALU_DEP_1)
	v_fma_f32 v7, -v7, v10, v9
	v_div_fmas_f32 v7, v7, v8, v10
	s_delay_alu instid0(VALU_DEP_1) | instskip(NEXT) | instid1(VALU_DEP_1)
	v_div_fixup_f32 v5, v7, v14, v5
	v_minmax_f32 v5, v5, s5, 0xc3600000
	s_delay_alu instid0(VALU_DEP_1) | instskip(NEXT) | instid1(VALU_DEP_1)
	v_and_b32_e32 v7, 0x7fffffff, v5
	v_cmpx_gt_u32_e32 0x43800000, v7
	s_cbranch_execz .LBB4_105
; %bb.100:                              ;   in Loop: Header=BB4_81 Depth=1
	v_cmp_lt_u32_e32 vcc_lo, 0x3bffffff, v7
	s_mov_b32 s7, 0
                                        ; implicit-def: $vgpr7
	s_and_saveexec_b32 s8, vcc_lo
	s_delay_alu instid0(SALU_CYCLE_1)
	s_xor_b32 s8, exec_lo, s8
	s_cbranch_execnz .LBB4_184
; %bb.101:                              ;   in Loop: Header=BB4_81 Depth=1
	s_or_saveexec_b32 s8, s8
                                        ; implicit-def: $sgpr12
	s_delay_alu instid0(SALU_CYCLE_1)
	s_xor_b32 exec_lo, exec_lo, s8
	s_cbranch_execnz .LBB4_185
.LBB4_102:                              ;   in Loop: Header=BB4_81 Depth=1
	s_or_b32 exec_lo, exec_lo, s8
	v_mov_b32_e32 v3, s12
	s_and_saveexec_b32 s8, s7
.LBB4_103:                              ;   in Loop: Header=BB4_81 Depth=1
	v_lshrrev_b32_e32 v3, 24, v5
	s_delay_alu instid0(VALU_DEP_1)
	v_and_or_b32 v3, 0x80, v3, v7
.LBB4_104:                              ;   in Loop: Header=BB4_81 Depth=1
	s_or_b32 exec_lo, exec_lo, s8
.LBB4_105:                              ;   in Loop: Header=BB4_81 Depth=1
	s_delay_alu instid0(SALU_CYCLE_1)
	s_or_b32 exec_lo, exec_lo, s6
	v_lshlrev_b32_e32 v7, 16, v4
	v_lshlrev_b32_e32 v2, 8, v2
	v_lshlrev_b64 v[4:5], 2, v[0:1]
	v_and_b32_e32 v6, 0xff, v6
	v_add_nc_u32_e32 v10, s16, v0
	v_perm_b32 v7, v3, v7, 0x4020c0c
	v_and_b32_e32 v8, 0xff00, v2
	s_mov_b32 s7, -1
	v_add_co_u32 v2, vcc_lo, s0, v4
	v_add_co_ci_u32_e32 v3, vcc_lo, s1, v5, vcc_lo
	s_delay_alu instid0(VALU_DEP_3)
	v_or3_b32 v4, v7, v8, v6
	s_mov_b32 s6, exec_lo
	global_store_b32 v[2:3], v4, off
	v_cmpx_gt_u32_e64 s11, v10
	s_cbranch_execz .LBB4_80
; %bb.106:                              ;   in Loop: Header=BB4_81 Depth=1
	v_mov_b32_e32 v11, v1
	s_mov_b32 s7, exec_lo
	s_delay_alu instid0(VALU_DEP_1) | instskip(NEXT) | instid1(VALU_DEP_1)
	v_lshlrev_b64 v[2:3], 4, v[10:11]
	v_add_co_u32 v4, vcc_lo, s9, v2
	s_delay_alu instid0(VALU_DEP_2)
	v_add_co_ci_u32_e32 v5, vcc_lo, s10, v3, vcc_lo
	v_add_co_u32 v6, vcc_lo, s18, v2
	v_add_co_ci_u32_e32 v7, vcc_lo, s19, v3, vcc_lo
	global_load_b128 v[2:5], v[4:5], off
	global_load_b128 v[6:9], v[6:7], off
	s_waitcnt vmcnt(1)
	v_mul_f32_e32 v2, v13, v2
	s_waitcnt vmcnt(0)
	s_delay_alu instid0(VALU_DEP_1) | instskip(NEXT) | instid1(VALU_DEP_1)
	v_mul_f32_e32 v2, v2, v6
	v_div_scale_f32 v6, null, v14, v14, v2
	v_div_scale_f32 v16, vcc_lo, v2, v14, v2
	s_delay_alu instid0(VALU_DEP_2) | instskip(SKIP_2) | instid1(VALU_DEP_1)
	v_rcp_f32_e32 v12, v6
	s_waitcnt_depctr 0xfff
	v_fma_f32 v15, -v6, v12, 1.0
	v_fmac_f32_e32 v12, v15, v12
	s_delay_alu instid0(VALU_DEP_1) | instskip(NEXT) | instid1(VALU_DEP_1)
	v_mul_f32_e32 v15, v16, v12
	v_fma_f32 v17, -v6, v15, v16
	s_delay_alu instid0(VALU_DEP_1) | instskip(NEXT) | instid1(VALU_DEP_1)
	v_fmac_f32_e32 v15, v17, v12
	v_fma_f32 v6, -v6, v15, v16
	s_delay_alu instid0(VALU_DEP_1) | instskip(NEXT) | instid1(VALU_DEP_1)
	v_div_fmas_f32 v6, v6, v12, v15
	v_div_fixup_f32 v2, v6, v14, v2
	v_mov_b32_e32 v6, 0x80
	s_delay_alu instid0(VALU_DEP_2) | instskip(SKIP_1) | instid1(VALU_DEP_2)
	v_minmax_f32 v12, v2, s5, 0xc3600000
	v_mov_b32_e32 v2, 0x80
	v_and_b32_e32 v15, 0x7fffffff, v12
	s_delay_alu instid0(VALU_DEP_1)
	v_cmpx_gt_u32_e32 0x43800000, v15
	s_cbranch_execz .LBB4_112
; %bb.107:                              ;   in Loop: Header=BB4_81 Depth=1
	v_cmp_lt_u32_e32 vcc_lo, 0x3bffffff, v15
	s_mov_b32 s8, 0
                                        ; implicit-def: $vgpr15
	s_and_saveexec_b32 s12, vcc_lo
	s_delay_alu instid0(SALU_CYCLE_1)
	s_xor_b32 s12, exec_lo, s12
	s_cbranch_execnz .LBB4_186
; %bb.108:                              ;   in Loop: Header=BB4_81 Depth=1
	s_or_saveexec_b32 s12, s12
                                        ; implicit-def: $sgpr13
	s_delay_alu instid0(SALU_CYCLE_1)
	s_xor_b32 exec_lo, exec_lo, s12
	s_cbranch_execnz .LBB4_187
.LBB4_109:                              ;   in Loop: Header=BB4_81 Depth=1
	s_or_b32 exec_lo, exec_lo, s12
	v_mov_b32_e32 v2, s13
	s_and_saveexec_b32 s12, s8
.LBB4_110:                              ;   in Loop: Header=BB4_81 Depth=1
	v_lshrrev_b32_e32 v2, 24, v12
	s_delay_alu instid0(VALU_DEP_1)
	v_and_or_b32 v2, 0x80, v2, v15
.LBB4_111:                              ;   in Loop: Header=BB4_81 Depth=1
	s_or_b32 exec_lo, exec_lo, s12
.LBB4_112:                              ;   in Loop: Header=BB4_81 Depth=1
	s_delay_alu instid0(SALU_CYCLE_1) | instskip(SKIP_2) | instid1(VALU_DEP_1)
	s_or_b32 exec_lo, exec_lo, s7
	v_mul_f32_e32 v3, v13, v3
	s_mov_b32 s7, exec_lo
	v_mul_f32_e32 v3, v3, v7
	s_delay_alu instid0(VALU_DEP_1) | instskip(NEXT) | instid1(VALU_DEP_1)
	v_div_scale_f32 v7, null, v14, v14, v3
	v_rcp_f32_e32 v12, v7
	s_waitcnt_depctr 0xfff
	v_fma_f32 v15, -v7, v12, 1.0
	s_delay_alu instid0(VALU_DEP_1) | instskip(SKIP_1) | instid1(VALU_DEP_1)
	v_fmac_f32_e32 v12, v15, v12
	v_div_scale_f32 v15, vcc_lo, v3, v14, v3
	v_mul_f32_e32 v16, v15, v12
	s_delay_alu instid0(VALU_DEP_1) | instskip(NEXT) | instid1(VALU_DEP_1)
	v_fma_f32 v17, -v7, v16, v15
	v_fmac_f32_e32 v16, v17, v12
	s_delay_alu instid0(VALU_DEP_1) | instskip(NEXT) | instid1(VALU_DEP_1)
	v_fma_f32 v7, -v7, v16, v15
	v_div_fmas_f32 v7, v7, v12, v16
	s_delay_alu instid0(VALU_DEP_1) | instskip(NEXT) | instid1(VALU_DEP_1)
	v_div_fixup_f32 v3, v7, v14, v3
	v_minmax_f32 v3, v3, s5, 0xc3600000
	s_delay_alu instid0(VALU_DEP_1) | instskip(NEXT) | instid1(VALU_DEP_1)
	v_and_b32_e32 v7, 0x7fffffff, v3
	v_cmpx_gt_u32_e32 0x43800000, v7
	s_cbranch_execz .LBB4_118
; %bb.113:                              ;   in Loop: Header=BB4_81 Depth=1
	v_cmp_lt_u32_e32 vcc_lo, 0x3bffffff, v7
	s_mov_b32 s8, 0
                                        ; implicit-def: $vgpr7
	s_and_saveexec_b32 s12, vcc_lo
	s_delay_alu instid0(SALU_CYCLE_1)
	s_xor_b32 s12, exec_lo, s12
	s_cbranch_execnz .LBB4_188
; %bb.114:                              ;   in Loop: Header=BB4_81 Depth=1
	s_or_saveexec_b32 s12, s12
                                        ; implicit-def: $sgpr13
	s_delay_alu instid0(SALU_CYCLE_1)
	s_xor_b32 exec_lo, exec_lo, s12
	s_cbranch_execnz .LBB4_189
.LBB4_115:                              ;   in Loop: Header=BB4_81 Depth=1
	s_or_b32 exec_lo, exec_lo, s12
	v_mov_b32_e32 v6, s13
	s_and_saveexec_b32 s12, s8
.LBB4_116:                              ;   in Loop: Header=BB4_81 Depth=1
	v_lshrrev_b32_e32 v3, 24, v3
	s_delay_alu instid0(VALU_DEP_1)
	v_and_or_b32 v6, 0x80, v3, v7
.LBB4_117:                              ;   in Loop: Header=BB4_81 Depth=1
	s_or_b32 exec_lo, exec_lo, s12
.LBB4_118:                              ;   in Loop: Header=BB4_81 Depth=1
	s_delay_alu instid0(SALU_CYCLE_1) | instskip(SKIP_2) | instid1(VALU_DEP_1)
	s_or_b32 exec_lo, exec_lo, s7
	v_mul_f32_e32 v3, v13, v4
	s_mov_b32 s7, exec_lo
	v_mul_f32_e32 v3, v3, v8
	s_delay_alu instid0(VALU_DEP_1) | instskip(SKIP_1) | instid1(VALU_DEP_2)
	v_div_scale_f32 v4, null, v14, v14, v3
	v_div_scale_f32 v12, vcc_lo, v3, v14, v3
	v_rcp_f32_e32 v7, v4
	s_waitcnt_depctr 0xfff
	v_fma_f32 v8, -v4, v7, 1.0
	s_delay_alu instid0(VALU_DEP_1) | instskip(NEXT) | instid1(VALU_DEP_1)
	v_fmac_f32_e32 v7, v8, v7
	v_mul_f32_e32 v8, v12, v7
	s_delay_alu instid0(VALU_DEP_1) | instskip(NEXT) | instid1(VALU_DEP_1)
	v_fma_f32 v15, -v4, v8, v12
	v_fmac_f32_e32 v8, v15, v7
	s_delay_alu instid0(VALU_DEP_1) | instskip(NEXT) | instid1(VALU_DEP_1)
	v_fma_f32 v4, -v4, v8, v12
	v_div_fmas_f32 v4, v4, v7, v8
	s_delay_alu instid0(VALU_DEP_1) | instskip(SKIP_1) | instid1(VALU_DEP_2)
	v_div_fixup_f32 v3, v4, v14, v3
	v_mov_b32_e32 v4, 0x80
	v_minmax_f32 v7, v3, s5, 0xc3600000
	v_mov_b32_e32 v3, 0x80
	s_delay_alu instid0(VALU_DEP_2) | instskip(NEXT) | instid1(VALU_DEP_1)
	v_and_b32_e32 v8, 0x7fffffff, v7
	v_cmpx_gt_u32_e32 0x43800000, v8
	s_cbranch_execz .LBB4_124
; %bb.119:                              ;   in Loop: Header=BB4_81 Depth=1
	v_cmp_lt_u32_e32 vcc_lo, 0x3bffffff, v8
	s_mov_b32 s8, 0
                                        ; implicit-def: $vgpr8
	s_and_saveexec_b32 s12, vcc_lo
	s_delay_alu instid0(SALU_CYCLE_1)
	s_xor_b32 s12, exec_lo, s12
	s_cbranch_execnz .LBB4_190
; %bb.120:                              ;   in Loop: Header=BB4_81 Depth=1
	s_or_saveexec_b32 s12, s12
                                        ; implicit-def: $sgpr13
	s_delay_alu instid0(SALU_CYCLE_1)
	s_xor_b32 exec_lo, exec_lo, s12
	s_cbranch_execnz .LBB4_191
.LBB4_121:                              ;   in Loop: Header=BB4_81 Depth=1
	s_or_b32 exec_lo, exec_lo, s12
	v_mov_b32_e32 v4, s13
	s_and_saveexec_b32 s12, s8
.LBB4_122:                              ;   in Loop: Header=BB4_81 Depth=1
	v_lshrrev_b32_e32 v4, 24, v7
	s_delay_alu instid0(VALU_DEP_1)
	v_and_or_b32 v4, 0x80, v4, v8
.LBB4_123:                              ;   in Loop: Header=BB4_81 Depth=1
	s_or_b32 exec_lo, exec_lo, s12
.LBB4_124:                              ;   in Loop: Header=BB4_81 Depth=1
	s_delay_alu instid0(SALU_CYCLE_1) | instskip(SKIP_2) | instid1(VALU_DEP_1)
	s_or_b32 exec_lo, exec_lo, s7
	v_mul_f32_e32 v5, v13, v5
	s_mov_b32 s7, exec_lo
	v_mul_f32_e32 v5, v5, v9
	s_delay_alu instid0(VALU_DEP_1) | instskip(NEXT) | instid1(VALU_DEP_1)
	v_div_scale_f32 v7, null, v14, v14, v5
	v_rcp_f32_e32 v8, v7
	s_waitcnt_depctr 0xfff
	v_fma_f32 v9, -v7, v8, 1.0
	s_delay_alu instid0(VALU_DEP_1) | instskip(SKIP_1) | instid1(VALU_DEP_1)
	v_fmac_f32_e32 v8, v9, v8
	v_div_scale_f32 v9, vcc_lo, v5, v14, v5
	v_mul_f32_e32 v12, v9, v8
	s_delay_alu instid0(VALU_DEP_1) | instskip(NEXT) | instid1(VALU_DEP_1)
	v_fma_f32 v15, -v7, v12, v9
	v_fmac_f32_e32 v12, v15, v8
	s_delay_alu instid0(VALU_DEP_1) | instskip(NEXT) | instid1(VALU_DEP_1)
	v_fma_f32 v7, -v7, v12, v9
	v_div_fmas_f32 v7, v7, v8, v12
	s_delay_alu instid0(VALU_DEP_1) | instskip(NEXT) | instid1(VALU_DEP_1)
	v_div_fixup_f32 v5, v7, v14, v5
	v_minmax_f32 v5, v5, s5, 0xc3600000
	s_delay_alu instid0(VALU_DEP_1) | instskip(NEXT) | instid1(VALU_DEP_1)
	v_and_b32_e32 v7, 0x7fffffff, v5
	v_cmpx_gt_u32_e32 0x43800000, v7
	s_cbranch_execz .LBB4_130
; %bb.125:                              ;   in Loop: Header=BB4_81 Depth=1
	v_cmp_lt_u32_e32 vcc_lo, 0x3bffffff, v7
	s_mov_b32 s8, 0
                                        ; implicit-def: $vgpr7
	s_and_saveexec_b32 s12, vcc_lo
	s_delay_alu instid0(SALU_CYCLE_1)
	s_xor_b32 s12, exec_lo, s12
	s_cbranch_execnz .LBB4_192
; %bb.126:                              ;   in Loop: Header=BB4_81 Depth=1
	s_or_saveexec_b32 s12, s12
                                        ; implicit-def: $sgpr13
	s_delay_alu instid0(SALU_CYCLE_1)
	s_xor_b32 exec_lo, exec_lo, s12
	s_cbranch_execnz .LBB4_193
.LBB4_127:                              ;   in Loop: Header=BB4_81 Depth=1
	s_or_b32 exec_lo, exec_lo, s12
	v_mov_b32_e32 v3, s13
	s_and_saveexec_b32 s12, s8
.LBB4_128:                              ;   in Loop: Header=BB4_81 Depth=1
	v_lshrrev_b32_e32 v3, 24, v5
	s_delay_alu instid0(VALU_DEP_1)
	v_and_or_b32 v3, 0x80, v3, v7
.LBB4_129:                              ;   in Loop: Header=BB4_81 Depth=1
	s_or_b32 exec_lo, exec_lo, s12
.LBB4_130:                              ;   in Loop: Header=BB4_81 Depth=1
	s_delay_alu instid0(SALU_CYCLE_1)
	s_or_b32 exec_lo, exec_lo, s7
	v_lshlrev_b32_e32 v7, 16, v4
	v_lshlrev_b32_e32 v6, 8, v6
	v_lshlrev_b64 v[4:5], 2, v[10:11]
	v_and_b32_e32 v8, 0xff, v2
	v_add_nc_u32_e32 v11, s3, v0
	v_perm_b32 v7, v3, v7, 0x4020c0c
	v_and_b32_e32 v6, 0xff00, v6
	s_mov_b32 s8, -1
	v_add_co_u32 v2, vcc_lo, s0, v4
	v_add_co_ci_u32_e32 v3, vcc_lo, s1, v5, vcc_lo
	s_delay_alu instid0(VALU_DEP_3)
	v_or3_b32 v4, v7, v6, v8
	s_mov_b32 s7, exec_lo
	global_store_b32 v[2:3], v4, off
	v_cmpx_gt_u32_e64 s11, v11
	s_cbranch_execz .LBB4_79
; %bb.131:                              ;   in Loop: Header=BB4_81 Depth=1
	v_mov_b32_e32 v12, v1
	s_mov_b32 s8, exec_lo
	s_delay_alu instid0(VALU_DEP_1) | instskip(NEXT) | instid1(VALU_DEP_1)
	v_lshlrev_b64 v[2:3], 4, v[11:12]
	v_add_co_u32 v4, vcc_lo, s9, v2
	s_delay_alu instid0(VALU_DEP_2)
	v_add_co_ci_u32_e32 v5, vcc_lo, s10, v3, vcc_lo
	v_add_co_u32 v6, vcc_lo, s18, v2
	v_add_co_ci_u32_e32 v7, vcc_lo, s19, v3, vcc_lo
	global_load_b128 v[2:5], v[4:5], off
	global_load_b128 v[6:9], v[6:7], off
	s_waitcnt vmcnt(1)
	v_mul_f32_e32 v2, v13, v2
	s_waitcnt vmcnt(0)
	s_delay_alu instid0(VALU_DEP_1) | instskip(NEXT) | instid1(VALU_DEP_1)
	v_mul_f32_e32 v2, v2, v6
	v_div_scale_f32 v6, null, v14, v14, v2
	v_div_scale_f32 v17, vcc_lo, v2, v14, v2
	s_delay_alu instid0(VALU_DEP_2) | instskip(SKIP_2) | instid1(VALU_DEP_1)
	v_rcp_f32_e32 v15, v6
	s_waitcnt_depctr 0xfff
	v_fma_f32 v16, -v6, v15, 1.0
	v_fmac_f32_e32 v15, v16, v15
	s_delay_alu instid0(VALU_DEP_1) | instskip(NEXT) | instid1(VALU_DEP_1)
	v_mul_f32_e32 v16, v17, v15
	v_fma_f32 v18, -v6, v16, v17
	s_delay_alu instid0(VALU_DEP_1) | instskip(NEXT) | instid1(VALU_DEP_1)
	v_fmac_f32_e32 v16, v18, v15
	v_fma_f32 v6, -v6, v16, v17
	s_delay_alu instid0(VALU_DEP_1) | instskip(NEXT) | instid1(VALU_DEP_1)
	v_div_fmas_f32 v6, v6, v15, v16
	v_div_fixup_f32 v2, v6, v14, v2
	v_mov_b32_e32 v6, 0x80
	s_delay_alu instid0(VALU_DEP_2) | instskip(SKIP_1) | instid1(VALU_DEP_2)
	v_minmax_f32 v15, v2, s5, 0xc3600000
	v_mov_b32_e32 v2, 0x80
	v_and_b32_e32 v16, 0x7fffffff, v15
	s_delay_alu instid0(VALU_DEP_1)
	v_cmpx_gt_u32_e32 0x43800000, v16
	s_cbranch_execz .LBB4_137
; %bb.132:                              ;   in Loop: Header=BB4_81 Depth=1
	v_cmp_lt_u32_e32 vcc_lo, 0x3bffffff, v16
	s_mov_b32 s12, 0
                                        ; implicit-def: $vgpr16
	s_and_saveexec_b32 s13, vcc_lo
	s_delay_alu instid0(SALU_CYCLE_1)
	s_xor_b32 s13, exec_lo, s13
	s_cbranch_execnz .LBB4_194
; %bb.133:                              ;   in Loop: Header=BB4_81 Depth=1
	s_or_saveexec_b32 s13, s13
                                        ; implicit-def: $sgpr14
	s_delay_alu instid0(SALU_CYCLE_1)
	s_xor_b32 exec_lo, exec_lo, s13
	s_cbranch_execnz .LBB4_195
.LBB4_134:                              ;   in Loop: Header=BB4_81 Depth=1
	s_or_b32 exec_lo, exec_lo, s13
	v_mov_b32_e32 v2, s14
	s_and_saveexec_b32 s13, s12
.LBB4_135:                              ;   in Loop: Header=BB4_81 Depth=1
	v_lshrrev_b32_e32 v2, 24, v15
	s_delay_alu instid0(VALU_DEP_1)
	v_and_or_b32 v2, 0x80, v2, v16
.LBB4_136:                              ;   in Loop: Header=BB4_81 Depth=1
	s_or_b32 exec_lo, exec_lo, s13
.LBB4_137:                              ;   in Loop: Header=BB4_81 Depth=1
	s_delay_alu instid0(SALU_CYCLE_1) | instskip(SKIP_2) | instid1(VALU_DEP_1)
	s_or_b32 exec_lo, exec_lo, s8
	v_mul_f32_e32 v3, v13, v3
	s_mov_b32 s8, exec_lo
	v_mul_f32_e32 v3, v3, v7
	s_delay_alu instid0(VALU_DEP_1) | instskip(NEXT) | instid1(VALU_DEP_1)
	v_div_scale_f32 v7, null, v14, v14, v3
	v_rcp_f32_e32 v15, v7
	s_waitcnt_depctr 0xfff
	v_fma_f32 v16, -v7, v15, 1.0
	s_delay_alu instid0(VALU_DEP_1) | instskip(SKIP_1) | instid1(VALU_DEP_1)
	v_fmac_f32_e32 v15, v16, v15
	v_div_scale_f32 v16, vcc_lo, v3, v14, v3
	v_mul_f32_e32 v17, v16, v15
	s_delay_alu instid0(VALU_DEP_1) | instskip(NEXT) | instid1(VALU_DEP_1)
	v_fma_f32 v18, -v7, v17, v16
	v_fmac_f32_e32 v17, v18, v15
	s_delay_alu instid0(VALU_DEP_1) | instskip(NEXT) | instid1(VALU_DEP_1)
	v_fma_f32 v7, -v7, v17, v16
	v_div_fmas_f32 v7, v7, v15, v17
	s_delay_alu instid0(VALU_DEP_1) | instskip(NEXT) | instid1(VALU_DEP_1)
	v_div_fixup_f32 v3, v7, v14, v3
	v_minmax_f32 v3, v3, s5, 0xc3600000
	s_delay_alu instid0(VALU_DEP_1) | instskip(NEXT) | instid1(VALU_DEP_1)
	v_and_b32_e32 v7, 0x7fffffff, v3
	v_cmpx_gt_u32_e32 0x43800000, v7
	s_cbranch_execz .LBB4_143
; %bb.138:                              ;   in Loop: Header=BB4_81 Depth=1
	v_cmp_lt_u32_e32 vcc_lo, 0x3bffffff, v7
	s_mov_b32 s12, 0
                                        ; implicit-def: $vgpr7
	s_and_saveexec_b32 s13, vcc_lo
	s_delay_alu instid0(SALU_CYCLE_1)
	s_xor_b32 s13, exec_lo, s13
	s_cbranch_execnz .LBB4_196
; %bb.139:                              ;   in Loop: Header=BB4_81 Depth=1
	s_or_saveexec_b32 s13, s13
                                        ; implicit-def: $sgpr14
	s_delay_alu instid0(SALU_CYCLE_1)
	s_xor_b32 exec_lo, exec_lo, s13
	s_cbranch_execnz .LBB4_197
.LBB4_140:                              ;   in Loop: Header=BB4_81 Depth=1
	s_or_b32 exec_lo, exec_lo, s13
	v_mov_b32_e32 v6, s14
	s_and_saveexec_b32 s13, s12
.LBB4_141:                              ;   in Loop: Header=BB4_81 Depth=1
	v_lshrrev_b32_e32 v3, 24, v3
	s_delay_alu instid0(VALU_DEP_1)
	v_and_or_b32 v6, 0x80, v3, v7
.LBB4_142:                              ;   in Loop: Header=BB4_81 Depth=1
	s_or_b32 exec_lo, exec_lo, s13
.LBB4_143:                              ;   in Loop: Header=BB4_81 Depth=1
	s_delay_alu instid0(SALU_CYCLE_1) | instskip(SKIP_2) | instid1(VALU_DEP_1)
	s_or_b32 exec_lo, exec_lo, s8
	v_mul_f32_e32 v3, v13, v4
	s_mov_b32 s8, exec_lo
	v_mul_f32_e32 v3, v3, v8
	s_delay_alu instid0(VALU_DEP_1) | instskip(SKIP_1) | instid1(VALU_DEP_2)
	v_div_scale_f32 v4, null, v14, v14, v3
	v_div_scale_f32 v15, vcc_lo, v3, v14, v3
	v_rcp_f32_e32 v7, v4
	s_waitcnt_depctr 0xfff
	v_fma_f32 v8, -v4, v7, 1.0
	s_delay_alu instid0(VALU_DEP_1) | instskip(NEXT) | instid1(VALU_DEP_1)
	v_fmac_f32_e32 v7, v8, v7
	v_mul_f32_e32 v8, v15, v7
	s_delay_alu instid0(VALU_DEP_1) | instskip(NEXT) | instid1(VALU_DEP_1)
	v_fma_f32 v16, -v4, v8, v15
	v_fmac_f32_e32 v8, v16, v7
	s_delay_alu instid0(VALU_DEP_1) | instskip(NEXT) | instid1(VALU_DEP_1)
	v_fma_f32 v4, -v4, v8, v15
	v_div_fmas_f32 v4, v4, v7, v8
	s_delay_alu instid0(VALU_DEP_1) | instskip(SKIP_1) | instid1(VALU_DEP_2)
	v_div_fixup_f32 v3, v4, v14, v3
	v_mov_b32_e32 v4, 0x80
	v_minmax_f32 v7, v3, s5, 0xc3600000
	v_mov_b32_e32 v3, 0x80
	s_delay_alu instid0(VALU_DEP_2) | instskip(NEXT) | instid1(VALU_DEP_1)
	v_and_b32_e32 v8, 0x7fffffff, v7
	v_cmpx_gt_u32_e32 0x43800000, v8
	s_cbranch_execz .LBB4_149
; %bb.144:                              ;   in Loop: Header=BB4_81 Depth=1
	v_cmp_lt_u32_e32 vcc_lo, 0x3bffffff, v8
	s_mov_b32 s12, 0
                                        ; implicit-def: $vgpr8
	s_and_saveexec_b32 s13, vcc_lo
	s_delay_alu instid0(SALU_CYCLE_1)
	s_xor_b32 s13, exec_lo, s13
	s_cbranch_execnz .LBB4_198
; %bb.145:                              ;   in Loop: Header=BB4_81 Depth=1
	s_or_saveexec_b32 s13, s13
                                        ; implicit-def: $sgpr14
	s_delay_alu instid0(SALU_CYCLE_1)
	s_xor_b32 exec_lo, exec_lo, s13
	s_cbranch_execnz .LBB4_199
.LBB4_146:                              ;   in Loop: Header=BB4_81 Depth=1
	s_or_b32 exec_lo, exec_lo, s13
	v_mov_b32_e32 v4, s14
	s_and_saveexec_b32 s13, s12
.LBB4_147:                              ;   in Loop: Header=BB4_81 Depth=1
	v_lshrrev_b32_e32 v4, 24, v7
	s_delay_alu instid0(VALU_DEP_1)
	v_and_or_b32 v4, 0x80, v4, v8
.LBB4_148:                              ;   in Loop: Header=BB4_81 Depth=1
	s_or_b32 exec_lo, exec_lo, s13
.LBB4_149:                              ;   in Loop: Header=BB4_81 Depth=1
	s_delay_alu instid0(SALU_CYCLE_1) | instskip(SKIP_2) | instid1(VALU_DEP_1)
	s_or_b32 exec_lo, exec_lo, s8
	v_mul_f32_e32 v5, v13, v5
	s_mov_b32 s8, exec_lo
	v_mul_f32_e32 v5, v5, v9
	s_delay_alu instid0(VALU_DEP_1) | instskip(NEXT) | instid1(VALU_DEP_1)
	v_div_scale_f32 v7, null, v14, v14, v5
	v_rcp_f32_e32 v8, v7
	s_waitcnt_depctr 0xfff
	v_fma_f32 v9, -v7, v8, 1.0
	s_delay_alu instid0(VALU_DEP_1) | instskip(SKIP_1) | instid1(VALU_DEP_1)
	v_fmac_f32_e32 v8, v9, v8
	v_div_scale_f32 v9, vcc_lo, v5, v14, v5
	v_mul_f32_e32 v15, v9, v8
	s_delay_alu instid0(VALU_DEP_1) | instskip(NEXT) | instid1(VALU_DEP_1)
	v_fma_f32 v16, -v7, v15, v9
	v_fmac_f32_e32 v15, v16, v8
	s_delay_alu instid0(VALU_DEP_1) | instskip(NEXT) | instid1(VALU_DEP_1)
	v_fma_f32 v7, -v7, v15, v9
	v_div_fmas_f32 v7, v7, v8, v15
	s_delay_alu instid0(VALU_DEP_1) | instskip(NEXT) | instid1(VALU_DEP_1)
	v_div_fixup_f32 v5, v7, v14, v5
	v_minmax_f32 v5, v5, s5, 0xc3600000
	s_delay_alu instid0(VALU_DEP_1) | instskip(NEXT) | instid1(VALU_DEP_1)
	v_and_b32_e32 v7, 0x7fffffff, v5
	v_cmpx_gt_u32_e32 0x43800000, v7
	s_cbranch_execz .LBB4_155
; %bb.150:                              ;   in Loop: Header=BB4_81 Depth=1
	v_cmp_lt_u32_e32 vcc_lo, 0x3bffffff, v7
	s_mov_b32 s12, 0
                                        ; implicit-def: $vgpr7
	s_and_saveexec_b32 s13, vcc_lo
	s_delay_alu instid0(SALU_CYCLE_1)
	s_xor_b32 s13, exec_lo, s13
	s_cbranch_execnz .LBB4_200
; %bb.151:                              ;   in Loop: Header=BB4_81 Depth=1
	s_or_saveexec_b32 s13, s13
                                        ; implicit-def: $sgpr14
	s_delay_alu instid0(SALU_CYCLE_1)
	s_xor_b32 exec_lo, exec_lo, s13
	s_cbranch_execnz .LBB4_201
.LBB4_152:                              ;   in Loop: Header=BB4_81 Depth=1
	s_or_b32 exec_lo, exec_lo, s13
	v_mov_b32_e32 v3, s14
	s_and_saveexec_b32 s13, s12
.LBB4_153:                              ;   in Loop: Header=BB4_81 Depth=1
	v_lshrrev_b32_e32 v3, 24, v5
	s_delay_alu instid0(VALU_DEP_1)
	v_and_or_b32 v3, 0x80, v3, v7
.LBB4_154:                              ;   in Loop: Header=BB4_81 Depth=1
	s_or_b32 exec_lo, exec_lo, s13
.LBB4_155:                              ;   in Loop: Header=BB4_81 Depth=1
	s_delay_alu instid0(SALU_CYCLE_1)
	s_or_b32 exec_lo, exec_lo, s8
	v_lshlrev_b32_e32 v7, 16, v4
	v_lshlrev_b32_e32 v6, 8, v6
	v_lshlrev_b64 v[4:5], 2, v[11:12]
	v_and_b32_e32 v8, 0xff, v2
	v_add_nc_u32_e32 v0, s2, v0
	v_perm_b32 v7, v3, v7, 0x4020c0c
	v_and_b32_e32 v6, 0xff00, v6
	s_mov_b32 s12, -1
	v_add_co_u32 v2, vcc_lo, s0, v4
	v_add_co_ci_u32_e32 v3, vcc_lo, s1, v5, vcc_lo
	s_delay_alu instid0(VALU_DEP_3)
	v_or3_b32 v4, v7, v6, v8
	s_mov_b32 s8, exec_lo
	global_store_b32 v[2:3], v4, off
	v_cmpx_gt_u32_e64 s11, v0
	s_cbranch_execz .LBB4_78
; %bb.156:                              ;   in Loop: Header=BB4_81 Depth=1
	v_lshlrev_b64 v[2:3], 4, v[0:1]
	s_mov_b32 s12, exec_lo
	s_delay_alu instid0(VALU_DEP_1) | instskip(NEXT) | instid1(VALU_DEP_2)
	v_add_co_u32 v4, vcc_lo, s9, v2
	v_add_co_ci_u32_e32 v5, vcc_lo, s10, v3, vcc_lo
	v_add_co_u32 v6, vcc_lo, s18, v2
	v_add_co_ci_u32_e32 v7, vcc_lo, s19, v3, vcc_lo
	global_load_b128 v[2:5], v[4:5], off
	global_load_b128 v[6:9], v[6:7], off
	s_waitcnt vmcnt(1)
	v_mul_f32_e32 v2, v13, v2
	s_waitcnt vmcnt(0)
	s_delay_alu instid0(VALU_DEP_1) | instskip(NEXT) | instid1(VALU_DEP_1)
	v_mul_f32_e32 v2, v2, v6
	v_div_scale_f32 v6, null, v14, v14, v2
	v_div_scale_f32 v15, vcc_lo, v2, v14, v2
	s_delay_alu instid0(VALU_DEP_2) | instskip(SKIP_2) | instid1(VALU_DEP_1)
	v_rcp_f32_e32 v11, v6
	s_waitcnt_depctr 0xfff
	v_fma_f32 v12, -v6, v11, 1.0
	v_fmac_f32_e32 v11, v12, v11
	s_delay_alu instid0(VALU_DEP_1) | instskip(NEXT) | instid1(VALU_DEP_1)
	v_mul_f32_e32 v12, v15, v11
	v_fma_f32 v16, -v6, v12, v15
	s_delay_alu instid0(VALU_DEP_1) | instskip(NEXT) | instid1(VALU_DEP_1)
	v_fmac_f32_e32 v12, v16, v11
	v_fma_f32 v6, -v6, v12, v15
	s_delay_alu instid0(VALU_DEP_1) | instskip(NEXT) | instid1(VALU_DEP_1)
	v_div_fmas_f32 v6, v6, v11, v12
	v_div_fixup_f32 v2, v6, v14, v2
	v_mov_b32_e32 v6, 0x80
	s_delay_alu instid0(VALU_DEP_2) | instskip(SKIP_1) | instid1(VALU_DEP_2)
	v_minmax_f32 v11, v2, s5, 0xc3600000
	v_mov_b32_e32 v2, 0x80
	v_and_b32_e32 v12, 0x7fffffff, v11
	s_delay_alu instid0(VALU_DEP_1)
	v_cmpx_gt_u32_e32 0x43800000, v12
	s_cbranch_execz .LBB4_162
; %bb.157:                              ;   in Loop: Header=BB4_81 Depth=1
	v_cmp_lt_u32_e32 vcc_lo, 0x3bffffff, v12
	s_mov_b32 s13, 0
                                        ; implicit-def: $vgpr12
	s_and_saveexec_b32 s14, vcc_lo
	s_delay_alu instid0(SALU_CYCLE_1)
	s_xor_b32 s14, exec_lo, s14
	s_cbranch_execnz .LBB4_202
; %bb.158:                              ;   in Loop: Header=BB4_81 Depth=1
	s_or_saveexec_b32 s14, s14
                                        ; implicit-def: $sgpr15
	s_delay_alu instid0(SALU_CYCLE_1)
	s_xor_b32 exec_lo, exec_lo, s14
	s_cbranch_execnz .LBB4_203
.LBB4_159:                              ;   in Loop: Header=BB4_81 Depth=1
	s_or_b32 exec_lo, exec_lo, s14
	v_mov_b32_e32 v2, s15
	s_and_saveexec_b32 s14, s13
.LBB4_160:                              ;   in Loop: Header=BB4_81 Depth=1
	v_lshrrev_b32_e32 v2, 24, v11
	s_delay_alu instid0(VALU_DEP_1)
	v_and_or_b32 v2, 0x80, v2, v12
.LBB4_161:                              ;   in Loop: Header=BB4_81 Depth=1
	s_or_b32 exec_lo, exec_lo, s14
.LBB4_162:                              ;   in Loop: Header=BB4_81 Depth=1
	s_delay_alu instid0(SALU_CYCLE_1) | instskip(SKIP_2) | instid1(VALU_DEP_1)
	s_or_b32 exec_lo, exec_lo, s12
	v_mul_f32_e32 v3, v13, v3
	s_mov_b32 s12, exec_lo
	v_mul_f32_e32 v3, v3, v7
	s_delay_alu instid0(VALU_DEP_1) | instskip(NEXT) | instid1(VALU_DEP_1)
	v_div_scale_f32 v7, null, v14, v14, v3
	v_rcp_f32_e32 v11, v7
	s_waitcnt_depctr 0xfff
	v_fma_f32 v12, -v7, v11, 1.0
	s_delay_alu instid0(VALU_DEP_1) | instskip(SKIP_1) | instid1(VALU_DEP_1)
	v_fmac_f32_e32 v11, v12, v11
	v_div_scale_f32 v12, vcc_lo, v3, v14, v3
	v_mul_f32_e32 v15, v12, v11
	s_delay_alu instid0(VALU_DEP_1) | instskip(NEXT) | instid1(VALU_DEP_1)
	v_fma_f32 v16, -v7, v15, v12
	v_fmac_f32_e32 v15, v16, v11
	s_delay_alu instid0(VALU_DEP_1) | instskip(NEXT) | instid1(VALU_DEP_1)
	v_fma_f32 v7, -v7, v15, v12
	v_div_fmas_f32 v7, v7, v11, v15
	s_delay_alu instid0(VALU_DEP_1) | instskip(NEXT) | instid1(VALU_DEP_1)
	v_div_fixup_f32 v3, v7, v14, v3
	v_minmax_f32 v3, v3, s5, 0xc3600000
	s_delay_alu instid0(VALU_DEP_1) | instskip(NEXT) | instid1(VALU_DEP_1)
	v_and_b32_e32 v7, 0x7fffffff, v3
	v_cmpx_gt_u32_e32 0x43800000, v7
	s_cbranch_execz .LBB4_168
; %bb.163:                              ;   in Loop: Header=BB4_81 Depth=1
	v_cmp_lt_u32_e32 vcc_lo, 0x3bffffff, v7
	s_mov_b32 s13, 0
                                        ; implicit-def: $vgpr7
	s_and_saveexec_b32 s14, vcc_lo
	s_delay_alu instid0(SALU_CYCLE_1)
	s_xor_b32 s14, exec_lo, s14
	s_cbranch_execnz .LBB4_204
; %bb.164:                              ;   in Loop: Header=BB4_81 Depth=1
	s_or_saveexec_b32 s14, s14
                                        ; implicit-def: $sgpr15
	s_delay_alu instid0(SALU_CYCLE_1)
	s_xor_b32 exec_lo, exec_lo, s14
	s_cbranch_execnz .LBB4_205
.LBB4_165:                              ;   in Loop: Header=BB4_81 Depth=1
	s_or_b32 exec_lo, exec_lo, s14
	v_mov_b32_e32 v6, s15
	s_and_saveexec_b32 s14, s13
.LBB4_166:                              ;   in Loop: Header=BB4_81 Depth=1
	v_lshrrev_b32_e32 v3, 24, v3
	s_delay_alu instid0(VALU_DEP_1)
	v_and_or_b32 v6, 0x80, v3, v7
.LBB4_167:                              ;   in Loop: Header=BB4_81 Depth=1
	s_or_b32 exec_lo, exec_lo, s14
.LBB4_168:                              ;   in Loop: Header=BB4_81 Depth=1
	s_delay_alu instid0(SALU_CYCLE_1) | instskip(SKIP_2) | instid1(VALU_DEP_1)
	s_or_b32 exec_lo, exec_lo, s12
	v_mul_f32_e32 v3, v13, v4
	s_mov_b32 s12, exec_lo
	v_mul_f32_e32 v3, v3, v8
	s_delay_alu instid0(VALU_DEP_1) | instskip(SKIP_1) | instid1(VALU_DEP_2)
	v_div_scale_f32 v4, null, v14, v14, v3
	v_div_scale_f32 v11, vcc_lo, v3, v14, v3
	v_rcp_f32_e32 v7, v4
	s_waitcnt_depctr 0xfff
	v_fma_f32 v8, -v4, v7, 1.0
	s_delay_alu instid0(VALU_DEP_1) | instskip(NEXT) | instid1(VALU_DEP_1)
	v_fmac_f32_e32 v7, v8, v7
	v_mul_f32_e32 v8, v11, v7
	s_delay_alu instid0(VALU_DEP_1) | instskip(NEXT) | instid1(VALU_DEP_1)
	v_fma_f32 v12, -v4, v8, v11
	v_fmac_f32_e32 v8, v12, v7
	s_delay_alu instid0(VALU_DEP_1) | instskip(NEXT) | instid1(VALU_DEP_1)
	v_fma_f32 v4, -v4, v8, v11
	v_div_fmas_f32 v4, v4, v7, v8
	s_delay_alu instid0(VALU_DEP_1) | instskip(SKIP_1) | instid1(VALU_DEP_2)
	v_div_fixup_f32 v3, v4, v14, v3
	v_mov_b32_e32 v4, 0x80
	v_minmax_f32 v7, v3, s5, 0xc3600000
	v_mov_b32_e32 v3, 0x80
	s_delay_alu instid0(VALU_DEP_2) | instskip(NEXT) | instid1(VALU_DEP_1)
	v_and_b32_e32 v8, 0x7fffffff, v7
	v_cmpx_gt_u32_e32 0x43800000, v8
	s_cbranch_execz .LBB4_174
; %bb.169:                              ;   in Loop: Header=BB4_81 Depth=1
	v_cmp_lt_u32_e32 vcc_lo, 0x3bffffff, v8
	s_mov_b32 s13, 0
                                        ; implicit-def: $vgpr8
	s_and_saveexec_b32 s14, vcc_lo
	s_delay_alu instid0(SALU_CYCLE_1)
	s_xor_b32 s14, exec_lo, s14
	s_cbranch_execnz .LBB4_206
; %bb.170:                              ;   in Loop: Header=BB4_81 Depth=1
	s_or_saveexec_b32 s14, s14
                                        ; implicit-def: $sgpr15
	s_delay_alu instid0(SALU_CYCLE_1)
	s_xor_b32 exec_lo, exec_lo, s14
	s_cbranch_execnz .LBB4_207
.LBB4_171:                              ;   in Loop: Header=BB4_81 Depth=1
	s_or_b32 exec_lo, exec_lo, s14
	v_mov_b32_e32 v4, s15
	s_and_saveexec_b32 s14, s13
.LBB4_172:                              ;   in Loop: Header=BB4_81 Depth=1
	v_lshrrev_b32_e32 v4, 24, v7
	s_delay_alu instid0(VALU_DEP_1)
	v_and_or_b32 v4, 0x80, v4, v8
.LBB4_173:                              ;   in Loop: Header=BB4_81 Depth=1
	s_or_b32 exec_lo, exec_lo, s14
.LBB4_174:                              ;   in Loop: Header=BB4_81 Depth=1
	s_delay_alu instid0(SALU_CYCLE_1) | instskip(SKIP_2) | instid1(VALU_DEP_1)
	s_or_b32 exec_lo, exec_lo, s12
	v_mul_f32_e32 v5, v13, v5
	s_mov_b32 s12, exec_lo
	v_mul_f32_e32 v5, v5, v9
	s_delay_alu instid0(VALU_DEP_1) | instskip(NEXT) | instid1(VALU_DEP_1)
	v_div_scale_f32 v7, null, v14, v14, v5
	v_rcp_f32_e32 v8, v7
	s_waitcnt_depctr 0xfff
	v_fma_f32 v9, -v7, v8, 1.0
	s_delay_alu instid0(VALU_DEP_1) | instskip(SKIP_1) | instid1(VALU_DEP_1)
	v_fmac_f32_e32 v8, v9, v8
	v_div_scale_f32 v9, vcc_lo, v5, v14, v5
	v_mul_f32_e32 v11, v9, v8
	s_delay_alu instid0(VALU_DEP_1) | instskip(NEXT) | instid1(VALU_DEP_1)
	v_fma_f32 v12, -v7, v11, v9
	v_fmac_f32_e32 v11, v12, v8
	s_delay_alu instid0(VALU_DEP_1) | instskip(NEXT) | instid1(VALU_DEP_1)
	v_fma_f32 v7, -v7, v11, v9
	v_div_fmas_f32 v7, v7, v8, v11
	s_delay_alu instid0(VALU_DEP_1) | instskip(NEXT) | instid1(VALU_DEP_1)
	v_div_fixup_f32 v5, v7, v14, v5
	v_minmax_f32 v5, v5, s5, 0xc3600000
	s_delay_alu instid0(VALU_DEP_1) | instskip(NEXT) | instid1(VALU_DEP_1)
	v_and_b32_e32 v7, 0x7fffffff, v5
	v_cmpx_gt_u32_e32 0x43800000, v7
	s_cbranch_execz .LBB4_77
; %bb.175:                              ;   in Loop: Header=BB4_81 Depth=1
	v_cmp_lt_u32_e32 vcc_lo, 0x3bffffff, v7
	s_mov_b32 s13, 0
                                        ; implicit-def: $vgpr7
	s_and_saveexec_b32 s14, vcc_lo
	s_delay_alu instid0(SALU_CYCLE_1)
	s_xor_b32 s14, exec_lo, s14
	s_cbranch_execnz .LBB4_208
; %bb.176:                              ;   in Loop: Header=BB4_81 Depth=1
	s_or_saveexec_b32 s14, s14
                                        ; implicit-def: $sgpr15
	s_delay_alu instid0(SALU_CYCLE_1)
	s_xor_b32 exec_lo, exec_lo, s14
	s_cbranch_execnz .LBB4_209
.LBB4_177:                              ;   in Loop: Header=BB4_81 Depth=1
	s_or_b32 exec_lo, exec_lo, s14
	v_mov_b32_e32 v3, s15
	s_and_saveexec_b32 s14, s13
	s_cbranch_execz .LBB4_76
	s_branch .LBB4_210
.LBB4_178:                              ;   in Loop: Header=BB4_81 Depth=1
	v_bfe_u32 v6, v10, 20, 1
	s_mov_b32 s7, exec_lo
	s_delay_alu instid0(VALU_DEP_1) | instskip(NEXT) | instid1(VALU_DEP_1)
	v_add3_u32 v6, v10, v6, 0x487ffff
	v_lshrrev_b32_e32 v11, 20, v6
	s_or_saveexec_b32 s8, s8
                                        ; implicit-def: $sgpr12
	s_delay_alu instid0(SALU_CYCLE_1)
	s_xor_b32 exec_lo, exec_lo, s8
	s_cbranch_execz .LBB4_84
.LBB4_179:                              ;   in Loop: Header=BB4_81 Depth=1
	v_add_f32_e64 v6, 0x46000000, |v10|
	s_and_not1_b32 s7, s7, exec_lo
	s_mov_b32 s12, 0
	s_delay_alu instid0(VALU_DEP_1) | instskip(NEXT) | instid1(VALU_DEP_1)
	v_and_b32_e32 v11, 0xff, v6
	v_cmp_ne_u32_e32 vcc_lo, 0, v11
	s_and_b32 s13, vcc_lo, exec_lo
	s_delay_alu instid0(SALU_CYCLE_1)
	s_or_b32 s7, s7, s13
	s_or_b32 exec_lo, exec_lo, s8
	v_mov_b32_e32 v6, s12
	s_and_saveexec_b32 s8, s7
	s_cbranch_execnz .LBB4_85
	s_branch .LBB4_86
.LBB4_180:                              ;   in Loop: Header=BB4_81 Depth=1
	v_bfe_u32 v2, v3, 20, 1
	s_mov_b32 s7, exec_lo
	s_delay_alu instid0(VALU_DEP_1) | instskip(NEXT) | instid1(VALU_DEP_1)
	v_add3_u32 v2, v3, v2, 0x487ffff
	v_lshrrev_b32_e32 v7, 20, v2
	s_or_saveexec_b32 s8, s8
                                        ; implicit-def: $sgpr12
	s_delay_alu instid0(SALU_CYCLE_1)
	s_xor_b32 exec_lo, exec_lo, s8
	s_cbranch_execz .LBB4_90
.LBB4_181:                              ;   in Loop: Header=BB4_81 Depth=1
	v_add_f32_e64 v2, 0x46000000, |v3|
	s_and_not1_b32 s7, s7, exec_lo
	s_mov_b32 s12, 0
	s_delay_alu instid0(VALU_DEP_1) | instskip(NEXT) | instid1(VALU_DEP_1)
	v_and_b32_e32 v7, 0xff, v2
	v_cmp_ne_u32_e32 vcc_lo, 0, v7
	s_and_b32 s13, vcc_lo, exec_lo
	s_delay_alu instid0(SALU_CYCLE_1)
	s_or_b32 s7, s7, s13
	s_or_b32 exec_lo, exec_lo, s8
	v_mov_b32_e32 v2, s12
	s_and_saveexec_b32 s8, s7
	s_cbranch_execnz .LBB4_91
	s_branch .LBB4_92
.LBB4_182:                              ;   in Loop: Header=BB4_81 Depth=1
	v_bfe_u32 v4, v7, 20, 1
	s_mov_b32 s7, exec_lo
	s_delay_alu instid0(VALU_DEP_1) | instskip(NEXT) | instid1(VALU_DEP_1)
	v_add3_u32 v4, v7, v4, 0x487ffff
	v_lshrrev_b32_e32 v8, 20, v4
	s_or_saveexec_b32 s8, s8
                                        ; implicit-def: $sgpr12
	s_delay_alu instid0(SALU_CYCLE_1)
	s_xor_b32 exec_lo, exec_lo, s8
	s_cbranch_execz .LBB4_96
.LBB4_183:                              ;   in Loop: Header=BB4_81 Depth=1
	v_add_f32_e64 v4, 0x46000000, |v7|
	s_and_not1_b32 s7, s7, exec_lo
	s_mov_b32 s12, 0
	s_delay_alu instid0(VALU_DEP_1) | instskip(NEXT) | instid1(VALU_DEP_1)
	v_and_b32_e32 v8, 0xff, v4
	v_cmp_ne_u32_e32 vcc_lo, 0, v8
	s_and_b32 s13, vcc_lo, exec_lo
	s_delay_alu instid0(SALU_CYCLE_1)
	s_or_b32 s7, s7, s13
	s_or_b32 exec_lo, exec_lo, s8
	v_mov_b32_e32 v4, s12
	s_and_saveexec_b32 s8, s7
	s_cbranch_execnz .LBB4_97
	s_branch .LBB4_98
.LBB4_184:                              ;   in Loop: Header=BB4_81 Depth=1
	v_bfe_u32 v3, v5, 20, 1
	s_mov_b32 s7, exec_lo
	s_delay_alu instid0(VALU_DEP_1) | instskip(NEXT) | instid1(VALU_DEP_1)
	v_add3_u32 v3, v5, v3, 0x487ffff
	v_lshrrev_b32_e32 v7, 20, v3
	s_or_saveexec_b32 s8, s8
                                        ; implicit-def: $sgpr12
	s_delay_alu instid0(SALU_CYCLE_1)
	s_xor_b32 exec_lo, exec_lo, s8
	s_cbranch_execz .LBB4_102
.LBB4_185:                              ;   in Loop: Header=BB4_81 Depth=1
	v_add_f32_e64 v3, 0x46000000, |v5|
	s_and_not1_b32 s7, s7, exec_lo
	s_mov_b32 s12, 0
	s_delay_alu instid0(VALU_DEP_1) | instskip(NEXT) | instid1(VALU_DEP_1)
	v_and_b32_e32 v7, 0xff, v3
	v_cmp_ne_u32_e32 vcc_lo, 0, v7
	s_and_b32 s13, vcc_lo, exec_lo
	s_delay_alu instid0(SALU_CYCLE_1)
	s_or_b32 s7, s7, s13
	s_or_b32 exec_lo, exec_lo, s8
	v_mov_b32_e32 v3, s12
	s_and_saveexec_b32 s8, s7
	s_cbranch_execnz .LBB4_103
	s_branch .LBB4_104
.LBB4_186:                              ;   in Loop: Header=BB4_81 Depth=1
	v_bfe_u32 v2, v12, 20, 1
	s_mov_b32 s8, exec_lo
	s_delay_alu instid0(VALU_DEP_1) | instskip(NEXT) | instid1(VALU_DEP_1)
	v_add3_u32 v2, v12, v2, 0x487ffff
	v_lshrrev_b32_e32 v15, 20, v2
	s_or_saveexec_b32 s12, s12
                                        ; implicit-def: $sgpr13
	s_delay_alu instid0(SALU_CYCLE_1)
	s_xor_b32 exec_lo, exec_lo, s12
	s_cbranch_execz .LBB4_109
.LBB4_187:                              ;   in Loop: Header=BB4_81 Depth=1
	v_add_f32_e64 v2, 0x46000000, |v12|
	s_and_not1_b32 s8, s8, exec_lo
	s_mov_b32 s13, 0
	s_delay_alu instid0(VALU_DEP_1) | instskip(NEXT) | instid1(VALU_DEP_1)
	v_and_b32_e32 v15, 0xff, v2
	v_cmp_ne_u32_e32 vcc_lo, 0, v15
	s_and_b32 s14, vcc_lo, exec_lo
	s_delay_alu instid0(SALU_CYCLE_1)
	s_or_b32 s8, s8, s14
	s_or_b32 exec_lo, exec_lo, s12
	v_mov_b32_e32 v2, s13
	s_and_saveexec_b32 s12, s8
	s_cbranch_execnz .LBB4_110
	s_branch .LBB4_111
.LBB4_188:                              ;   in Loop: Header=BB4_81 Depth=1
	v_bfe_u32 v6, v3, 20, 1
	s_mov_b32 s8, exec_lo
	s_delay_alu instid0(VALU_DEP_1) | instskip(NEXT) | instid1(VALU_DEP_1)
	v_add3_u32 v6, v3, v6, 0x487ffff
	v_lshrrev_b32_e32 v7, 20, v6
	s_or_saveexec_b32 s12, s12
                                        ; implicit-def: $sgpr13
	s_delay_alu instid0(SALU_CYCLE_1)
	s_xor_b32 exec_lo, exec_lo, s12
	s_cbranch_execz .LBB4_115
.LBB4_189:                              ;   in Loop: Header=BB4_81 Depth=1
	v_add_f32_e64 v6, 0x46000000, |v3|
	s_and_not1_b32 s8, s8, exec_lo
	s_mov_b32 s13, 0
	s_delay_alu instid0(VALU_DEP_1) | instskip(NEXT) | instid1(VALU_DEP_1)
	v_and_b32_e32 v7, 0xff, v6
	v_cmp_ne_u32_e32 vcc_lo, 0, v7
	s_and_b32 s14, vcc_lo, exec_lo
	s_delay_alu instid0(SALU_CYCLE_1)
	s_or_b32 s8, s8, s14
	s_or_b32 exec_lo, exec_lo, s12
	v_mov_b32_e32 v6, s13
	s_and_saveexec_b32 s12, s8
	s_cbranch_execnz .LBB4_116
	s_branch .LBB4_117
.LBB4_190:                              ;   in Loop: Header=BB4_81 Depth=1
	v_bfe_u32 v4, v7, 20, 1
	s_mov_b32 s8, exec_lo
	s_delay_alu instid0(VALU_DEP_1) | instskip(NEXT) | instid1(VALU_DEP_1)
	v_add3_u32 v4, v7, v4, 0x487ffff
	v_lshrrev_b32_e32 v8, 20, v4
	s_or_saveexec_b32 s12, s12
                                        ; implicit-def: $sgpr13
	s_delay_alu instid0(SALU_CYCLE_1)
	s_xor_b32 exec_lo, exec_lo, s12
	s_cbranch_execz .LBB4_121
.LBB4_191:                              ;   in Loop: Header=BB4_81 Depth=1
	v_add_f32_e64 v4, 0x46000000, |v7|
	s_and_not1_b32 s8, s8, exec_lo
	s_mov_b32 s13, 0
	s_delay_alu instid0(VALU_DEP_1) | instskip(NEXT) | instid1(VALU_DEP_1)
	v_and_b32_e32 v8, 0xff, v4
	v_cmp_ne_u32_e32 vcc_lo, 0, v8
	s_and_b32 s14, vcc_lo, exec_lo
	s_delay_alu instid0(SALU_CYCLE_1)
	s_or_b32 s8, s8, s14
	s_or_b32 exec_lo, exec_lo, s12
	v_mov_b32_e32 v4, s13
	s_and_saveexec_b32 s12, s8
	s_cbranch_execnz .LBB4_122
	s_branch .LBB4_123
.LBB4_192:                              ;   in Loop: Header=BB4_81 Depth=1
	v_bfe_u32 v3, v5, 20, 1
	s_mov_b32 s8, exec_lo
	s_delay_alu instid0(VALU_DEP_1) | instskip(NEXT) | instid1(VALU_DEP_1)
	v_add3_u32 v3, v5, v3, 0x487ffff
	v_lshrrev_b32_e32 v7, 20, v3
	s_or_saveexec_b32 s12, s12
                                        ; implicit-def: $sgpr13
	s_delay_alu instid0(SALU_CYCLE_1)
	s_xor_b32 exec_lo, exec_lo, s12
	s_cbranch_execz .LBB4_127
.LBB4_193:                              ;   in Loop: Header=BB4_81 Depth=1
	v_add_f32_e64 v3, 0x46000000, |v5|
	s_and_not1_b32 s8, s8, exec_lo
	s_mov_b32 s13, 0
	s_delay_alu instid0(VALU_DEP_1) | instskip(NEXT) | instid1(VALU_DEP_1)
	v_and_b32_e32 v7, 0xff, v3
	v_cmp_ne_u32_e32 vcc_lo, 0, v7
	s_and_b32 s14, vcc_lo, exec_lo
	s_delay_alu instid0(SALU_CYCLE_1)
	s_or_b32 s8, s8, s14
	s_or_b32 exec_lo, exec_lo, s12
	v_mov_b32_e32 v3, s13
	s_and_saveexec_b32 s12, s8
	s_cbranch_execnz .LBB4_128
	s_branch .LBB4_129
.LBB4_194:                              ;   in Loop: Header=BB4_81 Depth=1
	v_bfe_u32 v2, v15, 20, 1
	s_mov_b32 s12, exec_lo
	s_delay_alu instid0(VALU_DEP_1) | instskip(NEXT) | instid1(VALU_DEP_1)
	v_add3_u32 v2, v15, v2, 0x487ffff
	v_lshrrev_b32_e32 v16, 20, v2
	s_or_saveexec_b32 s13, s13
                                        ; implicit-def: $sgpr14
	s_delay_alu instid0(SALU_CYCLE_1)
	s_xor_b32 exec_lo, exec_lo, s13
	s_cbranch_execz .LBB4_134
.LBB4_195:                              ;   in Loop: Header=BB4_81 Depth=1
	v_add_f32_e64 v2, 0x46000000, |v15|
	s_and_not1_b32 s12, s12, exec_lo
	s_mov_b32 s14, 0
	s_delay_alu instid0(VALU_DEP_1) | instskip(NEXT) | instid1(VALU_DEP_1)
	v_and_b32_e32 v16, 0xff, v2
	v_cmp_ne_u32_e32 vcc_lo, 0, v16
	s_and_b32 s15, vcc_lo, exec_lo
	s_delay_alu instid0(SALU_CYCLE_1)
	s_or_b32 s12, s12, s15
	s_or_b32 exec_lo, exec_lo, s13
	v_mov_b32_e32 v2, s14
	s_and_saveexec_b32 s13, s12
	s_cbranch_execnz .LBB4_135
	s_branch .LBB4_136
.LBB4_196:                              ;   in Loop: Header=BB4_81 Depth=1
	v_bfe_u32 v6, v3, 20, 1
	s_mov_b32 s12, exec_lo
	s_delay_alu instid0(VALU_DEP_1) | instskip(NEXT) | instid1(VALU_DEP_1)
	v_add3_u32 v6, v3, v6, 0x487ffff
	v_lshrrev_b32_e32 v7, 20, v6
	s_or_saveexec_b32 s13, s13
                                        ; implicit-def: $sgpr14
	s_delay_alu instid0(SALU_CYCLE_1)
	s_xor_b32 exec_lo, exec_lo, s13
	s_cbranch_execz .LBB4_140
.LBB4_197:                              ;   in Loop: Header=BB4_81 Depth=1
	v_add_f32_e64 v6, 0x46000000, |v3|
	s_and_not1_b32 s12, s12, exec_lo
	s_mov_b32 s14, 0
	s_delay_alu instid0(VALU_DEP_1) | instskip(NEXT) | instid1(VALU_DEP_1)
	v_and_b32_e32 v7, 0xff, v6
	v_cmp_ne_u32_e32 vcc_lo, 0, v7
	s_and_b32 s15, vcc_lo, exec_lo
	s_delay_alu instid0(SALU_CYCLE_1)
	s_or_b32 s12, s12, s15
	s_or_b32 exec_lo, exec_lo, s13
	v_mov_b32_e32 v6, s14
	s_and_saveexec_b32 s13, s12
	s_cbranch_execnz .LBB4_141
	s_branch .LBB4_142
.LBB4_198:                              ;   in Loop: Header=BB4_81 Depth=1
	v_bfe_u32 v4, v7, 20, 1
	s_mov_b32 s12, exec_lo
	s_delay_alu instid0(VALU_DEP_1) | instskip(NEXT) | instid1(VALU_DEP_1)
	v_add3_u32 v4, v7, v4, 0x487ffff
	v_lshrrev_b32_e32 v8, 20, v4
	s_or_saveexec_b32 s13, s13
                                        ; implicit-def: $sgpr14
	s_delay_alu instid0(SALU_CYCLE_1)
	s_xor_b32 exec_lo, exec_lo, s13
	s_cbranch_execz .LBB4_146
.LBB4_199:                              ;   in Loop: Header=BB4_81 Depth=1
	v_add_f32_e64 v4, 0x46000000, |v7|
	s_and_not1_b32 s12, s12, exec_lo
	s_mov_b32 s14, 0
	s_delay_alu instid0(VALU_DEP_1) | instskip(NEXT) | instid1(VALU_DEP_1)
	v_and_b32_e32 v8, 0xff, v4
	v_cmp_ne_u32_e32 vcc_lo, 0, v8
	s_and_b32 s15, vcc_lo, exec_lo
	s_delay_alu instid0(SALU_CYCLE_1)
	s_or_b32 s12, s12, s15
	s_or_b32 exec_lo, exec_lo, s13
	v_mov_b32_e32 v4, s14
	s_and_saveexec_b32 s13, s12
	s_cbranch_execnz .LBB4_147
	s_branch .LBB4_148
.LBB4_200:                              ;   in Loop: Header=BB4_81 Depth=1
	v_bfe_u32 v3, v5, 20, 1
	s_mov_b32 s12, exec_lo
	s_delay_alu instid0(VALU_DEP_1) | instskip(NEXT) | instid1(VALU_DEP_1)
	v_add3_u32 v3, v5, v3, 0x487ffff
	v_lshrrev_b32_e32 v7, 20, v3
	s_or_saveexec_b32 s13, s13
                                        ; implicit-def: $sgpr14
	s_delay_alu instid0(SALU_CYCLE_1)
	s_xor_b32 exec_lo, exec_lo, s13
	s_cbranch_execz .LBB4_152
.LBB4_201:                              ;   in Loop: Header=BB4_81 Depth=1
	v_add_f32_e64 v3, 0x46000000, |v5|
	s_and_not1_b32 s12, s12, exec_lo
	s_mov_b32 s14, 0
	s_delay_alu instid0(VALU_DEP_1) | instskip(NEXT) | instid1(VALU_DEP_1)
	v_and_b32_e32 v7, 0xff, v3
	v_cmp_ne_u32_e32 vcc_lo, 0, v7
	s_and_b32 s15, vcc_lo, exec_lo
	s_delay_alu instid0(SALU_CYCLE_1)
	s_or_b32 s12, s12, s15
	s_or_b32 exec_lo, exec_lo, s13
	v_mov_b32_e32 v3, s14
	s_and_saveexec_b32 s13, s12
	s_cbranch_execnz .LBB4_153
	s_branch .LBB4_154
.LBB4_202:                              ;   in Loop: Header=BB4_81 Depth=1
	v_bfe_u32 v2, v11, 20, 1
	s_mov_b32 s13, exec_lo
	s_delay_alu instid0(VALU_DEP_1) | instskip(NEXT) | instid1(VALU_DEP_1)
	v_add3_u32 v2, v11, v2, 0x487ffff
	v_lshrrev_b32_e32 v12, 20, v2
	s_or_saveexec_b32 s14, s14
                                        ; implicit-def: $sgpr15
	s_delay_alu instid0(SALU_CYCLE_1)
	s_xor_b32 exec_lo, exec_lo, s14
	s_cbranch_execz .LBB4_159
.LBB4_203:                              ;   in Loop: Header=BB4_81 Depth=1
	v_add_f32_e64 v2, 0x46000000, |v11|
	s_and_not1_b32 s13, s13, exec_lo
	s_mov_b32 s15, 0
	s_delay_alu instid0(VALU_DEP_1) | instskip(NEXT) | instid1(VALU_DEP_1)
	v_and_b32_e32 v12, 0xff, v2
	v_cmp_ne_u32_e32 vcc_lo, 0, v12
	s_and_b32 s17, vcc_lo, exec_lo
	s_delay_alu instid0(SALU_CYCLE_1)
	s_or_b32 s13, s13, s17
	s_or_b32 exec_lo, exec_lo, s14
	v_mov_b32_e32 v2, s15
	s_and_saveexec_b32 s14, s13
	s_cbranch_execnz .LBB4_160
	s_branch .LBB4_161
.LBB4_204:                              ;   in Loop: Header=BB4_81 Depth=1
	v_bfe_u32 v6, v3, 20, 1
	s_mov_b32 s13, exec_lo
	s_delay_alu instid0(VALU_DEP_1) | instskip(NEXT) | instid1(VALU_DEP_1)
	v_add3_u32 v6, v3, v6, 0x487ffff
	v_lshrrev_b32_e32 v7, 20, v6
	s_or_saveexec_b32 s14, s14
                                        ; implicit-def: $sgpr15
	s_delay_alu instid0(SALU_CYCLE_1)
	s_xor_b32 exec_lo, exec_lo, s14
	s_cbranch_execz .LBB4_165
.LBB4_205:                              ;   in Loop: Header=BB4_81 Depth=1
	v_add_f32_e64 v6, 0x46000000, |v3|
	s_and_not1_b32 s13, s13, exec_lo
	s_mov_b32 s15, 0
	s_delay_alu instid0(VALU_DEP_1) | instskip(NEXT) | instid1(VALU_DEP_1)
	v_and_b32_e32 v7, 0xff, v6
	v_cmp_ne_u32_e32 vcc_lo, 0, v7
	s_and_b32 s17, vcc_lo, exec_lo
	s_delay_alu instid0(SALU_CYCLE_1)
	s_or_b32 s13, s13, s17
	s_or_b32 exec_lo, exec_lo, s14
	v_mov_b32_e32 v6, s15
	s_and_saveexec_b32 s14, s13
	s_cbranch_execnz .LBB4_166
	s_branch .LBB4_167
.LBB4_206:                              ;   in Loop: Header=BB4_81 Depth=1
	v_bfe_u32 v4, v7, 20, 1
	s_mov_b32 s13, exec_lo
	s_delay_alu instid0(VALU_DEP_1) | instskip(NEXT) | instid1(VALU_DEP_1)
	v_add3_u32 v4, v7, v4, 0x487ffff
	v_lshrrev_b32_e32 v8, 20, v4
	s_or_saveexec_b32 s14, s14
                                        ; implicit-def: $sgpr15
	s_delay_alu instid0(SALU_CYCLE_1)
	s_xor_b32 exec_lo, exec_lo, s14
	s_cbranch_execz .LBB4_171
.LBB4_207:                              ;   in Loop: Header=BB4_81 Depth=1
	v_add_f32_e64 v4, 0x46000000, |v7|
	s_and_not1_b32 s13, s13, exec_lo
	s_mov_b32 s15, 0
	s_delay_alu instid0(VALU_DEP_1) | instskip(NEXT) | instid1(VALU_DEP_1)
	v_and_b32_e32 v8, 0xff, v4
	v_cmp_ne_u32_e32 vcc_lo, 0, v8
	s_and_b32 s17, vcc_lo, exec_lo
	s_delay_alu instid0(SALU_CYCLE_1)
	s_or_b32 s13, s13, s17
	s_or_b32 exec_lo, exec_lo, s14
	v_mov_b32_e32 v4, s15
	s_and_saveexec_b32 s14, s13
	s_cbranch_execnz .LBB4_172
	s_branch .LBB4_173
.LBB4_208:                              ;   in Loop: Header=BB4_81 Depth=1
	v_bfe_u32 v3, v5, 20, 1
	s_mov_b32 s13, exec_lo
	s_delay_alu instid0(VALU_DEP_1) | instskip(NEXT) | instid1(VALU_DEP_1)
	v_add3_u32 v3, v5, v3, 0x487ffff
	v_lshrrev_b32_e32 v7, 20, v3
	s_or_saveexec_b32 s14, s14
                                        ; implicit-def: $sgpr15
	s_delay_alu instid0(SALU_CYCLE_1)
	s_xor_b32 exec_lo, exec_lo, s14
	s_cbranch_execz .LBB4_177
.LBB4_209:                              ;   in Loop: Header=BB4_81 Depth=1
	v_add_f32_e64 v3, 0x46000000, |v5|
	s_and_not1_b32 s13, s13, exec_lo
	s_mov_b32 s15, 0
	s_delay_alu instid0(VALU_DEP_1) | instskip(NEXT) | instid1(VALU_DEP_1)
	v_and_b32_e32 v7, 0xff, v3
	v_cmp_ne_u32_e32 vcc_lo, 0, v7
	s_and_b32 s17, vcc_lo, exec_lo
	s_delay_alu instid0(SALU_CYCLE_1)
	s_or_b32 s13, s13, s17
	s_or_b32 exec_lo, exec_lo, s14
	v_mov_b32_e32 v3, s15
	s_and_saveexec_b32 s14, s13
	s_cbranch_execz .LBB4_76
.LBB4_210:                              ;   in Loop: Header=BB4_81 Depth=1
	v_lshrrev_b32_e32 v3, 24, v5
	s_delay_alu instid0(VALU_DEP_1)
	v_and_or_b32 v3, 0x80, v3, v7
	s_branch .LBB4_76
.LBB4_211:
	s_nop 0
	s_sendmsg sendmsg(MSG_DEALLOC_VGPRS)
	s_endpgm
	.section	.rodata,"a",@progbits
	.p2align	6, 0x0
	.amdhsa_kernel _ZN4vllm39rms_norm_dynamic_per_token_quant_kernelIfN3c1015Float8_e4m3fnuzELb0EEEvPT0_PfPKT_S8_PKffiiPS6_
		.amdhsa_group_segment_fixed_size 528
		.amdhsa_private_segment_fixed_size 0
		.amdhsa_kernarg_size 320
		.amdhsa_user_sgpr_count 15
		.amdhsa_user_sgpr_dispatch_ptr 0
		.amdhsa_user_sgpr_queue_ptr 0
		.amdhsa_user_sgpr_kernarg_segment_ptr 1
		.amdhsa_user_sgpr_dispatch_id 0
		.amdhsa_user_sgpr_private_segment_size 0
		.amdhsa_wavefront_size32 1
		.amdhsa_uses_dynamic_stack 0
		.amdhsa_enable_private_segment 0
		.amdhsa_system_sgpr_workgroup_id_x 1
		.amdhsa_system_sgpr_workgroup_id_y 0
		.amdhsa_system_sgpr_workgroup_id_z 0
		.amdhsa_system_sgpr_workgroup_info 0
		.amdhsa_system_vgpr_workitem_id 0
		.amdhsa_next_free_vgpr 27
		.amdhsa_next_free_sgpr 35
		.amdhsa_reserve_vcc 1
		.amdhsa_float_round_mode_32 0
		.amdhsa_float_round_mode_16_64 0
		.amdhsa_float_denorm_mode_32 3
		.amdhsa_float_denorm_mode_16_64 3
		.amdhsa_dx10_clamp 1
		.amdhsa_ieee_mode 1
		.amdhsa_fp16_overflow 0
		.amdhsa_workgroup_processor_mode 1
		.amdhsa_memory_ordered 1
		.amdhsa_forward_progress 0
		.amdhsa_shared_vgpr_count 0
		.amdhsa_exception_fp_ieee_invalid_op 0
		.amdhsa_exception_fp_denorm_src 0
		.amdhsa_exception_fp_ieee_div_zero 0
		.amdhsa_exception_fp_ieee_overflow 0
		.amdhsa_exception_fp_ieee_underflow 0
		.amdhsa_exception_fp_ieee_inexact 0
		.amdhsa_exception_int_div_zero 0
	.end_amdhsa_kernel
	.section	.text._ZN4vllm39rms_norm_dynamic_per_token_quant_kernelIfN3c1015Float8_e4m3fnuzELb0EEEvPT0_PfPKT_S8_PKffiiPS6_,"axG",@progbits,_ZN4vllm39rms_norm_dynamic_per_token_quant_kernelIfN3c1015Float8_e4m3fnuzELb0EEEvPT0_PfPKT_S8_PKffiiPS6_,comdat
.Lfunc_end4:
	.size	_ZN4vllm39rms_norm_dynamic_per_token_quant_kernelIfN3c1015Float8_e4m3fnuzELb0EEEvPT0_PfPKT_S8_PKffiiPS6_, .Lfunc_end4-_ZN4vllm39rms_norm_dynamic_per_token_quant_kernelIfN3c1015Float8_e4m3fnuzELb0EEEvPT0_PfPKT_S8_PKffiiPS6_
                                        ; -- End function
	.section	.AMDGPU.csdata,"",@progbits
; Kernel info:
; codeLenInByte = 12148
; NumSgprs: 37
; NumVgprs: 27
; ScratchSize: 0
; MemoryBound: 0
; FloatMode: 240
; IeeeMode: 1
; LDSByteSize: 528 bytes/workgroup (compile time only)
; SGPRBlocks: 4
; VGPRBlocks: 3
; NumSGPRsForWavesPerEU: 37
; NumVGPRsForWavesPerEU: 27
; Occupancy: 16
; WaveLimiterHint : 0
; COMPUTE_PGM_RSRC2:SCRATCH_EN: 0
; COMPUTE_PGM_RSRC2:USER_SGPR: 15
; COMPUTE_PGM_RSRC2:TRAP_HANDLER: 0
; COMPUTE_PGM_RSRC2:TGID_X_EN: 1
; COMPUTE_PGM_RSRC2:TGID_Y_EN: 0
; COMPUTE_PGM_RSRC2:TGID_Z_EN: 0
; COMPUTE_PGM_RSRC2:TIDIG_COMP_CNT: 0
	.section	.text._ZN4vllm39rms_norm_dynamic_per_token_quant_kernelIfaLb0EEEvPT0_PfPKT_S6_PKffiiPS4_,"axG",@progbits,_ZN4vllm39rms_norm_dynamic_per_token_quant_kernelIfaLb0EEEvPT0_PfPKT_S6_PKffiiPS4_,comdat
	.protected	_ZN4vllm39rms_norm_dynamic_per_token_quant_kernelIfaLb0EEEvPT0_PfPKT_S6_PKffiiPS4_ ; -- Begin function _ZN4vllm39rms_norm_dynamic_per_token_quant_kernelIfaLb0EEEvPT0_PfPKT_S6_PKffiiPS4_
	.globl	_ZN4vllm39rms_norm_dynamic_per_token_quant_kernelIfaLb0EEEvPT0_PfPKT_S6_PKffiiPS4_
	.p2align	8
	.type	_ZN4vllm39rms_norm_dynamic_per_token_quant_kernelIfaLb0EEEvPT0_PfPKT_S6_PKffiiPS4_,@function
_ZN4vllm39rms_norm_dynamic_per_token_quant_kernelIfaLb0EEEvPT0_PfPKT_S6_PKffiiPS4_: ; @_ZN4vllm39rms_norm_dynamic_per_token_quant_kernelIfaLb0EEEvPT0_PfPKT_S6_PKffiiPS4_
; %bb.0:
	s_mov_b32 s24, s15
	s_clause 0x2
	s_load_b128 s[20:23], s[0:1], 0x28
	s_load_b64 s[26:27], s[0:1], 0x20
	s_load_b256 s[12:19], s[0:1], 0x0
	s_waitcnt lgkmcnt(0)
	s_or_b32 s2, s22, s21
	s_delay_alu instid0(SALU_CYCLE_1) | instskip(NEXT) | instid1(SALU_CYCLE_1)
	s_and_b32 s2, s2, 3
	s_cmp_lg_u32 s2, 0
	s_cbranch_scc0 .LBB5_31
; %bb.1:
	v_cmp_gt_u32_e64 s2, s21, v0
	v_cmp_le_u32_e64 s3, s21, v0
                                        ; implicit-def: $sgpr7
                                        ; implicit-def: $sgpr4_sgpr5
	s_delay_alu instid0(VALU_DEP_1) | instskip(NEXT) | instid1(SALU_CYCLE_1)
	s_and_saveexec_b32 s6, s3
	s_xor_b32 s6, exec_lo, s6
; %bb.2:
	s_add_u32 s4, s0, 64
	s_addc_u32 s5, s1, 0
	s_mov_b32 s7, 0
; %bb.3:
	s_or_saveexec_b32 s6, s6
	v_dual_mov_b32 v1, s4 :: v_dual_mov_b32 v4, s24
	v_dual_mov_b32 v3, s7 :: v_dual_mov_b32 v2, s5
	s_xor_b32 exec_lo, exec_lo, s6
	s_cbranch_execz .LBB5_7
; %bb.4:
	s_load_b32 s9, s[0:1], 0x4c
	s_ashr_i32 s5, s22, 31
	s_mul_hi_u32 s7, s22, s24
	s_mul_i32 s5, s5, s24
	s_mul_i32 s4, s22, s24
	s_add_i32 s5, s7, s5
	v_dual_mov_b32 v2, 0 :: v_dual_mov_b32 v3, 0
	s_lshl_b64 s[4:5], s[4:5], 2
	v_mov_b32_e32 v1, v0
	s_add_u32 s7, s16, s4
	s_addc_u32 s8, s17, s5
	s_add_u32 s4, s0, 64
	s_addc_u32 s5, s1, 0
	s_waitcnt lgkmcnt(0)
	s_and_b32 s10, s9, 0xffff
	s_mov_b32 s9, 0
.LBB5_5:                                ; =>This Inner Loop Header: Depth=1
	v_lshlrev_b64 v[4:5], 2, v[1:2]
	v_add_nc_u32_e32 v1, s10, v1
	s_delay_alu instid0(VALU_DEP_2) | instskip(NEXT) | instid1(VALU_DEP_3)
	v_add_co_u32 v4, vcc_lo, s7, v4
	v_add_co_ci_u32_e32 v5, vcc_lo, s8, v5, vcc_lo
	s_delay_alu instid0(VALU_DEP_3)
	v_cmp_le_u32_e32 vcc_lo, s21, v1
	global_load_b32 v4, v[4:5], off
	s_or_b32 s9, vcc_lo, s9
	s_waitcnt vmcnt(0)
	v_fmac_f32_e32 v3, v4, v4
	s_and_not1_b32 exec_lo, exec_lo, s9
	s_cbranch_execnz .LBB5_5
; %bb.6:
	s_or_b32 exec_lo, exec_lo, s9
	v_dual_mov_b32 v1, s4 :: v_dual_mov_b32 v2, s5
	v_mov_b32_e32 v4, s24
.LBB5_7:
	s_or_b32 exec_lo, exec_lo, s6
	global_load_b32 v5, v[1:2], off
	v_and_b32_e32 v14, 0x3e0, v0
	s_waitcnt vmcnt(0)
	v_cmp_lt_u32_e32 vcc_lo, v4, v5
	v_cndmask_b32_e64 v4, 18, 12, vcc_lo
	s_delay_alu instid0(VALU_DEP_1) | instskip(SKIP_3) | instid1(VALU_DEP_1)
	v_add_co_u32 v1, vcc_lo, v1, v4
	v_add_co_ci_u32_e32 v2, vcc_lo, 0, v2, vcc_lo
	global_load_u16 v1, v[1:2], off
	v_mbcnt_lo_u32_b32 v2, -1, 0
	v_cmp_ne_u32_e32 vcc_lo, 31, v2
	v_add_nc_u32_e32 v5, 1, v2
	v_cmp_eq_u32_e64 s5, 0, v2
	v_add_co_ci_u32_e32 v4, vcc_lo, 0, v2, vcc_lo
	v_cmp_gt_u32_e32 vcc_lo, 30, v2
	s_delay_alu instid0(VALU_DEP_2) | instskip(SKIP_4) | instid1(VALU_DEP_1)
	v_lshlrev_b32_e32 v4, 2, v4
	v_cndmask_b32_e64 v7, 0, 1, vcc_lo
	ds_bpermute_b32 v6, v4, v3
	s_waitcnt lgkmcnt(0)
	v_dual_add_f32 v8, v3, v6 :: v_dual_lshlrev_b32 v7, 1, v7
	v_add_lshl_u32 v6, v7, v2, 2
	s_waitcnt vmcnt(0)
	v_sub_nc_u32_e64 v15, v1, v14 clamp
	s_delay_alu instid0(VALU_DEP_1) | instskip(SKIP_3) | instid1(VALU_DEP_1)
	v_cmp_lt_u32_e32 vcc_lo, v5, v15
	v_cndmask_b32_e32 v3, v3, v8, vcc_lo
	v_cmp_gt_u32_e32 vcc_lo, 28, v2
	v_cndmask_b32_e64 v8, 0, 1, vcc_lo
	v_lshlrev_b32_e32 v9, 2, v8
	v_add_nc_u32_e32 v8, 2, v2
	ds_bpermute_b32 v7, v6, v3
	v_cmp_lt_u32_e32 vcc_lo, v8, v15
	s_waitcnt lgkmcnt(0)
	v_add_f32_e32 v10, v3, v7
	v_add_lshl_u32 v7, v9, v2, 2
	s_delay_alu instid0(VALU_DEP_2) | instskip(SKIP_4) | instid1(VALU_DEP_1)
	v_cndmask_b32_e32 v3, v3, v10, vcc_lo
	v_cmp_gt_u32_e32 vcc_lo, 24, v2
	ds_bpermute_b32 v9, v7, v3
	v_cndmask_b32_e64 v10, 0, 1, vcc_lo
	s_waitcnt lgkmcnt(0)
	v_dual_add_f32 v12, v3, v9 :: v_dual_lshlrev_b32 v11, 3, v10
	v_add_nc_u32_e32 v10, 4, v2
	s_delay_alu instid0(VALU_DEP_2) | instskip(NEXT) | instid1(VALU_DEP_2)
	v_add_lshl_u32 v9, v11, v2, 2
	v_cmp_lt_u32_e32 vcc_lo, v10, v15
	s_delay_alu instid0(VALU_DEP_4) | instskip(SKIP_4) | instid1(VALU_DEP_1)
	v_cndmask_b32_e32 v3, v3, v12, vcc_lo
	v_cmp_gt_u32_e32 vcc_lo, 16, v2
	ds_bpermute_b32 v11, v9, v3
	v_cndmask_b32_e64 v12, 0, 1, vcc_lo
	s_waitcnt lgkmcnt(0)
	v_dual_add_f32 v16, v3, v11 :: v_dual_lshlrev_b32 v13, 4, v12
	v_add_nc_u32_e32 v12, 8, v2
	s_delay_alu instid0(VALU_DEP_2) | instskip(NEXT) | instid1(VALU_DEP_2)
	v_add_lshl_u32 v11, v13, v2, 2
	v_cmp_lt_u32_e32 vcc_lo, v12, v15
	s_delay_alu instid0(VALU_DEP_4) | instskip(SKIP_3) | instid1(VALU_DEP_1)
	v_cndmask_b32_e32 v3, v3, v16, vcc_lo
	ds_bpermute_b32 v16, v11, v3
	s_waitcnt lgkmcnt(0)
	v_dual_add_f32 v16, v3, v16 :: v_dual_add_nc_u32 v13, 16, v2
	v_cmp_lt_u32_e32 vcc_lo, v13, v15
	s_delay_alu instid0(VALU_DEP_2)
	v_cndmask_b32_e32 v3, v3, v16, vcc_lo
	s_and_saveexec_b32 s4, s5
	s_cbranch_execz .LBB5_9
; %bb.8:
	v_lshrrev_b32_e32 v15, 3, v0
	s_delay_alu instid0(VALU_DEP_1)
	v_and_b32_e32 v15, 0x7c, v15
	ds_store_b32 v15, v3 offset:256
.LBB5_9:
	s_or_b32 exec_lo, exec_lo, s4
	v_cmp_gt_u32_e64 s6, 32, v0
	v_lshlrev_b32_e32 v15, 2, v2
	s_waitcnt lgkmcnt(0)
	s_barrier
	buffer_gl0_inv
	s_and_saveexec_b32 s4, s6
	s_cbranch_execz .LBB5_11
; %bb.10:
	ds_load_b32 v2, v15 offset:256
	s_waitcnt lgkmcnt(0)
	ds_bpermute_b32 v3, v4, v2
	s_waitcnt lgkmcnt(0)
	v_add_f32_e32 v3, v2, v3
	v_add_nc_u32_e32 v1, 31, v1
	s_delay_alu instid0(VALU_DEP_1) | instskip(NEXT) | instid1(VALU_DEP_1)
	v_lshrrev_b32_e32 v1, 5, v1
	v_cmp_lt_u32_e32 vcc_lo, v5, v1
	s_delay_alu instid0(VALU_DEP_4) | instskip(SKIP_4) | instid1(VALU_DEP_1)
	v_cndmask_b32_e32 v2, v2, v3, vcc_lo
	v_cmp_lt_u32_e32 vcc_lo, v8, v1
	ds_bpermute_b32 v3, v6, v2
	s_waitcnt lgkmcnt(0)
	v_add_f32_e32 v3, v2, v3
	v_cndmask_b32_e32 v2, v2, v3, vcc_lo
	v_cmp_lt_u32_e32 vcc_lo, v10, v1
	ds_bpermute_b32 v3, v7, v2
	s_waitcnt lgkmcnt(0)
	v_add_f32_e32 v3, v2, v3
	s_delay_alu instid0(VALU_DEP_1) | instskip(SKIP_4) | instid1(VALU_DEP_1)
	v_cndmask_b32_e32 v2, v2, v3, vcc_lo
	v_cmp_lt_u32_e32 vcc_lo, v12, v1
	ds_bpermute_b32 v3, v9, v2
	s_waitcnt lgkmcnt(0)
	v_add_f32_e32 v3, v2, v3
	v_cndmask_b32_e32 v2, v2, v3, vcc_lo
	v_cmp_lt_u32_e32 vcc_lo, v13, v1
	ds_bpermute_b32 v3, v11, v2
	s_waitcnt lgkmcnt(0)
	v_add_f32_e32 v3, v2, v3
	s_delay_alu instid0(VALU_DEP_1)
	v_cndmask_b32_e32 v3, v2, v3, vcc_lo
.LBB5_11:
	s_or_b32 exec_lo, exec_lo, s4
	v_cmp_eq_u32_e64 s4, 0, v0
	s_mov_b32 s25, 0
	s_delay_alu instid0(VALU_DEP_1)
	s_and_saveexec_b32 s7, s4
	s_cbranch_execz .LBB5_13
; %bb.12:
	v_cvt_f32_i32_e32 v1, s21
	s_delay_alu instid0(VALU_DEP_1) | instskip(SKIP_1) | instid1(VALU_DEP_2)
	v_div_scale_f32 v2, null, v1, v1, v3
	v_div_scale_f32 v18, vcc_lo, v3, v1, v3
	v_rcp_f32_e32 v16, v2
	s_waitcnt_depctr 0xfff
	v_fma_f32 v17, -v2, v16, 1.0
	s_delay_alu instid0(VALU_DEP_1) | instskip(NEXT) | instid1(VALU_DEP_1)
	v_fmac_f32_e32 v16, v17, v16
	v_mul_f32_e32 v17, v18, v16
	s_delay_alu instid0(VALU_DEP_1) | instskip(NEXT) | instid1(VALU_DEP_1)
	v_fma_f32 v19, -v2, v17, v18
	v_fmac_f32_e32 v17, v19, v16
	s_delay_alu instid0(VALU_DEP_1) | instskip(NEXT) | instid1(VALU_DEP_1)
	v_fma_f32 v2, -v2, v17, v18
	v_div_fmas_f32 v2, v2, v16, v17
	s_delay_alu instid0(VALU_DEP_1) | instskip(NEXT) | instid1(VALU_DEP_1)
	v_div_fixup_f32 v1, v2, v1, v3
	v_add_f32_e32 v1, s20, v1
	s_delay_alu instid0(VALU_DEP_1) | instskip(SKIP_1) | instid1(VALU_DEP_2)
	v_mul_f32_e32 v2, 0x4b800000, v1
	v_cmp_gt_f32_e32 vcc_lo, 0x800000, v1
	v_cndmask_b32_e32 v1, v1, v2, vcc_lo
	s_delay_alu instid0(VALU_DEP_1) | instskip(SKIP_2) | instid1(VALU_DEP_1)
	v_rsq_f32_e32 v1, v1
	s_waitcnt_depctr 0xfff
	v_mul_f32_e32 v2, 0x45800000, v1
	v_dual_cndmask_b32 v1, v1, v2 :: v_dual_mov_b32 v2, 0
	ds_store_b32 v2, v1 offset:520
.LBB5_13:
	s_or_b32 exec_lo, exec_lo, s7
	v_mov_b32_e32 v1, 0
	s_waitcnt lgkmcnt(0)
	s_barrier
	buffer_gl0_inv
                                        ; implicit-def: $sgpr7
                                        ; implicit-def: $sgpr8_sgpr9
	ds_load_b32 v3, v1 offset:520
	s_waitcnt lgkmcnt(0)
	s_barrier
	buffer_gl0_inv
	s_and_saveexec_b32 s10, s3
	s_delay_alu instid0(SALU_CYCLE_1)
	s_xor_b32 s3, exec_lo, s10
; %bb.14:
	s_add_u32 s8, s0, 64
	s_addc_u32 s9, s1, 0
	s_mov_b32 s7, 0
; %bb.15:
	s_or_saveexec_b32 s3, s3
	v_dual_mov_b32 v16, s7 :: v_dual_mov_b32 v1, s8
	v_mov_b32_e32 v2, s9
	s_mul_hi_u32 s11, s22, s24
	s_mul_i32 s28, s22, s24
	s_xor_b32 exec_lo, exec_lo, s3
	s_cbranch_execz .LBB5_19
; %bb.16:
	s_load_b32 s23, s[0:1], 0x4c
	s_ashr_i32 s7, s22, 31
	v_dual_mov_b32 v2, 0 :: v_dual_mov_b32 v1, v0
	s_mul_i32 s7, s7, s24
	v_mov_b32_e32 v16, 0
	s_add_i32 s29, s11, s7
	s_delay_alu instid0(SALU_CYCLE_1) | instskip(NEXT) | instid1(SALU_CYCLE_1)
	s_lshl_b64 s[8:9], s[28:29], 2
	s_add_u32 s7, s16, s8
	s_addc_u32 s10, s17, s9
	s_add_u32 s8, s0, 64
	s_addc_u32 s9, s1, 0
	s_waitcnt lgkmcnt(0)
	s_and_b32 s29, s23, 0xffff
	s_mov_b32 s23, 0
	.p2align	6
.LBB5_17:                               ; =>This Inner Loop Header: Depth=1
	v_lshlrev_b64 v[17:18], 2, v[1:2]
	v_add_nc_u32_e32 v1, s29, v1
	s_delay_alu instid0(VALU_DEP_2) | instskip(NEXT) | instid1(VALU_DEP_3)
	v_add_co_u32 v19, vcc_lo, s7, v17
	v_add_co_ci_u32_e32 v20, vcc_lo, s10, v18, vcc_lo
	v_add_co_u32 v17, vcc_lo, s18, v17
	v_add_co_ci_u32_e32 v18, vcc_lo, s19, v18, vcc_lo
	global_load_b32 v19, v[19:20], off
	global_load_b32 v17, v[17:18], off
	v_cmp_le_u32_e32 vcc_lo, s21, v1
	s_or_b32 s23, vcc_lo, s23
	s_waitcnt vmcnt(1)
	v_mul_f32_e32 v18, v3, v19
	s_waitcnt vmcnt(0)
	s_delay_alu instid0(VALU_DEP_1) | instskip(NEXT) | instid1(VALU_DEP_1)
	v_dual_max_f32 v16, v16, v16 :: v_dual_mul_f32 v17, v18, v17
	v_max_f32_e64 v16, v16, |v17|
	s_and_not1_b32 exec_lo, exec_lo, s23
	s_cbranch_execnz .LBB5_17
; %bb.18:
	s_or_b32 exec_lo, exec_lo, s23
	v_dual_mov_b32 v1, s8 :: v_dual_mov_b32 v2, s9
.LBB5_19:
	s_or_b32 exec_lo, exec_lo, s3
	global_load_b32 v17, v[1:2], off
	s_waitcnt vmcnt(0)
	v_cmp_lt_u32_e32 vcc_lo, s24, v17
	v_cndmask_b32_e64 v17, 18, 12, vcc_lo
	s_delay_alu instid0(VALU_DEP_1)
	v_add_co_u32 v1, vcc_lo, v1, v17
	v_add_co_ci_u32_e32 v2, vcc_lo, 0, v2, vcc_lo
	global_load_u16 v1, v[1:2], off
	ds_bpermute_b32 v2, v4, v16
	s_waitcnt lgkmcnt(0)
	v_cmp_lt_f32_e32 vcc_lo, v16, v2
	v_cndmask_b32_e32 v2, v16, v2, vcc_lo
	s_waitcnt vmcnt(0)
	v_sub_nc_u32_e64 v14, v1, v14 clamp
	s_delay_alu instid0(VALU_DEP_1)
	v_cmp_lt_u32_e32 vcc_lo, v5, v14
	v_cmp_lt_u32_e64 s9, v13, v14
	v_cndmask_b32_e32 v2, v16, v2, vcc_lo
	ds_bpermute_b32 v17, v6, v2
	s_waitcnt lgkmcnt(0)
	v_cmp_lt_f32_e64 s3, v2, v17
	s_delay_alu instid0(VALU_DEP_1) | instskip(SKIP_1) | instid1(VALU_DEP_1)
	v_cndmask_b32_e64 v17, v2, v17, s3
	v_cmp_lt_u32_e64 s3, v8, v14
	v_cndmask_b32_e64 v2, v2, v17, s3
	s_or_b32 s3, vcc_lo, s3
	ds_bpermute_b32 v17, v7, v2
	s_waitcnt lgkmcnt(0)
	v_cmp_lt_f32_e64 s7, v2, v17
	s_delay_alu instid0(VALU_DEP_1) | instskip(SKIP_1) | instid1(VALU_DEP_1)
	v_cndmask_b32_e64 v17, v2, v17, s7
	v_cmp_lt_u32_e64 s7, v10, v14
	v_cndmask_b32_e64 v2, v2, v17, s7
	s_or_b32 s3, s7, s3
	ds_bpermute_b32 v17, v9, v2
	s_waitcnt lgkmcnt(0)
	v_cmp_lt_f32_e64 s8, v2, v17
	s_delay_alu instid0(VALU_DEP_1) | instskip(SKIP_1) | instid1(VALU_DEP_1)
	v_cndmask_b32_e64 v17, v2, v17, s8
	v_cmp_lt_u32_e64 s8, v12, v14
	v_cndmask_b32_e64 v2, v2, v17, s8
	s_or_b32 s3, s8, s3
	ds_bpermute_b32 v17, v11, v2
	s_waitcnt lgkmcnt(0)
	v_cmp_lt_f32_e64 s10, v2, v17
	s_delay_alu instid0(VALU_DEP_1) | instskip(SKIP_2) | instid1(VALU_DEP_1)
	s_and_b32 vcc_lo, s9, s10
	v_cndmask_b32_e32 v2, v2, v17, vcc_lo
	s_or_b32 vcc_lo, s9, s3
	v_cndmask_b32_e32 v2, v16, v2, vcc_lo
	s_and_saveexec_b32 s3, s5
	s_cbranch_execz .LBB5_21
; %bb.20:
	v_lshrrev_b32_e32 v14, 3, v0
	s_delay_alu instid0(VALU_DEP_1)
	v_and_b32_e32 v14, 0x7c, v14
	ds_store_b32 v14, v2 offset:384
.LBB5_21:
	s_or_b32 exec_lo, exec_lo, s3
	s_waitcnt lgkmcnt(0)
	s_barrier
	buffer_gl0_inv
	s_and_saveexec_b32 s9, s6
	s_cbranch_execz .LBB5_23
; %bb.22:
	ds_load_b32 v2, v15 offset:384
	s_waitcnt lgkmcnt(0)
	ds_bpermute_b32 v4, v4, v2
	s_waitcnt lgkmcnt(0)
	v_cmp_lt_f32_e32 vcc_lo, v2, v4
	v_dual_cndmask_b32 v4, v2, v4 :: v_dual_add_nc_u32 v1, 31, v1
	s_delay_alu instid0(VALU_DEP_1) | instskip(NEXT) | instid1(VALU_DEP_1)
	v_lshrrev_b32_e32 v1, 5, v1
	v_cmp_lt_u32_e32 vcc_lo, v5, v1
	v_cmp_lt_u32_e64 s7, v13, v1
	s_delay_alu instid0(VALU_DEP_4) | instskip(SKIP_3) | instid1(VALU_DEP_1)
	v_cndmask_b32_e32 v4, v2, v4, vcc_lo
	ds_bpermute_b32 v5, v6, v4
	s_waitcnt lgkmcnt(0)
	v_cmp_lt_f32_e64 s3, v4, v5
	v_cndmask_b32_e64 v5, v4, v5, s3
	v_cmp_lt_u32_e64 s3, v8, v1
	s_delay_alu instid0(VALU_DEP_1) | instskip(SKIP_4) | instid1(VALU_DEP_1)
	v_cndmask_b32_e64 v4, v4, v5, s3
	s_or_b32 s3, vcc_lo, s3
	ds_bpermute_b32 v5, v7, v4
	s_waitcnt lgkmcnt(0)
	v_cmp_lt_f32_e64 s5, v4, v5
	v_cndmask_b32_e64 v5, v4, v5, s5
	v_cmp_lt_u32_e64 s5, v10, v1
	s_delay_alu instid0(VALU_DEP_1) | instskip(SKIP_4) | instid1(VALU_DEP_1)
	v_cndmask_b32_e64 v4, v4, v5, s5
	s_or_b32 s3, s5, s3
	ds_bpermute_b32 v5, v9, v4
	s_waitcnt lgkmcnt(0)
	v_cmp_lt_f32_e64 s6, v4, v5
	v_cndmask_b32_e64 v5, v4, v5, s6
	v_cmp_lt_u32_e64 s6, v12, v1
	s_delay_alu instid0(VALU_DEP_1) | instskip(SKIP_4) | instid1(VALU_DEP_1)
	v_cndmask_b32_e64 v4, v4, v5, s6
	s_or_b32 s3, s6, s3
	ds_bpermute_b32 v5, v11, v4
	s_waitcnt lgkmcnt(0)
	v_cmp_lt_f32_e64 s8, v4, v5
	s_and_b32 vcc_lo, s7, s8
	v_cndmask_b32_e32 v1, v4, v5, vcc_lo
	s_or_b32 vcc_lo, s7, s3
	s_delay_alu instid0(VALU_DEP_1)
	v_cndmask_b32_e32 v2, v2, v1, vcc_lo
.LBB5_23:
	s_or_b32 exec_lo, exec_lo, s9
	s_and_saveexec_b32 s3, s4
	s_cbranch_execz .LBB5_27
; %bb.24:
	s_cmp_eq_u64 s[26:27], 0
	s_cbranch_scc1 .LBB5_26
; %bb.25:
	s_load_b32 s4, s[26:27], 0x0
	v_max_f32_e32 v1, v2, v2
	s_waitcnt lgkmcnt(0)
	v_max_f32_e64 v2, s4, s4
	s_delay_alu instid0(VALU_DEP_1)
	v_min_f32_e32 v2, v1, v2
.LBB5_26:
	s_delay_alu instid0(VALU_DEP_1) | instskip(SKIP_2) | instid1(VALU_DEP_2)
	v_div_scale_f32 v1, null, 0x42fe0000, 0x42fe0000, v2
	v_div_scale_f32 v6, vcc_lo, v2, 0x42fe0000, v2
	s_lshl_b64 s[4:5], s[24:25], 2
	v_rcp_f32_e32 v4, v1
	s_add_u32 s4, s14, s4
	s_addc_u32 s5, s15, s5
	s_waitcnt_depctr 0xfff
	v_fma_f32 v5, -v1, v4, 1.0
	s_delay_alu instid0(VALU_DEP_1) | instskip(NEXT) | instid1(VALU_DEP_1)
	v_fmac_f32_e32 v4, v5, v4
	v_mul_f32_e32 v5, v6, v4
	s_delay_alu instid0(VALU_DEP_1) | instskip(NEXT) | instid1(VALU_DEP_1)
	v_fma_f32 v7, -v1, v5, v6
	v_fmac_f32_e32 v5, v7, v4
	s_delay_alu instid0(VALU_DEP_1) | instskip(NEXT) | instid1(VALU_DEP_1)
	v_fma_f32 v1, -v1, v5, v6
	v_div_fmas_f32 v1, v1, v4, v5
	s_delay_alu instid0(VALU_DEP_1) | instskip(NEXT) | instid1(VALU_DEP_1)
	v_div_fixup_f32 v1, v1, 0x42fe0000, v2
	v_dual_mov_b32 v2, 0 :: v_dual_max_f32 v1, 0x34000000, v1
	ds_store_b32 v2, v1 offset:524
	global_store_b32 v2, v1, s[4:5]
.LBB5_27:
	s_or_b32 exec_lo, exec_lo, s3
	s_waitcnt lgkmcnt(0)
	s_waitcnt_vscnt null, 0x0
	s_barrier
	buffer_gl0_inv
	s_and_saveexec_b32 s4, s2
	s_cbranch_execz .LBB5_30
; %bb.28:
	v_mov_b32_e32 v2, 0
	s_load_b32 s7, s[0:1], 0x4c
	s_ashr_i32 s3, s22, 31
	s_ashr_i32 s2, s21, 31
	s_mul_i32 s3, s3, s24
	ds_load_b32 v1, v2 offset:524
	s_add_i32 s29, s11, s3
	s_mul_hi_u32 s5, s21, s24
	s_mul_i32 s6, s2, s24
	s_lshl_b64 s[2:3], s[28:29], 2
	s_add_i32 s9, s5, s6
	s_mul_i32 s8, s21, s24
	s_add_u32 s5, s16, s2
	s_addc_u32 s6, s17, s3
	s_add_u32 s2, s12, s8
	s_addc_u32 s3, s13, s9
	s_mov_b32 s8, 0
	s_waitcnt lgkmcnt(0)
	s_and_b32 s7, s7, 0xffff
	v_div_scale_f32 v4, null, v1, v1, 1.0
	v_div_scale_f32 v7, vcc_lo, 1.0, v1, 1.0
	s_delay_alu instid0(VALU_DEP_2) | instskip(SKIP_2) | instid1(VALU_DEP_1)
	v_rcp_f32_e32 v5, v4
	s_waitcnt_depctr 0xfff
	v_fma_f32 v6, -v4, v5, 1.0
	v_fmac_f32_e32 v5, v6, v5
	s_delay_alu instid0(VALU_DEP_1) | instskip(NEXT) | instid1(VALU_DEP_1)
	v_mul_f32_e32 v6, v7, v5
	v_fma_f32 v8, -v4, v6, v7
	s_delay_alu instid0(VALU_DEP_1) | instskip(NEXT) | instid1(VALU_DEP_1)
	v_fmac_f32_e32 v6, v8, v5
	v_fma_f32 v4, -v4, v6, v7
	s_delay_alu instid0(VALU_DEP_1) | instskip(NEXT) | instid1(VALU_DEP_1)
	v_div_fmas_f32 v4, v4, v5, v6
	v_div_fixup_f32 v4, v4, v1, 1.0
	v_mov_b32_e32 v1, v0
	.p2align	6
.LBB5_29:                               ; =>This Inner Loop Header: Depth=1
	s_delay_alu instid0(VALU_DEP_1) | instskip(NEXT) | instid1(VALU_DEP_1)
	v_lshlrev_b64 v[5:6], 2, v[1:2]
	v_add_co_u32 v7, vcc_lo, s5, v5
	s_delay_alu instid0(VALU_DEP_2)
	v_add_co_ci_u32_e32 v8, vcc_lo, s6, v6, vcc_lo
	v_add_co_u32 v5, vcc_lo, s18, v5
	v_add_co_ci_u32_e32 v6, vcc_lo, s19, v6, vcc_lo
	global_load_b32 v7, v[7:8], off
	global_load_b32 v5, v[5:6], off
	s_waitcnt vmcnt(1)
	v_mul_f32_e32 v6, v3, v7
	s_waitcnt vmcnt(0)
	s_delay_alu instid0(VALU_DEP_1) | instskip(NEXT) | instid1(VALU_DEP_1)
	v_mul_f32_e32 v5, v6, v5
	v_mul_f32_e32 v5, v4, v5
	s_delay_alu instid0(VALU_DEP_1) | instskip(NEXT) | instid1(VALU_DEP_1)
	v_rndne_f32_e32 v5, v5
	v_cmp_nlt_f32_e32 vcc_lo, 0x42fe0000, v5
	v_cndmask_b32_e32 v6, 0x42fe0000, v5, vcc_lo
	v_cmp_ngt_f32_e32 vcc_lo, 0xc3000000, v5
	s_delay_alu instid0(VALU_DEP_2) | instskip(NEXT) | instid1(VALU_DEP_1)
	v_cndmask_b32_e32 v5, 0xc3000000, v6, vcc_lo
	v_cvt_i32_f32_e32 v5, v5
	global_store_b8 v1, v5, s[2:3]
	v_add_nc_u32_e32 v1, s7, v1
	s_delay_alu instid0(VALU_DEP_1) | instskip(SKIP_1) | instid1(SALU_CYCLE_1)
	v_cmp_le_u32_e32 vcc_lo, s21, v1
	s_or_b32 s8, vcc_lo, s8
	s_and_not1_b32 exec_lo, exec_lo, s8
	s_cbranch_execnz .LBB5_29
.LBB5_30:
	s_or_b32 exec_lo, exec_lo, s4
	s_branch .LBB5_75
.LBB5_31:
	s_cbranch_execz .LBB5_75
; %bb.32:
	s_load_b32 s3, s[0:1], 0x40
	s_ashr_i32 s2, s22, 31
	s_mul_hi_u32 s4, s22, s24
	s_mul_i32 s2, s2, s24
	v_mov_b32_e32 v6, 0
	s_add_i32 s5, s4, s2
	s_mul_i32 s4, s22, s24
	s_mov_b32 s25, 0
	s_lshl_b64 s[4:5], s[4:5], 2
	s_delay_alu instid0(SALU_CYCLE_1)
	s_add_u32 s9, s16, s4
	s_addc_u32 s10, s17, s5
	s_ashr_i32 s11, s21, 2
	s_add_u32 s0, s0, 64
	v_cmp_gt_u32_e64 s2, s11, v0
	s_addc_u32 s1, s1, 0
	s_delay_alu instid0(VALU_DEP_1)
	s_and_saveexec_b32 s4, s2
	s_cbranch_execz .LBB5_42
; %bb.33:
	s_waitcnt lgkmcnt(0)
	s_cmp_lt_u32 s24, s3
	v_mov_b32_e32 v2, 0
	s_cselect_b32 s5, 12, 18
	v_mov_b32_e32 v1, v0
	s_add_u32 s6, s0, s5
	s_addc_u32 s7, s1, 0
	s_mov_b32 s5, s25
	global_load_u16 v7, v2, s[6:7]
                                        ; implicit-def: $sgpr6
	s_waitcnt vmcnt(0)
	v_lshlrev_b32_e32 v9, 1, v7
	v_mul_lo_u32 v8, v7, 3
	v_add_nc_u32_e32 v10, v7, v7
	v_mov_b32_e32 v6, v2
	s_branch .LBB5_37
.LBB5_34:                               ;   in Loop: Header=BB5_37 Depth=1
	s_or_b32 exec_lo, exec_lo, s16
	s_delay_alu instid0(SALU_CYCLE_1)
	s_or_not1_b32 s16, s17, exec_lo
.LBB5_35:                               ;   in Loop: Header=BB5_37 Depth=1
	s_or_b32 exec_lo, exec_lo, s8
	s_delay_alu instid0(SALU_CYCLE_1) | instskip(SKIP_1) | instid1(SALU_CYCLE_1)
	s_and_not1_b32 s6, s6, exec_lo
	s_and_b32 s8, s16, exec_lo
	s_or_b32 s6, s6, s8
.LBB5_36:                               ;   in Loop: Header=BB5_37 Depth=1
	s_or_b32 exec_lo, exec_lo, s7
	s_delay_alu instid0(SALU_CYCLE_1) | instskip(NEXT) | instid1(SALU_CYCLE_1)
	s_and_b32 s7, exec_lo, s6
	s_or_b32 s5, s7, s5
	s_delay_alu instid0(SALU_CYCLE_1)
	s_and_not1_b32 exec_lo, exec_lo, s5
	s_cbranch_execz .LBB5_41
.LBB5_37:                               ; =>This Inner Loop Header: Depth=1
	v_lshlrev_b64 v[3:4], 4, v[1:2]
	s_or_b32 s6, s6, exec_lo
	s_mov_b32 s7, exec_lo
	s_delay_alu instid0(VALU_DEP_1) | instskip(NEXT) | instid1(VALU_DEP_2)
	v_add_co_u32 v3, vcc_lo, s9, v3
	v_add_co_ci_u32_e32 v4, vcc_lo, s10, v4, vcc_lo
	global_load_b128 v[11:14], v[3:4], off
	v_add_nc_u32_e32 v3, v1, v7
	s_waitcnt vmcnt(0)
	v_fmac_f32_e32 v6, v11, v11
	s_delay_alu instid0(VALU_DEP_1) | instskip(NEXT) | instid1(VALU_DEP_1)
	v_fmac_f32_e32 v6, v12, v12
	v_fmac_f32_e32 v6, v13, v13
	s_delay_alu instid0(VALU_DEP_1)
	v_fmac_f32_e32 v6, v14, v14
	v_cmpx_gt_u32_e64 s11, v3
	s_cbranch_execz .LBB5_36
; %bb.38:                               ;   in Loop: Header=BB5_37 Depth=1
	v_mov_b32_e32 v4, v2
	s_mov_b32 s16, -1
	s_mov_b32 s8, exec_lo
	s_delay_alu instid0(VALU_DEP_1) | instskip(NEXT) | instid1(VALU_DEP_1)
	v_lshlrev_b64 v[4:5], 4, v[3:4]
	v_add_co_u32 v4, vcc_lo, s9, v4
	s_delay_alu instid0(VALU_DEP_2) | instskip(SKIP_4) | instid1(VALU_DEP_1)
	v_add_co_ci_u32_e32 v5, vcc_lo, s10, v5, vcc_lo
	global_load_b128 v[11:14], v[4:5], off
	v_add_nc_u32_e32 v4, v9, v1
	s_waitcnt vmcnt(0)
	v_fmac_f32_e32 v6, v11, v11
	v_fmac_f32_e32 v6, v12, v12
	s_delay_alu instid0(VALU_DEP_1) | instskip(NEXT) | instid1(VALU_DEP_1)
	v_fmac_f32_e32 v6, v13, v13
	v_fmac_f32_e32 v6, v14, v14
	v_cmpx_gt_u32_e64 s11, v4
	s_cbranch_execz .LBB5_35
; %bb.39:                               ;   in Loop: Header=BB5_37 Depth=1
	v_mov_b32_e32 v5, v2
	s_mov_b32 s17, -1
	s_mov_b32 s16, exec_lo
	s_delay_alu instid0(VALU_DEP_1) | instskip(NEXT) | instid1(VALU_DEP_1)
	v_lshlrev_b64 v[4:5], 4, v[4:5]
	v_add_co_u32 v4, vcc_lo, s9, v4
	s_delay_alu instid0(VALU_DEP_2) | instskip(SKIP_3) | instid1(VALU_DEP_1)
	v_add_co_ci_u32_e32 v5, vcc_lo, s10, v5, vcc_lo
	global_load_b128 v[11:14], v[4:5], off
	s_waitcnt vmcnt(0)
	v_fmac_f32_e32 v6, v11, v11
	v_fmac_f32_e32 v6, v12, v12
	s_delay_alu instid0(VALU_DEP_1) | instskip(NEXT) | instid1(VALU_DEP_1)
	v_fmac_f32_e32 v6, v13, v13
	v_dual_fmac_f32 v6, v14, v14 :: v_dual_add_nc_u32 v1, v8, v1
	s_delay_alu instid0(VALU_DEP_1)
	v_cmpx_gt_u32_e64 s11, v1
	s_xor_b32 s16, exec_lo, s16
	s_cbranch_execz .LBB5_34
; %bb.40:                               ;   in Loop: Header=BB5_37 Depth=1
	v_lshlrev_b64 v[4:5], 4, v[1:2]
	v_add3_u32 v1, v10, v7, v3
	s_delay_alu instid0(VALU_DEP_2) | instskip(NEXT) | instid1(VALU_DEP_3)
	v_add_co_u32 v4, vcc_lo, s9, v4
	v_add_co_ci_u32_e32 v5, vcc_lo, s10, v5, vcc_lo
	s_delay_alu instid0(VALU_DEP_3) | instskip(SKIP_4) | instid1(VALU_DEP_1)
	v_cmp_le_u32_e32 vcc_lo, s11, v1
	global_load_b128 v[11:14], v[4:5], off
	s_or_not1_b32 s17, vcc_lo, exec_lo
	s_waitcnt vmcnt(0)
	v_fmac_f32_e32 v6, v11, v11
	v_fmac_f32_e32 v6, v12, v12
	s_delay_alu instid0(VALU_DEP_1) | instskip(NEXT) | instid1(VALU_DEP_1)
	v_fmac_f32_e32 v6, v13, v13
	v_fmac_f32_e32 v6, v14, v14
	s_branch .LBB5_34
.LBB5_41:
	s_or_b32 exec_lo, exec_lo, s5
.LBB5_42:
	s_delay_alu instid0(SALU_CYCLE_1)
	s_or_b32 exec_lo, exec_lo, s4
	v_mbcnt_lo_u32_b32 v7, -1, 0
	s_waitcnt lgkmcnt(0)
	s_cmp_lt_u32 s24, s3
	v_and_b32_e32 v4, 0x3e0, v0
	s_cselect_b32 s3, 12, 18
	s_delay_alu instid0(SALU_CYCLE_1)
	s_add_u32 s0, s0, s3
	v_cmp_ne_u32_e32 vcc_lo, 31, v7
	s_addc_u32 s1, s1, 0
	v_add_nc_u32_e32 v12, 2, v7
	v_add_nc_u32_e32 v14, 4, v7
	;; [unrolled: 1-line block ×3, first 2 shown]
	v_add_co_ci_u32_e32 v2, vcc_lo, 0, v7, vcc_lo
	v_mov_b32_e32 v1, 0
	v_cmp_gt_u32_e32 vcc_lo, 30, v7
	v_add_nc_u32_e32 v17, 16, v7
	s_delay_alu instid0(VALU_DEP_4)
	v_lshlrev_b32_e32 v8, 2, v2
	v_cmp_eq_u32_e64 s6, 0, v7
	global_load_u16 v1, v1, s[0:1]
	v_cndmask_b32_e64 v3, 0, 1, vcc_lo
	v_cmp_gt_u32_e32 vcc_lo, 28, v7
	ds_bpermute_b32 v2, v8, v6
	v_add_nc_u32_e32 v9, 1, v7
	v_lshlrev_b32_e32 v3, 1, v3
	v_cndmask_b32_e64 v5, 0, 1, vcc_lo
	v_cmp_gt_u32_e32 vcc_lo, 24, v7
	s_delay_alu instid0(VALU_DEP_3) | instskip(NEXT) | instid1(VALU_DEP_3)
	v_add_lshl_u32 v10, v3, v7, 2
	v_lshlrev_b32_e32 v5, 2, v5
	s_delay_alu instid0(VALU_DEP_1) | instskip(SKIP_3) | instid1(VALU_DEP_2)
	v_add_lshl_u32 v11, v5, v7, 2
	v_cndmask_b32_e64 v5, 0, 1, vcc_lo
	v_cmp_gt_u32_e32 vcc_lo, 16, v7
	s_waitcnt lgkmcnt(0)
	v_dual_add_f32 v2, v6, v2 :: v_dual_lshlrev_b32 v5, 3, v5
	s_delay_alu instid0(VALU_DEP_1) | instskip(SKIP_1) | instid1(VALU_DEP_1)
	v_add_lshl_u32 v13, v5, v7, 2
	v_cndmask_b32_e64 v5, 0, 1, vcc_lo
	v_lshlrev_b32_e32 v5, 4, v5
	s_delay_alu instid0(VALU_DEP_1) | instskip(SKIP_3) | instid1(VALU_DEP_2)
	v_add_lshl_u32 v15, v5, v7, 2
	s_waitcnt vmcnt(0)
	v_sub_nc_u32_e64 v4, v1, v4 clamp
	v_readfirstlane_b32 s16, v1
	v_cmp_lt_u32_e64 s0, v9, v4
	v_cmp_lt_u32_e64 s1, v12, v4
	;; [unrolled: 1-line block ×5, first 2 shown]
	v_cndmask_b32_e64 v2, v6, v2, s0
	ds_bpermute_b32 v3, v10, v2
	s_waitcnt lgkmcnt(0)
	v_add_f32_e32 v3, v2, v3
	s_delay_alu instid0(VALU_DEP_1) | instskip(SKIP_3) | instid1(VALU_DEP_1)
	v_cndmask_b32_e64 v2, v2, v3, s1
	ds_bpermute_b32 v3, v11, v2
	s_waitcnt lgkmcnt(0)
	v_add_f32_e32 v3, v2, v3
	v_cndmask_b32_e64 v2, v2, v3, s3
	ds_bpermute_b32 v3, v13, v2
	s_waitcnt lgkmcnt(0)
	v_add_f32_e32 v3, v2, v3
	s_delay_alu instid0(VALU_DEP_1) | instskip(SKIP_3) | instid1(VALU_DEP_1)
	v_cndmask_b32_e64 v2, v2, v3, s5
	ds_bpermute_b32 v3, v15, v2
	s_waitcnt lgkmcnt(0)
	v_add_f32_e32 v3, v2, v3
	v_cndmask_b32_e64 v1, v2, v3, s8
	s_and_saveexec_b32 s4, s6
	s_cbranch_execz .LBB5_44
; %bb.43:
	v_lshrrev_b32_e32 v2, 3, v0
	s_delay_alu instid0(VALU_DEP_1)
	v_and_b32_e32 v2, 0x7c, v2
	ds_store_b32 v2, v1
.LBB5_44:
	s_or_b32 exec_lo, exec_lo, s4
	v_cmp_gt_u32_e64 s7, 32, v0
	s_waitcnt lgkmcnt(0)
	s_waitcnt_vscnt null, 0x0
	s_barrier
	buffer_gl0_inv
	s_and_saveexec_b32 s4, s7
	s_cbranch_execz .LBB5_46
; %bb.45:
	v_lshlrev_b32_e32 v1, 2, v7
	s_add_i32 s17, s16, 31
	s_delay_alu instid0(SALU_CYCLE_1) | instskip(NEXT) | instid1(SALU_CYCLE_1)
	s_lshr_b32 s17, s17, 5
	v_cmp_gt_u32_e32 vcc_lo, s17, v9
	ds_load_b32 v1, v1
	s_waitcnt lgkmcnt(0)
	ds_bpermute_b32 v2, v8, v1
	s_waitcnt lgkmcnt(0)
	v_add_f32_e32 v2, v1, v2
	s_delay_alu instid0(VALU_DEP_1) | instskip(SKIP_4) | instid1(VALU_DEP_1)
	v_cndmask_b32_e32 v1, v1, v2, vcc_lo
	v_cmp_gt_u32_e32 vcc_lo, s17, v12
	ds_bpermute_b32 v2, v10, v1
	s_waitcnt lgkmcnt(0)
	v_add_f32_e32 v2, v1, v2
	v_cndmask_b32_e32 v1, v1, v2, vcc_lo
	v_cmp_gt_u32_e32 vcc_lo, s17, v14
	ds_bpermute_b32 v2, v11, v1
	s_waitcnt lgkmcnt(0)
	v_add_f32_e32 v2, v1, v2
	s_delay_alu instid0(VALU_DEP_1) | instskip(SKIP_4) | instid1(VALU_DEP_1)
	v_cndmask_b32_e32 v1, v1, v2, vcc_lo
	v_cmp_gt_u32_e32 vcc_lo, s17, v16
	ds_bpermute_b32 v2, v13, v1
	s_waitcnt lgkmcnt(0)
	v_add_f32_e32 v2, v1, v2
	v_cndmask_b32_e32 v1, v1, v2, vcc_lo
	v_cmp_gt_u32_e32 vcc_lo, s17, v17
	ds_bpermute_b32 v2, v15, v1
	s_waitcnt lgkmcnt(0)
	v_add_f32_e32 v2, v1, v2
	s_delay_alu instid0(VALU_DEP_1)
	v_cndmask_b32_e32 v1, v1, v2, vcc_lo
.LBB5_46:
	s_or_b32 exec_lo, exec_lo, s4
	v_cmp_eq_u32_e64 s4, 0, v0
	s_delay_alu instid0(VALU_DEP_1)
	s_and_saveexec_b32 s17, s4
	s_cbranch_execz .LBB5_48
; %bb.47:
	v_cvt_f32_i32_e32 v2, s21
	s_delay_alu instid0(VALU_DEP_1) | instskip(SKIP_1) | instid1(VALU_DEP_2)
	v_div_scale_f32 v3, null, v2, v2, v1
	v_div_scale_f32 v6, vcc_lo, v1, v2, v1
	v_rcp_f32_e32 v4, v3
	s_waitcnt_depctr 0xfff
	v_fma_f32 v5, -v3, v4, 1.0
	s_delay_alu instid0(VALU_DEP_1) | instskip(NEXT) | instid1(VALU_DEP_1)
	v_fmac_f32_e32 v4, v5, v4
	v_mul_f32_e32 v5, v6, v4
	s_delay_alu instid0(VALU_DEP_1) | instskip(NEXT) | instid1(VALU_DEP_1)
	v_fma_f32 v18, -v3, v5, v6
	v_fmac_f32_e32 v5, v18, v4
	s_delay_alu instid0(VALU_DEP_1) | instskip(NEXT) | instid1(VALU_DEP_1)
	v_fma_f32 v3, -v3, v5, v6
	v_div_fmas_f32 v3, v3, v4, v5
	s_delay_alu instid0(VALU_DEP_1) | instskip(NEXT) | instid1(VALU_DEP_1)
	v_div_fixup_f32 v1, v3, v2, v1
	v_add_f32_e32 v1, s20, v1
	s_delay_alu instid0(VALU_DEP_1) | instskip(SKIP_1) | instid1(VALU_DEP_2)
	v_mul_f32_e32 v2, 0x4b800000, v1
	v_cmp_gt_f32_e32 vcc_lo, 0x800000, v1
	v_cndmask_b32_e32 v1, v1, v2, vcc_lo
	s_delay_alu instid0(VALU_DEP_1) | instskip(SKIP_2) | instid1(VALU_DEP_1)
	v_rsq_f32_e32 v1, v1
	s_waitcnt_depctr 0xfff
	v_mul_f32_e32 v2, 0x45800000, v1
	v_dual_cndmask_b32 v1, v1, v2 :: v_dual_mov_b32 v2, 0
	ds_store_b32 v2, v1 offset:512
.LBB5_48:
	s_or_b32 exec_lo, exec_lo, s17
	v_mov_b32_e32 v18, 0
	s_waitcnt lgkmcnt(0)
	s_barrier
	buffer_gl0_inv
	ds_load_b32 v6, v18 offset:512
	s_and_saveexec_b32 s17, s2
	s_cbranch_execz .LBB5_58
; %bb.49:
	v_dual_mov_b32 v2, 0 :: v_dual_mov_b32 v1, v0
	s_mul_i32 s20, s16, 3
	s_lshl_b32 s23, s16, 1
	s_mov_b32 s22, 0
	s_delay_alu instid0(VALU_DEP_1)
	v_mov_b32_e32 v18, v2
	s_add_i32 s28, s16, s16
                                        ; implicit-def: $sgpr29
	s_branch .LBB5_53
.LBB5_50:                               ;   in Loop: Header=BB5_53 Depth=1
	s_or_b32 exec_lo, exec_lo, s33
	s_delay_alu instid0(SALU_CYCLE_1)
	s_or_not1_b32 s33, s34, exec_lo
.LBB5_51:                               ;   in Loop: Header=BB5_53 Depth=1
	s_or_b32 exec_lo, exec_lo, s31
	s_delay_alu instid0(SALU_CYCLE_1) | instskip(SKIP_1) | instid1(SALU_CYCLE_1)
	s_and_not1_b32 s29, s29, exec_lo
	s_and_b32 s31, s33, exec_lo
	s_or_b32 s29, s29, s31
.LBB5_52:                               ;   in Loop: Header=BB5_53 Depth=1
	s_or_b32 exec_lo, exec_lo, s30
	s_delay_alu instid0(SALU_CYCLE_1) | instskip(NEXT) | instid1(SALU_CYCLE_1)
	s_and_b32 s30, exec_lo, s29
	s_or_b32 s22, s30, s22
	s_delay_alu instid0(SALU_CYCLE_1)
	s_and_not1_b32 exec_lo, exec_lo, s22
	s_cbranch_execz .LBB5_57
.LBB5_53:                               ; =>This Inner Loop Header: Depth=1
	v_lshlrev_b64 v[3:4], 4, v[1:2]
	s_or_b32 s29, s29, exec_lo
	s_mov_b32 s30, exec_lo
	s_delay_alu instid0(VALU_DEP_1) | instskip(NEXT) | instid1(VALU_DEP_2)
	v_add_co_u32 v19, vcc_lo, s9, v3
	v_add_co_ci_u32_e32 v20, vcc_lo, s10, v4, vcc_lo
	v_add_co_u32 v3, vcc_lo, s18, v3
	v_add_co_ci_u32_e32 v4, vcc_lo, s19, v4, vcc_lo
	global_load_b128 v[19:22], v[19:20], off
	global_load_b128 v[23:26], v[3:4], off
	s_waitcnt vmcnt(1) lgkmcnt(0)
	v_mul_f32_e32 v4, v6, v20
	v_mul_f32_e32 v3, v6, v19
	;; [unrolled: 1-line block ×3, first 2 shown]
	s_waitcnt vmcnt(0)
	s_delay_alu instid0(VALU_DEP_3) | instskip(NEXT) | instid1(VALU_DEP_3)
	v_dual_mul_f32 v19, v6, v22 :: v_dual_mul_f32 v4, v4, v24
	v_mul_f32_e32 v3, v3, v23
	s_delay_alu instid0(VALU_DEP_3) | instskip(NEXT) | instid1(VALU_DEP_3)
	v_mul_f32_e32 v5, v5, v25
	v_mul_f32_e32 v19, v19, v26
	s_delay_alu instid0(VALU_DEP_3) | instskip(SKIP_1) | instid1(VALU_DEP_2)
	v_max3_f32 v4, v18, |v3|, |v4|
	v_add_nc_u32_e32 v3, s16, v1
	v_max3_f32 v18, v4, |v5|, |v19|
	s_delay_alu instid0(VALU_DEP_2)
	v_cmpx_gt_u32_e64 s11, v3
	s_cbranch_execz .LBB5_52
; %bb.54:                               ;   in Loop: Header=BB5_53 Depth=1
	v_mov_b32_e32 v4, v2
	s_mov_b32 s33, -1
	s_mov_b32 s31, exec_lo
	s_delay_alu instid0(VALU_DEP_1) | instskip(NEXT) | instid1(VALU_DEP_1)
	v_lshlrev_b64 v[4:5], 4, v[3:4]
	v_add_co_u32 v19, vcc_lo, s9, v4
	s_delay_alu instid0(VALU_DEP_2)
	v_add_co_ci_u32_e32 v20, vcc_lo, s10, v5, vcc_lo
	v_add_co_u32 v4, vcc_lo, s18, v4
	v_add_co_ci_u32_e32 v5, vcc_lo, s19, v5, vcc_lo
	global_load_b128 v[19:22], v[19:20], off
	global_load_b128 v[23:26], v[4:5], off
	s_waitcnt vmcnt(1)
	v_mul_f32_e32 v4, v6, v19
	v_mul_f32_e32 v19, v6, v21
	s_waitcnt vmcnt(0)
	s_delay_alu instid0(VALU_DEP_1) | instskip(NEXT) | instid1(VALU_DEP_3)
	v_mul_f32_e32 v19, v19, v25
	v_dual_mul_f32 v5, v6, v20 :: v_dual_mul_f32 v4, v4, v23
	s_delay_alu instid0(VALU_DEP_1) | instskip(NEXT) | instid1(VALU_DEP_1)
	v_dual_mul_f32 v20, v6, v22 :: v_dual_mul_f32 v5, v5, v24
	v_mul_f32_e32 v20, v20, v26
	s_delay_alu instid0(VALU_DEP_2) | instskip(SKIP_1) | instid1(VALU_DEP_2)
	v_max3_f32 v5, v18, |v4|, |v5|
	v_add_nc_u32_e32 v4, s23, v1
	v_max3_f32 v18, v5, |v19|, |v20|
	s_delay_alu instid0(VALU_DEP_2)
	v_cmpx_gt_u32_e64 s11, v4
	s_cbranch_execz .LBB5_51
; %bb.55:                               ;   in Loop: Header=BB5_53 Depth=1
	v_mov_b32_e32 v5, v2
	v_add_nc_u32_e32 v1, s20, v1
	s_mov_b32 s34, -1
	s_mov_b32 s33, exec_lo
	s_delay_alu instid0(VALU_DEP_2) | instskip(NEXT) | instid1(VALU_DEP_1)
	v_lshlrev_b64 v[4:5], 4, v[4:5]
	v_add_co_u32 v19, vcc_lo, s9, v4
	s_delay_alu instid0(VALU_DEP_2)
	v_add_co_ci_u32_e32 v20, vcc_lo, s10, v5, vcc_lo
	v_add_co_u32 v4, vcc_lo, s18, v4
	v_add_co_ci_u32_e32 v5, vcc_lo, s19, v5, vcc_lo
	global_load_b128 v[19:22], v[19:20], off
	global_load_b128 v[23:26], v[4:5], off
	s_waitcnt vmcnt(1)
	v_mul_f32_e32 v5, v6, v20
	v_mul_f32_e32 v20, v6, v22
	s_waitcnt vmcnt(0)
	s_delay_alu instid0(VALU_DEP_1) | instskip(NEXT) | instid1(VALU_DEP_3)
	v_mul_f32_e32 v20, v20, v26
	v_dual_mul_f32 v4, v6, v19 :: v_dual_mul_f32 v5, v5, v24
	s_delay_alu instid0(VALU_DEP_1) | instskip(NEXT) | instid1(VALU_DEP_1)
	v_dual_mul_f32 v19, v6, v21 :: v_dual_mul_f32 v4, v4, v23
	v_mul_f32_e32 v19, v19, v25
	s_delay_alu instid0(VALU_DEP_2) | instskip(NEXT) | instid1(VALU_DEP_1)
	v_max3_f32 v4, v18, |v4|, |v5|
	v_max3_f32 v18, v4, |v19|, |v20|
	v_cmpx_gt_u32_e64 s11, v1
	s_xor_b32 s33, exec_lo, s33
	s_cbranch_execz .LBB5_50
; %bb.56:                               ;   in Loop: Header=BB5_53 Depth=1
	v_lshlrev_b64 v[4:5], 4, v[1:2]
	s_delay_alu instid0(VALU_DEP_1) | instskip(NEXT) | instid1(VALU_DEP_2)
	v_add_co_u32 v19, vcc_lo, s9, v4
	v_add_co_ci_u32_e32 v20, vcc_lo, s10, v5, vcc_lo
	v_add_co_u32 v4, vcc_lo, s18, v4
	v_add_co_ci_u32_e32 v5, vcc_lo, s19, v5, vcc_lo
	global_load_b128 v[19:22], v[19:20], off
	global_load_b128 v[23:26], v[4:5], off
	s_waitcnt vmcnt(1)
	v_mul_f32_e32 v4, v6, v20
	v_mul_f32_e32 v1, v6, v19
	v_mul_f32_e32 v5, v6, v21
	v_mul_f32_e32 v20, v6, v22
	s_waitcnt vmcnt(0)
	s_delay_alu instid0(VALU_DEP_3) | instskip(SKIP_3) | instid1(VALU_DEP_4)
	v_dual_mul_f32 v4, v4, v24 :: v_dual_mul_f32 v19, v1, v23
	v_add3_u32 v1, s28, s16, v3
	v_mul_f32_e32 v3, v5, v25
	v_mul_f32_e32 v5, v20, v26
	v_max3_f32 v4, v18, |v19|, |v4|
	s_delay_alu instid0(VALU_DEP_4) | instskip(NEXT) | instid1(VALU_DEP_2)
	v_cmp_le_u32_e32 vcc_lo, s11, v1
	v_max3_f32 v18, v4, |v3|, |v5|
	s_or_not1_b32 s34, vcc_lo, exec_lo
	s_branch .LBB5_50
.LBB5_57:
	s_or_b32 exec_lo, exec_lo, s22
.LBB5_58:
	s_delay_alu instid0(SALU_CYCLE_1) | instskip(SKIP_4) | instid1(VALU_DEP_1)
	s_or_b32 exec_lo, exec_lo, s17
	ds_bpermute_b32 v1, v8, v18
	s_waitcnt lgkmcnt(0)
	v_cmp_lt_f32_e32 vcc_lo, v18, v1
	v_cndmask_b32_e32 v1, v18, v1, vcc_lo
	v_cndmask_b32_e64 v1, v18, v1, s0
	s_or_b32 s0, s0, s1
	s_delay_alu instid0(SALU_CYCLE_1) | instskip(NEXT) | instid1(SALU_CYCLE_1)
	s_or_b32 s0, s3, s0
	s_or_b32 s0, s5, s0
	ds_bpermute_b32 v2, v10, v1
	s_waitcnt lgkmcnt(0)
	v_cmp_lt_f32_e32 vcc_lo, v1, v2
	v_cndmask_b32_e32 v2, v1, v2, vcc_lo
	s_delay_alu instid0(VALU_DEP_1) | instskip(SKIP_4) | instid1(VALU_DEP_1)
	v_cndmask_b32_e64 v1, v1, v2, s1
	ds_bpermute_b32 v2, v11, v1
	s_waitcnt lgkmcnt(0)
	v_cmp_lt_f32_e32 vcc_lo, v1, v2
	v_cndmask_b32_e32 v2, v1, v2, vcc_lo
	v_cndmask_b32_e64 v1, v1, v2, s3
	ds_bpermute_b32 v2, v13, v1
	s_waitcnt lgkmcnt(0)
	v_cmp_lt_f32_e32 vcc_lo, v1, v2
	v_cndmask_b32_e32 v2, v1, v2, vcc_lo
	s_delay_alu instid0(VALU_DEP_1)
	v_cndmask_b32_e64 v1, v1, v2, s5
	ds_bpermute_b32 v2, v15, v1
	s_waitcnt lgkmcnt(0)
	v_cmp_lt_f32_e32 vcc_lo, v1, v2
	s_and_b32 vcc_lo, s8, vcc_lo
	v_cndmask_b32_e32 v1, v1, v2, vcc_lo
	s_or_b32 vcc_lo, s8, s0
	s_delay_alu instid0(VALU_DEP_1)
	v_cndmask_b32_e32 v1, v18, v1, vcc_lo
	s_and_saveexec_b32 s0, s6
	s_cbranch_execz .LBB5_60
; %bb.59:
	v_lshrrev_b32_e32 v2, 3, v0
	s_delay_alu instid0(VALU_DEP_1)
	v_and_b32_e32 v2, 0x7c, v2
	ds_store_b32 v2, v1 offset:128
.LBB5_60:
	s_or_b32 exec_lo, exec_lo, s0
	s_waitcnt lgkmcnt(0)
	s_barrier
	buffer_gl0_inv
	s_and_saveexec_b32 s8, s7
	s_cbranch_execz .LBB5_62
; %bb.61:
	v_lshlrev_b32_e32 v1, 2, v7
	s_add_i32 s0, s16, 31
	s_delay_alu instid0(SALU_CYCLE_1)
	s_lshr_b32 s5, s0, 5
	ds_load_b32 v1, v1 offset:128
	s_waitcnt lgkmcnt(0)
	ds_bpermute_b32 v2, v8, v1
	s_waitcnt lgkmcnt(0)
	v_cmp_lt_f32_e32 vcc_lo, v1, v2
	v_cndmask_b32_e32 v2, v1, v2, vcc_lo
	v_cmp_gt_u32_e32 vcc_lo, s5, v9
	s_delay_alu instid0(VALU_DEP_2) | instskip(SKIP_3) | instid1(VALU_DEP_1)
	v_cndmask_b32_e32 v2, v1, v2, vcc_lo
	ds_bpermute_b32 v3, v10, v2
	s_waitcnt lgkmcnt(0)
	v_cmp_lt_f32_e64 s0, v2, v3
	v_cndmask_b32_e64 v3, v2, v3, s0
	v_cmp_gt_u32_e64 s0, s5, v12
	s_delay_alu instid0(VALU_DEP_1) | instskip(SKIP_4) | instid1(VALU_DEP_1)
	v_cndmask_b32_e64 v2, v2, v3, s0
	s_or_b32 s0, vcc_lo, s0
	ds_bpermute_b32 v3, v11, v2
	s_waitcnt lgkmcnt(0)
	v_cmp_lt_f32_e64 s1, v2, v3
	v_cndmask_b32_e64 v3, v2, v3, s1
	v_cmp_gt_u32_e64 s1, s5, v14
	s_delay_alu instid0(VALU_DEP_1) | instskip(SKIP_4) | instid1(VALU_DEP_1)
	v_cndmask_b32_e64 v2, v2, v3, s1
	s_or_b32 s0, s1, s0
	ds_bpermute_b32 v3, v13, v2
	s_waitcnt lgkmcnt(0)
	v_cmp_lt_f32_e64 s3, v2, v3
	v_cndmask_b32_e64 v3, v2, v3, s3
	v_cmp_gt_u32_e64 s3, s5, v16
	v_cmp_gt_u32_e64 s5, s5, v17
	s_delay_alu instid0(VALU_DEP_2) | instskip(SKIP_4) | instid1(VALU_DEP_1)
	v_cndmask_b32_e64 v2, v2, v3, s3
	s_or_b32 s0, s3, s0
	ds_bpermute_b32 v3, v15, v2
	s_waitcnt lgkmcnt(0)
	v_cmp_lt_f32_e64 s6, v2, v3
	s_and_b32 vcc_lo, s5, s6
	v_cndmask_b32_e32 v2, v2, v3, vcc_lo
	s_or_b32 vcc_lo, s5, s0
	s_delay_alu instid0(VALU_DEP_1)
	v_cndmask_b32_e32 v1, v1, v2, vcc_lo
.LBB5_62:
	s_or_b32 exec_lo, exec_lo, s8
	s_and_saveexec_b32 s0, s4
	s_cbranch_execz .LBB5_66
; %bb.63:
	s_cmp_eq_u64 s[26:27], 0
	s_cbranch_scc1 .LBB5_65
; %bb.64:
	s_load_b32 s1, s[26:27], 0x0
	v_max_f32_e32 v1, v1, v1
	s_waitcnt lgkmcnt(0)
	v_max_f32_e64 v2, s1, s1
	s_delay_alu instid0(VALU_DEP_1)
	v_min_f32_e32 v1, v1, v2
.LBB5_65:
	s_delay_alu instid0(VALU_DEP_1) | instskip(SKIP_2) | instid1(VALU_DEP_2)
	v_div_scale_f32 v2, null, 0x42fe0000, 0x42fe0000, v1
	v_div_scale_f32 v5, vcc_lo, v1, 0x42fe0000, v1
	s_lshl_b64 s[4:5], s[24:25], 2
	v_rcp_f32_e32 v3, v2
	s_add_u32 s4, s14, s4
	s_addc_u32 s5, s15, s5
	s_waitcnt_depctr 0xfff
	v_fma_f32 v4, -v2, v3, 1.0
	s_delay_alu instid0(VALU_DEP_1) | instskip(NEXT) | instid1(VALU_DEP_1)
	v_fmac_f32_e32 v3, v4, v3
	v_mul_f32_e32 v4, v5, v3
	s_delay_alu instid0(VALU_DEP_1) | instskip(NEXT) | instid1(VALU_DEP_1)
	v_fma_f32 v7, -v2, v4, v5
	v_fmac_f32_e32 v4, v7, v3
	s_delay_alu instid0(VALU_DEP_1) | instskip(NEXT) | instid1(VALU_DEP_1)
	v_fma_f32 v2, -v2, v4, v5
	v_div_fmas_f32 v2, v2, v3, v4
	s_delay_alu instid0(VALU_DEP_1) | instskip(NEXT) | instid1(VALU_DEP_1)
	v_div_fixup_f32 v1, v2, 0x42fe0000, v1
	v_dual_mov_b32 v2, 0 :: v_dual_max_f32 v1, 0x34000000, v1
	ds_store_b32 v2, v1 offset:516
	global_store_b32 v2, v1, s[4:5]
.LBB5_66:
	s_or_b32 exec_lo, exec_lo, s0
	s_waitcnt lgkmcnt(0)
	s_waitcnt_vscnt null, 0x0
	s_barrier
	buffer_gl0_inv
	s_and_saveexec_b32 s0, s2
	s_cbranch_execz .LBB5_75
; %bb.67:
	v_mov_b32_e32 v1, 0
	s_ashr_i32 s0, s21, 31
	s_mul_hi_u32 s1, s21, s24
	s_mul_i32 s0, s0, s24
	s_mul_i32 s2, s21, s24
	ds_load_b32 v2, v1 offset:516
	s_add_i32 s1, s1, s0
	s_add_u32 s0, s12, s2
	s_addc_u32 s1, s13, s1
	s_mul_i32 s2, s16, 3
	s_lshl_b32 s3, s16, 1
	s_mov_b32 s4, 0
	s_add_i32 s5, s16, s16
                                        ; implicit-def: $sgpr6
	s_waitcnt lgkmcnt(0)
	v_div_scale_f32 v3, null, v2, v2, 1.0
	v_div_scale_f32 v7, vcc_lo, 1.0, v2, 1.0
	s_delay_alu instid0(VALU_DEP_2) | instskip(SKIP_2) | instid1(VALU_DEP_1)
	v_rcp_f32_e32 v4, v3
	s_waitcnt_depctr 0xfff
	v_fma_f32 v5, -v3, v4, 1.0
	v_fmac_f32_e32 v4, v5, v4
	s_delay_alu instid0(VALU_DEP_1) | instskip(NEXT) | instid1(VALU_DEP_1)
	v_mul_f32_e32 v5, v7, v4
	v_fma_f32 v8, -v3, v5, v7
	s_delay_alu instid0(VALU_DEP_1) | instskip(NEXT) | instid1(VALU_DEP_1)
	v_fmac_f32_e32 v5, v8, v4
	v_fma_f32 v3, -v3, v5, v7
	s_delay_alu instid0(VALU_DEP_1) | instskip(NEXT) | instid1(VALU_DEP_1)
	v_div_fmas_f32 v3, v3, v4, v5
	v_div_fixup_f32 v5, v3, v2, 1.0
	s_branch .LBB5_71
.LBB5_68:                               ;   in Loop: Header=BB5_71 Depth=1
	s_or_b32 exec_lo, exec_lo, s12
	s_delay_alu instid0(SALU_CYCLE_1)
	s_or_not1_b32 s12, s13, exec_lo
.LBB5_69:                               ;   in Loop: Header=BB5_71 Depth=1
	s_or_b32 exec_lo, exec_lo, s8
	s_delay_alu instid0(SALU_CYCLE_1) | instskip(SKIP_1) | instid1(SALU_CYCLE_1)
	s_and_not1_b32 s6, s6, exec_lo
	s_and_b32 s8, s12, exec_lo
	s_or_b32 s6, s6, s8
.LBB5_70:                               ;   in Loop: Header=BB5_71 Depth=1
	s_or_b32 exec_lo, exec_lo, s7
	s_delay_alu instid0(SALU_CYCLE_1) | instskip(NEXT) | instid1(SALU_CYCLE_1)
	s_and_b32 s7, exec_lo, s6
	s_or_b32 s4, s7, s4
	s_delay_alu instid0(SALU_CYCLE_1)
	s_and_not1_b32 exec_lo, exec_lo, s4
	s_cbranch_execz .LBB5_75
.LBB5_71:                               ; =>This Inner Loop Header: Depth=1
	v_lshlrev_b64 v[2:3], 4, v[0:1]
	s_or_b32 s6, s6, exec_lo
	s_mov_b32 s7, exec_lo
	s_delay_alu instid0(VALU_DEP_1) | instskip(NEXT) | instid1(VALU_DEP_2)
	v_add_co_u32 v7, vcc_lo, s9, v2
	v_add_co_ci_u32_e32 v8, vcc_lo, s10, v3, vcc_lo
	v_add_co_u32 v2, vcc_lo, s18, v2
	v_add_co_ci_u32_e32 v3, vcc_lo, s19, v3, vcc_lo
	global_load_b128 v[7:10], v[7:8], off
	global_load_b128 v[11:14], v[2:3], off
	s_waitcnt vmcnt(1)
	v_mul_f32_e32 v4, v6, v8
	v_mul_f32_e32 v3, v6, v7
	;; [unrolled: 1-line block ×3, first 2 shown]
	s_waitcnt vmcnt(0)
	s_delay_alu instid0(VALU_DEP_1) | instskip(NEXT) | instid1(VALU_DEP_3)
	v_dual_mul_f32 v7, v7, v14 :: v_dual_mul_f32 v4, v4, v12
	v_dual_mul_f32 v2, v6, v9 :: v_dual_mul_f32 v3, v3, v11
	s_delay_alu instid0(VALU_DEP_2) | instskip(NEXT) | instid1(VALU_DEP_2)
	v_mul_f32_e32 v4, v5, v4
	v_dual_mul_f32 v2, v2, v13 :: v_dual_mul_f32 v3, v5, v3
	s_delay_alu instid0(VALU_DEP_2) | instskip(NEXT) | instid1(VALU_DEP_2)
	v_rndne_f32_e32 v4, v4
	v_rndne_f32_e32 v3, v3
	s_delay_alu instid0(VALU_DEP_3) | instskip(NEXT) | instid1(VALU_DEP_1)
	v_mul_f32_e32 v2, v5, v2
	v_rndne_f32_e32 v2, v2
	s_delay_alu instid0(VALU_DEP_1) | instskip(SKIP_2) | instid1(VALU_DEP_2)
	v_cmp_nlt_f32_e32 vcc_lo, 0x42fe0000, v2
	v_dual_mul_f32 v7, v5, v7 :: v_dual_cndmask_b32 v8, 0x42fe0000, v2
	v_cmp_nlt_f32_e32 vcc_lo, 0x42fe0000, v3
	v_rndne_f32_e32 v7, v7
	v_cndmask_b32_e32 v9, 0x42fe0000, v3, vcc_lo
	v_cmp_nlt_f32_e32 vcc_lo, 0x42fe0000, v4
	v_cndmask_b32_e32 v10, 0x42fe0000, v4, vcc_lo
	v_cmp_ngt_f32_e32 vcc_lo, 0xc3000000, v2
	v_cndmask_b32_e32 v2, 0xc3000000, v8, vcc_lo
	v_cmp_nlt_f32_e32 vcc_lo, 0x42fe0000, v7
	s_delay_alu instid0(VALU_DEP_2) | instskip(SKIP_2) | instid1(VALU_DEP_3)
	v_cvt_i32_f32_e32 v2, v2
	v_cndmask_b32_e32 v8, 0x42fe0000, v7, vcc_lo
	v_cmp_ngt_f32_e32 vcc_lo, 0xc3000000, v4
	v_and_b32_e32 v2, 0xff, v2
	v_cndmask_b32_e32 v4, 0xc3000000, v10, vcc_lo
	v_cmp_ngt_f32_e32 vcc_lo, 0xc3000000, v3
	s_delay_alu instid0(VALU_DEP_3) | instskip(NEXT) | instid1(VALU_DEP_3)
	v_lshlrev_b32_e32 v2, 16, v2
	v_cvt_i32_f32_e32 v4, v4
	v_cndmask_b32_e32 v3, 0xc3000000, v9, vcc_lo
	v_cmp_ngt_f32_e32 vcc_lo, 0xc3000000, v7
	s_delay_alu instid0(VALU_DEP_3) | instskip(SKIP_1) | instid1(VALU_DEP_4)
	v_and_b32_e32 v9, 0xff, v4
	v_cndmask_b32_e32 v7, 0xc3000000, v8, vcc_lo
	v_cvt_i32_f32_e32 v8, v3
	v_lshlrev_b64 v[3:4], 2, v[0:1]
	s_delay_alu instid0(VALU_DEP_4) | instskip(NEXT) | instid1(VALU_DEP_4)
	v_lshlrev_b32_e32 v9, 8, v9
	v_cvt_i32_f32_e32 v7, v7
	s_delay_alu instid0(VALU_DEP_4) | instskip(NEXT) | instid1(VALU_DEP_4)
	v_and_b32_e32 v8, 0xff, v8
	v_add_co_u32 v3, vcc_lo, s0, v3
	s_delay_alu instid0(VALU_DEP_3) | instskip(SKIP_2) | instid1(VALU_DEP_3)
	v_lshl_or_b32 v7, v7, 24, v2
	v_add_nc_u32_e32 v2, s16, v0
	v_add_co_ci_u32_e32 v4, vcc_lo, s1, v4, vcc_lo
	v_or3_b32 v7, v7, v9, v8
	global_store_b32 v[3:4], v7, off
	v_cmpx_gt_u32_e64 s11, v2
	s_cbranch_execz .LBB5_70
; %bb.72:                               ;   in Loop: Header=BB5_71 Depth=1
	v_mov_b32_e32 v3, v1
	s_mov_b32 s12, -1
	s_mov_b32 s8, exec_lo
	s_delay_alu instid0(VALU_DEP_1) | instskip(NEXT) | instid1(VALU_DEP_1)
	v_lshlrev_b64 v[7:8], 4, v[2:3]
	v_add_co_u32 v9, vcc_lo, s9, v7
	s_delay_alu instid0(VALU_DEP_2)
	v_add_co_ci_u32_e32 v10, vcc_lo, s10, v8, vcc_lo
	v_add_co_u32 v11, vcc_lo, s18, v7
	v_add_co_ci_u32_e32 v12, vcc_lo, s19, v8, vcc_lo
	global_load_b128 v[7:10], v[9:10], off
	global_load_b128 v[11:14], v[11:12], off
	s_waitcnt vmcnt(1)
	v_mul_f32_e32 v4, v6, v9
	s_waitcnt vmcnt(0)
	s_delay_alu instid0(VALU_DEP_1) | instskip(NEXT) | instid1(VALU_DEP_1)
	v_dual_mul_f32 v7, v6, v7 :: v_dual_mul_f32 v4, v4, v13
	v_dual_mul_f32 v8, v6, v8 :: v_dual_mul_f32 v7, v7, v11
	s_delay_alu instid0(VALU_DEP_1) | instskip(NEXT) | instid1(VALU_DEP_1)
	v_dual_mul_f32 v9, v6, v10 :: v_dual_mul_f32 v8, v8, v12
	v_mul_f32_e32 v8, v5, v8
	s_delay_alu instid0(VALU_DEP_1) | instskip(NEXT) | instid1(VALU_DEP_4)
	v_rndne_f32_e32 v8, v8
	v_mul_f32_e32 v7, v5, v7
	s_delay_alu instid0(VALU_DEP_1) | instskip(SKIP_1) | instid1(VALU_DEP_1)
	v_rndne_f32_e32 v7, v7
	v_mul_f32_e32 v4, v5, v4
	v_rndne_f32_e32 v4, v4
	s_delay_alu instid0(VALU_DEP_1)
	v_cmp_nlt_f32_e32 vcc_lo, 0x42fe0000, v4
	v_dual_mul_f32 v9, v9, v14 :: v_dual_cndmask_b32 v10, 0x42fe0000, v4
	v_cmp_nlt_f32_e32 vcc_lo, 0x42fe0000, v7
	v_cndmask_b32_e32 v11, 0x42fe0000, v7, vcc_lo
	v_cmp_nlt_f32_e32 vcc_lo, 0x42fe0000, v8
	v_cndmask_b32_e32 v12, 0x42fe0000, v8, vcc_lo
	v_cmp_ngt_f32_e32 vcc_lo, 0xc3000000, v4
	v_dual_mul_f32 v9, v5, v9 :: v_dual_cndmask_b32 v4, 0xc3000000, v10
	s_delay_alu instid0(VALU_DEP_1) | instskip(NEXT) | instid1(VALU_DEP_2)
	v_rndne_f32_e32 v9, v9
	v_cvt_i32_f32_e32 v4, v4
	s_delay_alu instid0(VALU_DEP_2) | instskip(NEXT) | instid1(VALU_DEP_2)
	v_cmp_nlt_f32_e32 vcc_lo, 0x42fe0000, v9
	v_and_b32_e32 v4, 0xff, v4
	v_cndmask_b32_e32 v10, 0x42fe0000, v9, vcc_lo
	v_cmp_ngt_f32_e32 vcc_lo, 0xc3000000, v8
	s_delay_alu instid0(VALU_DEP_3) | instskip(SKIP_2) | instid1(VALU_DEP_2)
	v_lshlrev_b32_e32 v4, 16, v4
	v_cndmask_b32_e32 v8, 0xc3000000, v12, vcc_lo
	v_cmp_ngt_f32_e32 vcc_lo, 0xc3000000, v7
	v_cvt_i32_f32_e32 v8, v8
	v_cndmask_b32_e32 v7, 0xc3000000, v11, vcc_lo
	v_cmp_ngt_f32_e32 vcc_lo, 0xc3000000, v9
	s_delay_alu instid0(VALU_DEP_3) | instskip(NEXT) | instid1(VALU_DEP_1)
	v_and_b32_e32 v11, 0xff, v8
	v_lshlrev_b32_e32 v11, 8, v11
	v_cndmask_b32_e32 v9, 0xc3000000, v10, vcc_lo
	v_cvt_i32_f32_e32 v10, v7
	v_lshlrev_b64 v[7:8], 2, v[2:3]
	v_add_nc_u32_e32 v3, s3, v0
	s_delay_alu instid0(VALU_DEP_4) | instskip(NEXT) | instid1(VALU_DEP_4)
	v_cvt_i32_f32_e32 v9, v9
	v_and_b32_e32 v10, 0xff, v10
	s_delay_alu instid0(VALU_DEP_4) | instskip(NEXT) | instid1(VALU_DEP_3)
	v_add_co_u32 v7, vcc_lo, s0, v7
	v_lshl_or_b32 v4, v9, 24, v4
	v_add_co_ci_u32_e32 v8, vcc_lo, s1, v8, vcc_lo
	s_delay_alu instid0(VALU_DEP_2)
	v_or3_b32 v4, v4, v11, v10
	global_store_b32 v[7:8], v4, off
	v_cmpx_gt_u32_e64 s11, v3
	s_cbranch_execz .LBB5_69
; %bb.73:                               ;   in Loop: Header=BB5_71 Depth=1
	v_mov_b32_e32 v4, v1
	v_add_nc_u32_e32 v0, s2, v0
	s_mov_b32 s13, -1
	s_mov_b32 s12, exec_lo
	s_delay_alu instid0(VALU_DEP_2) | instskip(NEXT) | instid1(VALU_DEP_1)
	v_lshlrev_b64 v[7:8], 4, v[3:4]
	v_add_co_u32 v9, vcc_lo, s9, v7
	s_delay_alu instid0(VALU_DEP_2)
	v_add_co_ci_u32_e32 v10, vcc_lo, s10, v8, vcc_lo
	v_add_co_u32 v11, vcc_lo, s18, v7
	v_add_co_ci_u32_e32 v12, vcc_lo, s19, v8, vcc_lo
	global_load_b128 v[7:10], v[9:10], off
	global_load_b128 v[11:14], v[11:12], off
	s_waitcnt vmcnt(1)
	v_mul_f32_e32 v9, v6, v9
	v_mul_f32_e32 v8, v6, v8
	v_lshlrev_b64 v[3:4], 2, v[3:4]
	s_waitcnt vmcnt(0)
	s_delay_alu instid0(VALU_DEP_3) | instskip(NEXT) | instid1(VALU_DEP_3)
	v_mul_f32_e32 v9, v9, v13
	v_dual_mul_f32 v7, v6, v7 :: v_dual_mul_f32 v8, v8, v12
	s_delay_alu instid0(VALU_DEP_2) | instskip(NEXT) | instid1(VALU_DEP_1)
	v_dual_mul_f32 v10, v6, v10 :: v_dual_mul_f32 v9, v5, v9
	v_dual_mul_f32 v7, v7, v11 :: v_dual_mul_f32 v10, v10, v14
	s_delay_alu instid0(VALU_DEP_2) | instskip(NEXT) | instid1(VALU_DEP_2)
	v_rndne_f32_e32 v9, v9
	v_mul_f32_e32 v7, v5, v7
	s_delay_alu instid0(VALU_DEP_2) | instskip(SKIP_1) | instid1(VALU_DEP_3)
	v_cmp_nlt_f32_e32 vcc_lo, 0x42fe0000, v9
	v_mul_f32_e32 v8, v5, v8
	v_rndne_f32_e32 v7, v7
	v_cndmask_b32_e32 v11, 0x42fe0000, v9, vcc_lo
	s_delay_alu instid0(VALU_DEP_3) | instskip(NEXT) | instid1(VALU_DEP_3)
	v_rndne_f32_e32 v8, v8
	v_cmp_nlt_f32_e32 vcc_lo, 0x42fe0000, v7
	v_cndmask_b32_e32 v12, 0x42fe0000, v7, vcc_lo
	s_delay_alu instid0(VALU_DEP_3) | instskip(SKIP_1) | instid1(VALU_DEP_1)
	v_cmp_nlt_f32_e32 vcc_lo, 0x42fe0000, v8
	v_dual_mul_f32 v10, v5, v10 :: v_dual_cndmask_b32 v13, 0x42fe0000, v8
	v_rndne_f32_e32 v10, v10
	v_cmp_ngt_f32_e32 vcc_lo, 0xc3000000, v9
	v_cndmask_b32_e32 v9, 0xc3000000, v11, vcc_lo
	s_delay_alu instid0(VALU_DEP_3) | instskip(SKIP_4) | instid1(VALU_DEP_2)
	v_cmp_nlt_f32_e32 vcc_lo, 0x42fe0000, v10
	v_cndmask_b32_e32 v11, 0x42fe0000, v10, vcc_lo
	v_cmp_ngt_f32_e32 vcc_lo, 0xc3000000, v8
	v_cndmask_b32_e32 v8, 0xc3000000, v13, vcc_lo
	v_cmp_ngt_f32_e32 vcc_lo, 0xc3000000, v7
	v_cvt_i32_f32_e32 v8, v8
	s_delay_alu instid0(VALU_DEP_1) | instskip(NEXT) | instid1(VALU_DEP_1)
	v_and_b32_e32 v8, 0xff, v8
	v_lshlrev_b32_e32 v8, 8, v8
	v_cvt_i32_f32_e32 v9, v9
	s_delay_alu instid0(VALU_DEP_1) | instskip(NEXT) | instid1(VALU_DEP_1)
	v_and_b32_e32 v9, 0xff, v9
	v_lshlrev_b32_e32 v9, 16, v9
	v_cndmask_b32_e32 v7, 0xc3000000, v12, vcc_lo
	v_cmp_ngt_f32_e32 vcc_lo, 0xc3000000, v10
	s_delay_alu instid0(VALU_DEP_2) | instskip(SKIP_3) | instid1(VALU_DEP_3)
	v_cvt_i32_f32_e32 v7, v7
	v_cndmask_b32_e32 v10, 0xc3000000, v11, vcc_lo
	v_add_co_u32 v3, vcc_lo, s0, v3
	v_add_co_ci_u32_e32 v4, vcc_lo, s1, v4, vcc_lo
	v_cvt_i32_f32_e32 v10, v10
	v_and_b32_e32 v7, 0xff, v7
	s_delay_alu instid0(VALU_DEP_2) | instskip(NEXT) | instid1(VALU_DEP_1)
	v_lshl_or_b32 v9, v10, 24, v9
	v_or3_b32 v7, v9, v8, v7
	global_store_b32 v[3:4], v7, off
	v_cmpx_gt_u32_e64 s11, v0
	s_cbranch_execz .LBB5_68
; %bb.74:                               ;   in Loop: Header=BB5_71 Depth=1
	v_lshlrev_b64 v[3:4], 4, v[0:1]
	s_delay_alu instid0(VALU_DEP_1) | instskip(NEXT) | instid1(VALU_DEP_2)
	v_add_co_u32 v7, vcc_lo, s9, v3
	v_add_co_ci_u32_e32 v8, vcc_lo, s10, v4, vcc_lo
	v_add_co_u32 v3, vcc_lo, s18, v3
	v_add_co_ci_u32_e32 v4, vcc_lo, s19, v4, vcc_lo
	global_load_b128 v[7:10], v[7:8], off
	global_load_b128 v[11:14], v[3:4], off
	s_waitcnt vmcnt(1)
	v_mul_f32_e32 v4, v6, v7
	v_mul_f32_e32 v3, v6, v9
	;; [unrolled: 1-line block ×4, first 2 shown]
	s_waitcnt vmcnt(0)
	s_delay_alu instid0(VALU_DEP_3) | instskip(NEXT) | instid1(VALU_DEP_2)
	v_dual_mul_f32 v4, v4, v11 :: v_dual_mul_f32 v3, v3, v13
	v_dual_mul_f32 v8, v8, v14 :: v_dual_mul_f32 v7, v7, v12
	s_delay_alu instid0(VALU_DEP_2) | instskip(NEXT) | instid1(VALU_DEP_1)
	v_mul_f32_e32 v4, v5, v4
	v_rndne_f32_e32 v4, v4
	s_delay_alu instid0(VALU_DEP_4) | instskip(NEXT) | instid1(VALU_DEP_1)
	v_mul_f32_e32 v3, v5, v3
	v_rndne_f32_e32 v3, v3
	s_delay_alu instid0(VALU_DEP_1) | instskip(SKIP_3) | instid1(VALU_DEP_1)
	v_cmp_nlt_f32_e32 vcc_lo, 0x42fe0000, v3
	v_cndmask_b32_e32 v9, 0x42fe0000, v3, vcc_lo
	v_cmp_nlt_f32_e32 vcc_lo, 0x42fe0000, v4
	v_dual_cndmask_b32 v10, 0x42fe0000, v4 :: v_dual_mul_f32 v7, v5, v7
	v_rndne_f32_e32 v7, v7
	s_delay_alu instid0(VALU_DEP_1) | instskip(SKIP_2) | instid1(VALU_DEP_2)
	v_cmp_nlt_f32_e32 vcc_lo, 0x42fe0000, v7
	v_dual_mul_f32 v8, v5, v8 :: v_dual_cndmask_b32 v11, 0x42fe0000, v7
	v_cmp_ngt_f32_e32 vcc_lo, 0xc3000000, v3
	v_rndne_f32_e32 v8, v8
	v_cndmask_b32_e32 v3, 0xc3000000, v9, vcc_lo
	s_delay_alu instid0(VALU_DEP_2) | instskip(NEXT) | instid1(VALU_DEP_2)
	v_cmp_nlt_f32_e32 vcc_lo, 0x42fe0000, v8
	v_cvt_i32_f32_e32 v3, v3
	s_delay_alu instid0(VALU_DEP_1) | instskip(SKIP_4) | instid1(VALU_DEP_2)
	v_and_b32_e32 v3, 0xff, v3
	v_cndmask_b32_e32 v9, 0x42fe0000, v8, vcc_lo
	v_cmp_ngt_f32_e32 vcc_lo, 0xc3000000, v7
	v_cndmask_b32_e32 v7, 0xc3000000, v11, vcc_lo
	v_cmp_ngt_f32_e32 vcc_lo, 0xc3000000, v4
	v_cvt_i32_f32_e32 v7, v7
	v_cndmask_b32_e32 v4, 0xc3000000, v10, vcc_lo
	v_lshlrev_b32_e32 v10, 16, v3
	v_cmp_ngt_f32_e32 vcc_lo, 0xc3000000, v8
	s_delay_alu instid0(VALU_DEP_4) | instskip(SKIP_2) | instid1(VALU_DEP_3)
	v_and_b32_e32 v7, 0xff, v7
	v_cndmask_b32_e32 v8, 0xc3000000, v9, vcc_lo
	v_cvt_i32_f32_e32 v9, v4
	v_lshlrev_b32_e32 v7, 8, v7
	v_lshlrev_b64 v[3:4], 2, v[0:1]
	v_add3_u32 v0, s5, s16, v2
	v_cvt_i32_f32_e32 v8, v8
	v_and_b32_e32 v9, 0xff, v9
	s_delay_alu instid0(VALU_DEP_4) | instskip(NEXT) | instid1(VALU_DEP_3)
	v_add_co_u32 v2, vcc_lo, s0, v3
	v_lshl_or_b32 v8, v8, 24, v10
	v_add_co_ci_u32_e32 v3, vcc_lo, s1, v4, vcc_lo
	v_cmp_le_u32_e32 vcc_lo, s11, v0
	s_delay_alu instid0(VALU_DEP_3)
	v_or3_b32 v4, v8, v7, v9
	s_or_not1_b32 s13, vcc_lo, exec_lo
	global_store_b32 v[2:3], v4, off
	s_branch .LBB5_68
.LBB5_75:
	s_nop 0
	s_sendmsg sendmsg(MSG_DEALLOC_VGPRS)
	s_endpgm
	.section	.rodata,"a",@progbits
	.p2align	6, 0x0
	.amdhsa_kernel _ZN4vllm39rms_norm_dynamic_per_token_quant_kernelIfaLb0EEEvPT0_PfPKT_S6_PKffiiPS4_
		.amdhsa_group_segment_fixed_size 528
		.amdhsa_private_segment_fixed_size 0
		.amdhsa_kernarg_size 320
		.amdhsa_user_sgpr_count 15
		.amdhsa_user_sgpr_dispatch_ptr 0
		.amdhsa_user_sgpr_queue_ptr 0
		.amdhsa_user_sgpr_kernarg_segment_ptr 1
		.amdhsa_user_sgpr_dispatch_id 0
		.amdhsa_user_sgpr_private_segment_size 0
		.amdhsa_wavefront_size32 1
		.amdhsa_uses_dynamic_stack 0
		.amdhsa_enable_private_segment 0
		.amdhsa_system_sgpr_workgroup_id_x 1
		.amdhsa_system_sgpr_workgroup_id_y 0
		.amdhsa_system_sgpr_workgroup_id_z 0
		.amdhsa_system_sgpr_workgroup_info 0
		.amdhsa_system_vgpr_workitem_id 0
		.amdhsa_next_free_vgpr 27
		.amdhsa_next_free_sgpr 35
		.amdhsa_reserve_vcc 1
		.amdhsa_float_round_mode_32 0
		.amdhsa_float_round_mode_16_64 0
		.amdhsa_float_denorm_mode_32 3
		.amdhsa_float_denorm_mode_16_64 3
		.amdhsa_dx10_clamp 1
		.amdhsa_ieee_mode 1
		.amdhsa_fp16_overflow 0
		.amdhsa_workgroup_processor_mode 1
		.amdhsa_memory_ordered 1
		.amdhsa_forward_progress 0
		.amdhsa_shared_vgpr_count 0
		.amdhsa_exception_fp_ieee_invalid_op 0
		.amdhsa_exception_fp_denorm_src 0
		.amdhsa_exception_fp_ieee_div_zero 0
		.amdhsa_exception_fp_ieee_overflow 0
		.amdhsa_exception_fp_ieee_underflow 0
		.amdhsa_exception_fp_ieee_inexact 0
		.amdhsa_exception_int_div_zero 0
	.end_amdhsa_kernel
	.section	.text._ZN4vllm39rms_norm_dynamic_per_token_quant_kernelIfaLb0EEEvPT0_PfPKT_S6_PKffiiPS4_,"axG",@progbits,_ZN4vllm39rms_norm_dynamic_per_token_quant_kernelIfaLb0EEEvPT0_PfPKT_S6_PKffiiPS4_,comdat
.Lfunc_end5:
	.size	_ZN4vllm39rms_norm_dynamic_per_token_quant_kernelIfaLb0EEEvPT0_PfPKT_S6_PKffiiPS4_, .Lfunc_end5-_ZN4vllm39rms_norm_dynamic_per_token_quant_kernelIfaLb0EEEvPT0_PfPKT_S6_PKffiiPS4_
                                        ; -- End function
	.section	.AMDGPU.csdata,"",@progbits
; Kernel info:
; codeLenInByte = 7312
; NumSgprs: 37
; NumVgprs: 27
; ScratchSize: 0
; MemoryBound: 0
; FloatMode: 240
; IeeeMode: 1
; LDSByteSize: 528 bytes/workgroup (compile time only)
; SGPRBlocks: 4
; VGPRBlocks: 3
; NumSGPRsForWavesPerEU: 37
; NumVGPRsForWavesPerEU: 27
; Occupancy: 16
; WaveLimiterHint : 0
; COMPUTE_PGM_RSRC2:SCRATCH_EN: 0
; COMPUTE_PGM_RSRC2:USER_SGPR: 15
; COMPUTE_PGM_RSRC2:TRAP_HANDLER: 0
; COMPUTE_PGM_RSRC2:TGID_X_EN: 1
; COMPUTE_PGM_RSRC2:TGID_Y_EN: 0
; COMPUTE_PGM_RSRC2:TGID_Z_EN: 0
; COMPUTE_PGM_RSRC2:TIDIG_COMP_CNT: 0
	.section	.text._ZN4vllm39rms_norm_dynamic_per_token_quant_kernelIN3c104HalfENS1_13Float8_e4m3fnELb1EEEvPT0_PfPKT_S9_PKffiiPS7_,"axG",@progbits,_ZN4vllm39rms_norm_dynamic_per_token_quant_kernelIN3c104HalfENS1_13Float8_e4m3fnELb1EEEvPT0_PfPKT_S9_PKffiiPS7_,comdat
	.protected	_ZN4vllm39rms_norm_dynamic_per_token_quant_kernelIN3c104HalfENS1_13Float8_e4m3fnELb1EEEvPT0_PfPKT_S9_PKffiiPS7_ ; -- Begin function _ZN4vllm39rms_norm_dynamic_per_token_quant_kernelIN3c104HalfENS1_13Float8_e4m3fnELb1EEEvPT0_PfPKT_S9_PKffiiPS7_
	.globl	_ZN4vllm39rms_norm_dynamic_per_token_quant_kernelIN3c104HalfENS1_13Float8_e4m3fnELb1EEEvPT0_PfPKT_S9_PKffiiPS7_
	.p2align	8
	.type	_ZN4vllm39rms_norm_dynamic_per_token_quant_kernelIN3c104HalfENS1_13Float8_e4m3fnELb1EEEvPT0_PfPKT_S9_PKffiiPS7_,@function
_ZN4vllm39rms_norm_dynamic_per_token_quant_kernelIN3c104HalfENS1_13Float8_e4m3fnELb1EEEvPT0_PfPKT_S9_PKffiiPS7_: ; @_ZN4vllm39rms_norm_dynamic_per_token_quant_kernelIN3c104HalfENS1_13Float8_e4m3fnELb1EEEvPT0_PfPKT_S9_PKffiiPS7_
; %bb.0:
	s_mov_b32 s24, s15
	s_clause 0x3
	s_load_b128 s[20:23], s[0:1], 0x28
	s_load_b64 s[26:27], s[0:1], 0x20
	s_load_b256 s[12:19], s[0:1], 0x0
	s_load_b64 s[28:29], s[0:1], 0x38
	s_waitcnt lgkmcnt(0)
	s_or_b32 s2, s22, s21
	s_delay_alu instid0(SALU_CYCLE_1) | instskip(NEXT) | instid1(SALU_CYCLE_1)
	s_and_b32 s2, s2, 3
	s_cmp_lg_u32 s2, 0
	s_cbranch_scc0 .LBB6_37
; %bb.1:
	v_cmp_gt_u32_e64 s2, s21, v0
	v_cmp_le_u32_e64 s3, s21, v0
                                        ; implicit-def: $sgpr7
                                        ; implicit-def: $sgpr4_sgpr5
	s_delay_alu instid0(VALU_DEP_1) | instskip(NEXT) | instid1(SALU_CYCLE_1)
	s_and_saveexec_b32 s6, s3
	s_xor_b32 s6, exec_lo, s6
; %bb.2:
	s_add_u32 s4, s0, 64
	s_addc_u32 s5, s1, 0
	s_mov_b32 s7, 0
; %bb.3:
	s_or_saveexec_b32 s6, s6
	v_mov_b32_e32 v1, s4
	v_dual_mov_b32 v5, s7 :: v_dual_mov_b32 v2, s5
	v_mov_b32_e32 v3, s24
	s_xor_b32 exec_lo, exec_lo, s6
	s_cbranch_execz .LBB6_7
; %bb.4:
	s_load_b32 s23, s[0:1], 0x4c
	s_ashr_i32 s5, s22, 31
	s_ashr_i32 s4, s21, 31
	s_mul_hi_u32 s8, s22, s24
	s_mul_i32 s5, s5, s24
	s_mul_i32 s9, s4, s24
	s_add_i32 s5, s8, s5
	s_mul_i32 s4, s22, s24
	s_mul_hi_u32 s7, s21, s24
	s_lshl_b64 s[4:5], s[4:5], 1
	s_add_i32 s11, s7, s9
	s_mul_i32 s10, s21, s24
	s_add_u32 s7, s16, s4
	s_addc_u32 s8, s17, s5
	s_lshl_b64 s[4:5], s[10:11], 1
	v_dual_mov_b32 v2, 0 :: v_dual_mov_b32 v5, 0
	s_add_u32 s9, s28, s4
	v_mov_b32_e32 v1, v0
	s_addc_u32 s10, s29, s5
	s_add_u32 s4, s0, 64
	s_addc_u32 s5, s1, 0
	s_waitcnt lgkmcnt(0)
	s_and_b32 s23, s23, 0xffff
	s_mov_b32 s11, 0
	.p2align	6
.LBB6_5:                                ; =>This Inner Loop Header: Depth=1
	v_lshlrev_b64 v[3:4], 1, v[1:2]
	v_add_nc_u32_e32 v1, s23, v1
	s_delay_alu instid0(VALU_DEP_2) | instskip(NEXT) | instid1(VALU_DEP_3)
	v_add_co_u32 v6, vcc_lo, s7, v3
	v_add_co_ci_u32_e32 v7, vcc_lo, s8, v4, vcc_lo
	v_add_co_u32 v3, vcc_lo, s9, v3
	v_add_co_ci_u32_e32 v4, vcc_lo, s10, v4, vcc_lo
	v_cmp_le_u32_e32 vcc_lo, s21, v1
	global_load_u16 v6, v[6:7], off
	global_load_u16 v3, v[3:4], off
	s_or_b32 s11, vcc_lo, s11
	s_waitcnt vmcnt(1)
	v_cvt_f32_f16_e32 v4, v6
	s_waitcnt vmcnt(0)
	v_cvt_f32_f16_e32 v3, v3
	s_delay_alu instid0(VALU_DEP_1) | instskip(NEXT) | instid1(VALU_DEP_1)
	v_add_f32_e32 v3, v4, v3
	v_fmac_f32_e32 v5, v3, v3
	s_and_not1_b32 exec_lo, exec_lo, s11
	s_cbranch_execnz .LBB6_5
; %bb.6:
	s_or_b32 exec_lo, exec_lo, s11
	v_dual_mov_b32 v1, s4 :: v_dual_mov_b32 v2, s5
	v_mov_b32_e32 v3, s24
.LBB6_7:
	s_or_b32 exec_lo, exec_lo, s6
	global_load_b32 v4, v[1:2], off
	v_and_b32_e32 v14, 0x3e0, v0
	s_waitcnt vmcnt(0)
	v_cmp_lt_u32_e32 vcc_lo, v3, v4
	v_cndmask_b32_e64 v3, 18, 12, vcc_lo
	s_delay_alu instid0(VALU_DEP_1) | instskip(SKIP_3) | instid1(VALU_DEP_1)
	v_add_co_u32 v1, vcc_lo, v1, v3
	v_add_co_ci_u32_e32 v2, vcc_lo, 0, v2, vcc_lo
	global_load_u16 v1, v[1:2], off
	v_mbcnt_lo_u32_b32 v2, -1, 0
	v_cmp_ne_u32_e32 vcc_lo, 31, v2
	v_cmp_eq_u32_e64 s5, 0, v2
	v_add_co_ci_u32_e32 v3, vcc_lo, 0, v2, vcc_lo
	v_cmp_gt_u32_e32 vcc_lo, 30, v2
	s_delay_alu instid0(VALU_DEP_2)
	v_lshlrev_b32_e32 v3, 2, v3
	v_cndmask_b32_e64 v7, 0, 1, vcc_lo
	ds_bpermute_b32 v6, v3, v5
	s_waitcnt lgkmcnt(0)
	v_dual_add_f32 v8, v5, v6 :: v_dual_lshlrev_b32 v7, 1, v7
	v_add_nc_u32_e32 v4, 1, v2
	s_delay_alu instid0(VALU_DEP_2) | instskip(SKIP_2) | instid1(VALU_DEP_1)
	v_add_lshl_u32 v6, v7, v2, 2
	s_waitcnt vmcnt(0)
	v_sub_nc_u32_e64 v15, v1, v14 clamp
	v_cmp_lt_u32_e32 vcc_lo, v4, v15
	v_cndmask_b32_e32 v5, v5, v8, vcc_lo
	v_cmp_gt_u32_e32 vcc_lo, 28, v2
	ds_bpermute_b32 v7, v6, v5
	v_cndmask_b32_e64 v8, 0, 1, vcc_lo
	s_delay_alu instid0(VALU_DEP_1) | instskip(SKIP_1) | instid1(VALU_DEP_1)
	v_lshlrev_b32_e32 v9, 2, v8
	v_add_nc_u32_e32 v8, 2, v2
	v_cmp_lt_u32_e32 vcc_lo, v8, v15
	s_waitcnt lgkmcnt(0)
	v_add_f32_e32 v10, v5, v7
	v_add_lshl_u32 v7, v9, v2, 2
	s_delay_alu instid0(VALU_DEP_2) | instskip(SKIP_3) | instid1(VALU_DEP_1)
	v_cndmask_b32_e32 v5, v5, v10, vcc_lo
	v_cmp_gt_u32_e32 vcc_lo, 24, v2
	ds_bpermute_b32 v9, v7, v5
	v_cndmask_b32_e64 v10, 0, 1, vcc_lo
	v_lshlrev_b32_e32 v11, 3, v10
	v_add_nc_u32_e32 v10, 4, v2
	s_delay_alu instid0(VALU_DEP_1) | instskip(SKIP_3) | instid1(VALU_DEP_2)
	v_cmp_lt_u32_e32 vcc_lo, v10, v15
	s_waitcnt lgkmcnt(0)
	v_add_f32_e32 v12, v5, v9
	v_add_lshl_u32 v9, v11, v2, 2
	v_cndmask_b32_e32 v5, v5, v12, vcc_lo
	v_cmp_gt_u32_e32 vcc_lo, 16, v2
	ds_bpermute_b32 v11, v9, v5
	v_cndmask_b32_e64 v12, 0, 1, vcc_lo
	s_delay_alu instid0(VALU_DEP_1) | instskip(SKIP_1) | instid1(VALU_DEP_1)
	v_lshlrev_b32_e32 v13, 4, v12
	v_add_nc_u32_e32 v12, 8, v2
	v_cmp_lt_u32_e32 vcc_lo, v12, v15
	s_waitcnt lgkmcnt(0)
	v_add_f32_e32 v16, v5, v11
	v_add_lshl_u32 v11, v13, v2, 2
	v_add_nc_u32_e32 v13, 16, v2
	s_delay_alu instid0(VALU_DEP_3) | instskip(NEXT) | instid1(VALU_DEP_2)
	v_cndmask_b32_e32 v5, v5, v16, vcc_lo
	v_cmp_lt_u32_e32 vcc_lo, v13, v15
	ds_bpermute_b32 v16, v11, v5
	s_waitcnt lgkmcnt(0)
	v_add_f32_e32 v16, v5, v16
	s_delay_alu instid0(VALU_DEP_1)
	v_cndmask_b32_e32 v5, v5, v16, vcc_lo
	s_and_saveexec_b32 s4, s5
	s_cbranch_execz .LBB6_9
; %bb.8:
	v_lshrrev_b32_e32 v15, 3, v0
	s_delay_alu instid0(VALU_DEP_1)
	v_and_b32_e32 v15, 0x7c, v15
	ds_store_b32 v15, v5 offset:256
.LBB6_9:
	s_or_b32 exec_lo, exec_lo, s4
	v_cmp_gt_u32_e64 s6, 32, v0
	v_lshlrev_b32_e32 v15, 2, v2
	s_waitcnt lgkmcnt(0)
	s_barrier
	buffer_gl0_inv
	s_and_saveexec_b32 s4, s6
	s_cbranch_execz .LBB6_11
; %bb.10:
	ds_load_b32 v2, v15 offset:256
	v_add_nc_u32_e32 v1, 31, v1
	s_delay_alu instid0(VALU_DEP_1) | instskip(NEXT) | instid1(VALU_DEP_1)
	v_lshrrev_b32_e32 v1, 5, v1
	v_cmp_lt_u32_e32 vcc_lo, v4, v1
	s_waitcnt lgkmcnt(0)
	ds_bpermute_b32 v5, v3, v2
	s_waitcnt lgkmcnt(0)
	v_add_f32_e32 v5, v2, v5
	s_delay_alu instid0(VALU_DEP_1) | instskip(SKIP_4) | instid1(VALU_DEP_1)
	v_cndmask_b32_e32 v2, v2, v5, vcc_lo
	v_cmp_lt_u32_e32 vcc_lo, v8, v1
	ds_bpermute_b32 v5, v6, v2
	s_waitcnt lgkmcnt(0)
	v_add_f32_e32 v5, v2, v5
	v_cndmask_b32_e32 v2, v2, v5, vcc_lo
	v_cmp_lt_u32_e32 vcc_lo, v10, v1
	ds_bpermute_b32 v5, v7, v2
	s_waitcnt lgkmcnt(0)
	v_add_f32_e32 v5, v2, v5
	s_delay_alu instid0(VALU_DEP_1) | instskip(SKIP_4) | instid1(VALU_DEP_1)
	v_cndmask_b32_e32 v2, v2, v5, vcc_lo
	v_cmp_lt_u32_e32 vcc_lo, v12, v1
	ds_bpermute_b32 v5, v9, v2
	s_waitcnt lgkmcnt(0)
	v_add_f32_e32 v5, v2, v5
	v_cndmask_b32_e32 v2, v2, v5, vcc_lo
	v_cmp_lt_u32_e32 vcc_lo, v13, v1
	ds_bpermute_b32 v5, v11, v2
	s_waitcnt lgkmcnt(0)
	v_add_f32_e32 v5, v2, v5
	s_delay_alu instid0(VALU_DEP_1)
	v_cndmask_b32_e32 v5, v2, v5, vcc_lo
.LBB6_11:
	s_or_b32 exec_lo, exec_lo, s4
	v_cmp_eq_u32_e64 s4, 0, v0
	s_mov_b32 s25, 0
	s_delay_alu instid0(VALU_DEP_1)
	s_and_saveexec_b32 s7, s4
	s_cbranch_execz .LBB6_13
; %bb.12:
	v_cvt_f32_i32_e32 v1, s21
	s_delay_alu instid0(VALU_DEP_1) | instskip(SKIP_1) | instid1(VALU_DEP_2)
	v_div_scale_f32 v2, null, v1, v1, v5
	v_div_scale_f32 v18, vcc_lo, v5, v1, v5
	v_rcp_f32_e32 v16, v2
	s_waitcnt_depctr 0xfff
	v_fma_f32 v17, -v2, v16, 1.0
	s_delay_alu instid0(VALU_DEP_1) | instskip(NEXT) | instid1(VALU_DEP_1)
	v_fmac_f32_e32 v16, v17, v16
	v_mul_f32_e32 v17, v18, v16
	s_delay_alu instid0(VALU_DEP_1) | instskip(NEXT) | instid1(VALU_DEP_1)
	v_fma_f32 v19, -v2, v17, v18
	v_fmac_f32_e32 v17, v19, v16
	s_delay_alu instid0(VALU_DEP_1) | instskip(NEXT) | instid1(VALU_DEP_1)
	v_fma_f32 v2, -v2, v17, v18
	v_div_fmas_f32 v2, v2, v16, v17
	s_delay_alu instid0(VALU_DEP_1) | instskip(NEXT) | instid1(VALU_DEP_1)
	v_div_fixup_f32 v1, v2, v1, v5
	v_add_f32_e32 v1, s20, v1
	s_delay_alu instid0(VALU_DEP_1) | instskip(SKIP_1) | instid1(VALU_DEP_2)
	v_mul_f32_e32 v2, 0x4b800000, v1
	v_cmp_gt_f32_e32 vcc_lo, 0x800000, v1
	v_cndmask_b32_e32 v1, v1, v2, vcc_lo
	s_delay_alu instid0(VALU_DEP_1) | instskip(SKIP_2) | instid1(VALU_DEP_1)
	v_rsq_f32_e32 v1, v1
	s_waitcnt_depctr 0xfff
	v_mul_f32_e32 v2, 0x45800000, v1
	v_dual_cndmask_b32 v1, v1, v2 :: v_dual_mov_b32 v2, 0
	ds_store_b32 v2, v1 offset:520
.LBB6_13:
	s_or_b32 exec_lo, exec_lo, s7
	v_mov_b32_e32 v1, 0
	s_waitcnt lgkmcnt(0)
	s_barrier
	buffer_gl0_inv
                                        ; implicit-def: $sgpr7
                                        ; implicit-def: $sgpr8_sgpr9
	ds_load_b32 v5, v1 offset:520
	s_waitcnt lgkmcnt(0)
	s_barrier
	buffer_gl0_inv
	s_and_saveexec_b32 s10, s3
	s_delay_alu instid0(SALU_CYCLE_1)
	s_xor_b32 s3, exec_lo, s10
; %bb.14:
	s_add_u32 s8, s0, 64
	s_addc_u32 s9, s1, 0
	s_mov_b32 s7, 0
; %bb.15:
	s_or_saveexec_b32 s3, s3
	v_dual_mov_b32 v16, s7 :: v_dual_mov_b32 v1, s8
	v_mov_b32_e32 v2, s9
	s_mul_hi_u32 s11, s21, s24
	s_mul_i32 s30, s21, s24
	s_mul_hi_u32 s23, s22, s24
	s_mul_i32 s34, s22, s24
	s_xor_b32 exec_lo, exec_lo, s3
	s_cbranch_execz .LBB6_19
; %bb.16:
	s_load_b32 s36, s[0:1], 0x4c
	s_ashr_i32 s8, s22, 31
	s_ashr_i32 s7, s21, 31
	s_mul_i32 s8, s8, s24
	s_mul_i32 s7, s7, s24
	s_add_i32 s35, s23, s8
	s_add_i32 s31, s11, s7
	s_lshl_b64 s[8:9], s[34:35], 1
	v_dual_mov_b32 v2, 0 :: v_dual_mov_b32 v1, v0
	s_add_u32 s7, s16, s8
	s_addc_u32 s10, s17, s9
	s_lshl_b64 s[8:9], s[30:31], 1
	v_mov_b32_e32 v16, 0
	s_add_u32 s31, s28, s8
	s_addc_u32 s33, s29, s9
	s_add_u32 s8, s0, 64
	s_addc_u32 s9, s1, 0
	s_mov_b32 s35, 0
	s_waitcnt lgkmcnt(0)
	s_and_b32 s36, s36, 0xffff
	.p2align	6
.LBB6_17:                               ; =>This Inner Loop Header: Depth=1
	v_lshlrev_b64 v[17:18], 1, v[1:2]
	s_delay_alu instid0(VALU_DEP_2) | instskip(NEXT) | instid1(VALU_DEP_2)
	v_dual_max_f32 v16, v16, v16 :: v_dual_add_nc_u32 v1, s36, v1
	v_add_co_u32 v19, vcc_lo, s7, v17
	s_delay_alu instid0(VALU_DEP_3)
	v_add_co_ci_u32_e32 v20, vcc_lo, s10, v18, vcc_lo
	v_add_co_u32 v21, vcc_lo, s31, v17
	v_add_co_ci_u32_e32 v22, vcc_lo, s33, v18, vcc_lo
	global_load_u16 v19, v[19:20], off
	global_load_u16 v20, v[21:22], off
	v_add_co_u32 v17, vcc_lo, s18, v17
	v_add_co_ci_u32_e32 v18, vcc_lo, s19, v18, vcc_lo
	v_cmp_le_u32_e32 vcc_lo, s21, v1
	global_load_u16 v17, v[17:18], off
	s_or_b32 s35, vcc_lo, s35
	s_waitcnt vmcnt(2)
	v_cvt_f32_f16_e32 v18, v19
	s_waitcnt vmcnt(1)
	v_cvt_f32_f16_e32 v19, v20
	s_delay_alu instid0(VALU_DEP_1) | instskip(NEXT) | instid1(VALU_DEP_1)
	v_add_f32_e32 v18, v18, v19
	v_fma_mixlo_f16 v18, v5, v18, 0
	s_waitcnt vmcnt(0)
	s_delay_alu instid0(VALU_DEP_1) | instskip(NEXT) | instid1(VALU_DEP_1)
	v_mul_f16_e32 v17, v17, v18
	v_cvt_f32_f16_e64 v17, |v17|
	s_delay_alu instid0(VALU_DEP_1)
	v_max_f32_e32 v16, v16, v17
	s_and_not1_b32 exec_lo, exec_lo, s35
	s_cbranch_execnz .LBB6_17
; %bb.18:
	s_or_b32 exec_lo, exec_lo, s35
	v_dual_mov_b32 v1, s8 :: v_dual_mov_b32 v2, s9
.LBB6_19:
	s_or_b32 exec_lo, exec_lo, s3
	global_load_b32 v17, v[1:2], off
	s_waitcnt vmcnt(0)
	v_cmp_lt_u32_e32 vcc_lo, s24, v17
	v_cndmask_b32_e64 v17, 18, 12, vcc_lo
	s_delay_alu instid0(VALU_DEP_1)
	v_add_co_u32 v1, vcc_lo, v1, v17
	v_add_co_ci_u32_e32 v2, vcc_lo, 0, v2, vcc_lo
	global_load_u16 v1, v[1:2], off
	ds_bpermute_b32 v2, v3, v16
	s_waitcnt lgkmcnt(0)
	v_cmp_lt_f32_e32 vcc_lo, v16, v2
	v_cndmask_b32_e32 v2, v16, v2, vcc_lo
	s_waitcnt vmcnt(0)
	v_sub_nc_u32_e64 v14, v1, v14 clamp
	s_delay_alu instid0(VALU_DEP_1)
	v_cmp_lt_u32_e32 vcc_lo, v4, v14
	v_cmp_lt_u32_e64 s9, v13, v14
	v_cndmask_b32_e32 v2, v16, v2, vcc_lo
	ds_bpermute_b32 v17, v6, v2
	s_waitcnt lgkmcnt(0)
	v_cmp_lt_f32_e64 s3, v2, v17
	s_delay_alu instid0(VALU_DEP_1) | instskip(SKIP_1) | instid1(VALU_DEP_1)
	v_cndmask_b32_e64 v17, v2, v17, s3
	v_cmp_lt_u32_e64 s3, v8, v14
	v_cndmask_b32_e64 v2, v2, v17, s3
	s_or_b32 s3, vcc_lo, s3
	ds_bpermute_b32 v17, v7, v2
	s_waitcnt lgkmcnt(0)
	v_cmp_lt_f32_e64 s7, v2, v17
	s_delay_alu instid0(VALU_DEP_1) | instskip(SKIP_1) | instid1(VALU_DEP_1)
	v_cndmask_b32_e64 v17, v2, v17, s7
	v_cmp_lt_u32_e64 s7, v10, v14
	v_cndmask_b32_e64 v2, v2, v17, s7
	s_or_b32 s3, s7, s3
	ds_bpermute_b32 v17, v9, v2
	s_waitcnt lgkmcnt(0)
	v_cmp_lt_f32_e64 s8, v2, v17
	s_delay_alu instid0(VALU_DEP_1) | instskip(SKIP_1) | instid1(VALU_DEP_1)
	v_cndmask_b32_e64 v17, v2, v17, s8
	v_cmp_lt_u32_e64 s8, v12, v14
	v_cndmask_b32_e64 v2, v2, v17, s8
	s_or_b32 s3, s8, s3
	ds_bpermute_b32 v17, v11, v2
	s_waitcnt lgkmcnt(0)
	v_cmp_lt_f32_e64 s10, v2, v17
	s_delay_alu instid0(VALU_DEP_1) | instskip(SKIP_2) | instid1(VALU_DEP_1)
	s_and_b32 vcc_lo, s9, s10
	v_cndmask_b32_e32 v2, v2, v17, vcc_lo
	s_or_b32 vcc_lo, s9, s3
	v_cndmask_b32_e32 v2, v16, v2, vcc_lo
	s_and_saveexec_b32 s3, s5
	s_cbranch_execz .LBB6_21
; %bb.20:
	v_lshrrev_b32_e32 v14, 3, v0
	s_delay_alu instid0(VALU_DEP_1)
	v_and_b32_e32 v14, 0x7c, v14
	ds_store_b32 v14, v2 offset:384
.LBB6_21:
	s_or_b32 exec_lo, exec_lo, s3
	s_waitcnt lgkmcnt(0)
	s_barrier
	buffer_gl0_inv
	s_and_saveexec_b32 s9, s6
	s_cbranch_execz .LBB6_23
; %bb.22:
	ds_load_b32 v2, v15 offset:384
	v_add_nc_u32_e32 v1, 31, v1
	s_delay_alu instid0(VALU_DEP_1) | instskip(NEXT) | instid1(VALU_DEP_1)
	v_lshrrev_b32_e32 v1, 5, v1
	v_cmp_lt_u32_e64 s7, v13, v1
	s_waitcnt lgkmcnt(0)
	ds_bpermute_b32 v3, v3, v2
	s_waitcnt lgkmcnt(0)
	v_cmp_lt_f32_e32 vcc_lo, v2, v3
	v_cndmask_b32_e32 v3, v2, v3, vcc_lo
	v_cmp_lt_u32_e32 vcc_lo, v4, v1
	s_delay_alu instid0(VALU_DEP_2) | instskip(SKIP_3) | instid1(VALU_DEP_1)
	v_cndmask_b32_e32 v3, v2, v3, vcc_lo
	ds_bpermute_b32 v4, v6, v3
	s_waitcnt lgkmcnt(0)
	v_cmp_lt_f32_e64 s3, v3, v4
	v_cndmask_b32_e64 v4, v3, v4, s3
	v_cmp_lt_u32_e64 s3, v8, v1
	s_delay_alu instid0(VALU_DEP_1) | instskip(SKIP_4) | instid1(VALU_DEP_1)
	v_cndmask_b32_e64 v3, v3, v4, s3
	s_or_b32 s3, vcc_lo, s3
	ds_bpermute_b32 v4, v7, v3
	s_waitcnt lgkmcnt(0)
	v_cmp_lt_f32_e64 s5, v3, v4
	v_cndmask_b32_e64 v4, v3, v4, s5
	v_cmp_lt_u32_e64 s5, v10, v1
	s_delay_alu instid0(VALU_DEP_1) | instskip(SKIP_4) | instid1(VALU_DEP_1)
	v_cndmask_b32_e64 v3, v3, v4, s5
	s_or_b32 s3, s5, s3
	ds_bpermute_b32 v4, v9, v3
	s_waitcnt lgkmcnt(0)
	v_cmp_lt_f32_e64 s6, v3, v4
	v_cndmask_b32_e64 v4, v3, v4, s6
	v_cmp_lt_u32_e64 s6, v12, v1
	s_delay_alu instid0(VALU_DEP_1) | instskip(SKIP_4) | instid1(VALU_DEP_1)
	v_cndmask_b32_e64 v3, v3, v4, s6
	s_or_b32 s3, s6, s3
	ds_bpermute_b32 v4, v11, v3
	s_waitcnt lgkmcnt(0)
	v_cmp_lt_f32_e64 s8, v3, v4
	s_and_b32 vcc_lo, s7, s8
	v_cndmask_b32_e32 v1, v3, v4, vcc_lo
	s_or_b32 vcc_lo, s7, s3
	s_delay_alu instid0(VALU_DEP_1)
	v_cndmask_b32_e32 v2, v2, v1, vcc_lo
.LBB6_23:
	s_or_b32 exec_lo, exec_lo, s9
	s_and_saveexec_b32 s3, s4
	s_cbranch_execz .LBB6_27
; %bb.24:
	s_cmp_eq_u64 s[26:27], 0
	s_cbranch_scc1 .LBB6_26
; %bb.25:
	s_load_b32 s4, s[26:27], 0x0
	v_max_f32_e32 v1, v2, v2
	s_waitcnt lgkmcnt(0)
	v_max_f32_e64 v2, s4, s4
	s_delay_alu instid0(VALU_DEP_1)
	v_min_f32_e32 v2, v1, v2
.LBB6_26:
	s_delay_alu instid0(VALU_DEP_1) | instskip(SKIP_2) | instid1(VALU_DEP_2)
	v_div_scale_f32 v1, null, 0x43e00000, 0x43e00000, v2
	v_div_scale_f32 v6, vcc_lo, v2, 0x43e00000, v2
	s_lshl_b64 s[4:5], s[24:25], 2
	v_rcp_f32_e32 v3, v1
	s_add_u32 s4, s14, s4
	s_addc_u32 s5, s15, s5
	s_waitcnt_depctr 0xfff
	v_fma_f32 v4, -v1, v3, 1.0
	s_delay_alu instid0(VALU_DEP_1) | instskip(NEXT) | instid1(VALU_DEP_1)
	v_fmac_f32_e32 v3, v4, v3
	v_mul_f32_e32 v4, v6, v3
	s_delay_alu instid0(VALU_DEP_1) | instskip(NEXT) | instid1(VALU_DEP_1)
	v_fma_f32 v7, -v1, v4, v6
	v_fmac_f32_e32 v4, v7, v3
	s_delay_alu instid0(VALU_DEP_1) | instskip(NEXT) | instid1(VALU_DEP_1)
	v_fma_f32 v1, -v1, v4, v6
	v_div_fmas_f32 v1, v1, v3, v4
	s_delay_alu instid0(VALU_DEP_1) | instskip(NEXT) | instid1(VALU_DEP_1)
	v_div_fixup_f32 v1, v1, 0x43e00000, v2
	v_dual_mov_b32 v2, 0 :: v_dual_max_f32 v1, 0x36924925, v1
	ds_store_b32 v2, v1 offset:524
	global_store_b32 v2, v1, s[4:5]
.LBB6_27:
	s_or_b32 exec_lo, exec_lo, s3
	s_waitcnt lgkmcnt(0)
	s_waitcnt_vscnt null, 0x0
	s_barrier
	buffer_gl0_inv
	s_and_saveexec_b32 s3, s2
	s_cbranch_execz .LBB6_36
; %bb.28:
	v_dual_mov_b32 v2, 0 :: v_dual_mov_b32 v1, v0
	s_load_b32 s2, s[0:1], 0x4c
	s_ashr_i32 s4, s22, 31
	s_ashr_i32 s5, s21, 31
	ds_load_b32 v6, v2 offset:524
	s_mul_i32 s4, s4, s24
	s_mul_i32 s5, s5, s24
	s_add_i32 s35, s23, s4
	s_add_i32 s4, s11, s5
	s_lshl_b64 s[6:7], s[34:35], 1
	s_mov_b32 s8, 0
	s_add_u32 s5, s16, s6
	s_addc_u32 s6, s17, s7
	s_mov_b32 s9, 0x43e00000
	s_waitcnt lgkmcnt(0)
	s_and_b32 s7, s2, 0xffff
	s_branch .LBB6_31
.LBB6_29:                               ;   in Loop: Header=BB6_31 Depth=1
	s_or_b32 exec_lo, exec_lo, s10
.LBB6_30:                               ;   in Loop: Header=BB6_31 Depth=1
	s_delay_alu instid0(SALU_CYCLE_1) | instskip(SKIP_3) | instid1(VALU_DEP_1)
	s_or_b32 exec_lo, exec_lo, s2
	v_add_nc_u32_e32 v1, s7, v1
	v_lshrrev_b32_e32 v7, 24, v7
	v_add_co_u32 v3, s2, s12, v3
	v_add_co_ci_u32_e64 v4, s2, s13, v4, s2
	s_delay_alu instid0(VALU_DEP_4) | instskip(NEXT) | instid1(VALU_DEP_4)
	v_cmp_le_u32_e32 vcc_lo, s21, v1
	v_and_or_b32 v7, 0x80, v7, v8
	s_or_b32 s8, vcc_lo, s8
	global_store_b8 v[3:4], v7, off
	s_and_not1_b32 exec_lo, exec_lo, s8
	s_cbranch_execz .LBB6_36
.LBB6_31:                               ; =>This Inner Loop Header: Depth=1
	v_add_co_u32 v3, s2, s30, v1
	s_delay_alu instid0(VALU_DEP_1) | instskip(SKIP_2) | instid1(VALU_DEP_2)
	v_add_co_ci_u32_e64 v4, null, s4, 0, s2
	v_lshlrev_b64 v[7:8], 1, v[1:2]
	s_mov_b32 s2, exec_lo
	v_lshlrev_b64 v[9:10], 1, v[3:4]
	s_delay_alu instid0(VALU_DEP_2) | instskip(NEXT) | instid1(VALU_DEP_3)
	v_add_co_u32 v11, vcc_lo, s5, v7
	v_add_co_ci_u32_e32 v12, vcc_lo, s6, v8, vcc_lo
	s_delay_alu instid0(VALU_DEP_3) | instskip(NEXT) | instid1(VALU_DEP_4)
	v_add_co_u32 v13, vcc_lo, s28, v9
	v_add_co_ci_u32_e32 v14, vcc_lo, s29, v10, vcc_lo
	v_add_co_u32 v7, vcc_lo, s18, v7
	global_load_u16 v9, v[11:12], off
	global_load_u16 v10, v[13:14], off
	v_add_co_ci_u32_e32 v8, vcc_lo, s19, v8, vcc_lo
	global_load_u16 v7, v[7:8], off
	s_waitcnt vmcnt(2)
	v_cvt_f32_f16_e32 v8, v9
	s_waitcnt vmcnt(1)
	v_cvt_f32_f16_e32 v9, v10
	s_delay_alu instid0(VALU_DEP_1) | instskip(NEXT) | instid1(VALU_DEP_1)
	v_add_f32_e32 v8, v8, v9
	v_fma_mixlo_f16 v9, v5, v8, 0
	s_waitcnt vmcnt(0)
	s_delay_alu instid0(VALU_DEP_1) | instskip(NEXT) | instid1(VALU_DEP_1)
	v_mul_f16_e32 v7, v7, v9
	v_cvt_f32_f16_e32 v7, v7
	s_delay_alu instid0(VALU_DEP_1) | instskip(SKIP_1) | instid1(VALU_DEP_2)
	v_div_scale_f32 v9, null, v6, v6, v7
	v_div_scale_f32 v12, vcc_lo, v7, v6, v7
	v_rcp_f32_e32 v10, v9
	s_waitcnt_depctr 0xfff
	v_fma_f32 v11, -v9, v10, 1.0
	s_delay_alu instid0(VALU_DEP_1) | instskip(NEXT) | instid1(VALU_DEP_1)
	v_fmac_f32_e32 v10, v11, v10
	v_mul_f32_e32 v11, v12, v10
	s_delay_alu instid0(VALU_DEP_1) | instskip(NEXT) | instid1(VALU_DEP_1)
	v_fma_f32 v15, -v9, v11, v12
	v_fmac_f32_e32 v11, v15, v10
	s_delay_alu instid0(VALU_DEP_1) | instskip(NEXT) | instid1(VALU_DEP_1)
	v_fma_f32 v9, -v9, v11, v12
	v_div_fmas_f32 v9, v9, v10, v11
	v_cvt_f16_f32_e32 v10, v8
	v_mov_b32_e32 v8, 0x7f
	s_delay_alu instid0(VALU_DEP_3) | instskip(SKIP_2) | instid1(VALU_DEP_1)
	v_div_fixup_f32 v7, v9, v6, v7
	global_store_b16 v[13:14], v10, off
	v_minmax_f32 v7, v7, s9, 0xc3e00000
	v_and_b32_e32 v9, 0x7fffffff, v7
	s_delay_alu instid0(VALU_DEP_1)
	v_cmpx_gt_u32_e32 0x43f00000, v9
	s_cbranch_execz .LBB6_30
; %bb.32:                               ;   in Loop: Header=BB6_31 Depth=1
	s_mov_b32 s10, exec_lo
                                        ; implicit-def: $vgpr8
	v_cmpx_lt_u32_e32 0x3c7fffff, v9
	s_xor_b32 s10, exec_lo, s10
; %bb.33:                               ;   in Loop: Header=BB6_31 Depth=1
	v_bfe_u32 v8, v7, 20, 1
	s_delay_alu instid0(VALU_DEP_1) | instskip(NEXT) | instid1(VALU_DEP_1)
	v_add3_u32 v8, v7, v8, 0x407ffff
	v_lshrrev_b32_e32 v8, 20, v8
; %bb.34:                               ;   in Loop: Header=BB6_31 Depth=1
	s_and_not1_saveexec_b32 s10, s10
	s_cbranch_execz .LBB6_29
; %bb.35:                               ;   in Loop: Header=BB6_31 Depth=1
	v_add_f32_e64 v8, 0x46800000, |v7|
	s_branch .LBB6_29
.LBB6_36:
	s_or_b32 exec_lo, exec_lo, s3
	s_branch .LBB6_177
.LBB6_37:
	s_cbranch_execz .LBB6_177
; %bb.38:
	s_ashr_i32 s2, s22, 31
	s_mul_hi_u32 s3, s22, s24
	s_mul_i32 s2, s2, s24
	s_ashr_i32 s4, s21, 31
	s_add_i32 s5, s3, s2
	s_load_b32 s3, s[0:1], 0x40
	s_mul_i32 s6, s4, s24
	s_mul_i32 s4, s22, s24
	s_mul_hi_u32 s2, s21, s24
	s_lshl_b64 s[4:5], s[4:5], 1
	s_add_i32 s11, s2, s6
	s_mul_i32 s10, s21, s24
	s_add_u32 s9, s16, s4
	s_addc_u32 s16, s17, s5
	s_lshl_b64 s[4:5], s[10:11], 1
	v_mov_b32_e32 v7, 0
	s_add_u32 s17, s28, s4
	s_addc_u32 s22, s29, s5
	s_ashr_i32 s23, s21, 2
	s_add_u32 s0, s0, 64
	v_cmp_gt_u32_e64 s2, s23, v0
	s_mov_b32 s25, 0
	s_addc_u32 s1, s1, 0
	s_delay_alu instid0(VALU_DEP_1)
	s_and_saveexec_b32 s4, s2
	s_cbranch_execz .LBB6_48
; %bb.39:
	s_waitcnt lgkmcnt(0)
	s_cmp_lt_u32 s24, s3
	v_mov_b32_e32 v2, 0
	s_cselect_b32 s5, 12, 18
	v_mov_b32_e32 v1, v0
	s_add_u32 s6, s0, s5
	s_addc_u32 s7, s1, 0
	s_mov_b32 s5, s25
	global_load_u16 v6, v2, s[6:7]
                                        ; implicit-def: $sgpr6
	s_waitcnt vmcnt(0)
	v_lshlrev_b32_e32 v9, 1, v6
	v_mul_lo_u32 v8, v6, 3
	v_add_nc_u32_e32 v10, v6, v6
	v_mov_b32_e32 v7, v2
	s_branch .LBB6_43
.LBB6_40:                               ;   in Loop: Header=BB6_43 Depth=1
	s_or_b32 exec_lo, exec_lo, s28
	s_delay_alu instid0(SALU_CYCLE_1)
	s_or_not1_b32 s28, s29, exec_lo
.LBB6_41:                               ;   in Loop: Header=BB6_43 Depth=1
	s_or_b32 exec_lo, exec_lo, s8
	s_delay_alu instid0(SALU_CYCLE_1) | instskip(SKIP_1) | instid1(SALU_CYCLE_1)
	s_and_not1_b32 s6, s6, exec_lo
	s_and_b32 s8, s28, exec_lo
	s_or_b32 s6, s6, s8
.LBB6_42:                               ;   in Loop: Header=BB6_43 Depth=1
	s_or_b32 exec_lo, exec_lo, s7
	s_delay_alu instid0(SALU_CYCLE_1) | instskip(NEXT) | instid1(SALU_CYCLE_1)
	s_and_b32 s7, exec_lo, s6
	s_or_b32 s5, s7, s5
	s_delay_alu instid0(SALU_CYCLE_1)
	s_and_not1_b32 exec_lo, exec_lo, s5
	s_cbranch_execz .LBB6_47
.LBB6_43:                               ; =>This Inner Loop Header: Depth=1
	v_lshlrev_b64 v[3:4], 3, v[1:2]
	s_or_b32 s6, s6, exec_lo
	s_mov_b32 s7, exec_lo
	s_delay_alu instid0(VALU_DEP_1) | instskip(NEXT) | instid1(VALU_DEP_2)
	v_add_co_u32 v11, vcc_lo, s9, v3
	v_add_co_ci_u32_e32 v12, vcc_lo, s16, v4, vcc_lo
	v_add_co_u32 v3, vcc_lo, s17, v3
	v_add_co_ci_u32_e32 v4, vcc_lo, s22, v4, vcc_lo
	global_load_b64 v[11:12], v[11:12], off
	global_load_b64 v[3:4], v[3:4], off
	s_waitcnt vmcnt(1)
	v_lshrrev_b32_e32 v5, 16, v11
	v_cvt_f32_f16_e32 v11, v11
	s_waitcnt vmcnt(0)
	v_lshrrev_b32_e32 v13, 16, v3
	v_cvt_f32_f16_e32 v3, v3
	v_lshrrev_b32_e32 v14, 16, v12
	v_cvt_f32_f16_e32 v5, v5
	s_delay_alu instid0(VALU_DEP_4) | instskip(NEXT) | instid1(VALU_DEP_4)
	v_cvt_f32_f16_e32 v13, v13
	v_add_f32_e32 v3, v11, v3
	v_cvt_f32_f16_e32 v11, v12
	v_lshrrev_b32_e32 v12, 16, v4
	v_cvt_f32_f16_e32 v4, v4
	v_add_f32_e32 v5, v5, v13
	v_fmac_f32_e32 v7, v3, v3
	v_cvt_f32_f16_e32 v3, v14
	s_delay_alu instid0(VALU_DEP_4) | instskip(SKIP_1) | instid1(VALU_DEP_4)
	v_add_f32_e32 v4, v11, v4
	v_cvt_f32_f16_e32 v11, v12
	v_fmac_f32_e32 v7, v5, v5
	s_delay_alu instid0(VALU_DEP_2) | instskip(NEXT) | instid1(VALU_DEP_2)
	v_add_f32_e32 v5, v3, v11
	v_fmac_f32_e32 v7, v4, v4
	v_add_nc_u32_e32 v3, v1, v6
	s_delay_alu instid0(VALU_DEP_2) | instskip(NEXT) | instid1(VALU_DEP_2)
	v_fmac_f32_e32 v7, v5, v5
	v_cmpx_gt_u32_e64 s23, v3
	s_cbranch_execz .LBB6_42
; %bb.44:                               ;   in Loop: Header=BB6_43 Depth=1
	v_mov_b32_e32 v4, v2
	s_mov_b32 s28, -1
	s_mov_b32 s8, exec_lo
	s_delay_alu instid0(VALU_DEP_1) | instskip(NEXT) | instid1(VALU_DEP_1)
	v_lshlrev_b64 v[4:5], 3, v[3:4]
	v_add_co_u32 v11, vcc_lo, s9, v4
	s_delay_alu instid0(VALU_DEP_2)
	v_add_co_ci_u32_e32 v12, vcc_lo, s16, v5, vcc_lo
	v_add_co_u32 v4, vcc_lo, s17, v4
	v_add_co_ci_u32_e32 v5, vcc_lo, s22, v5, vcc_lo
	global_load_b64 v[11:12], v[11:12], off
	global_load_b64 v[4:5], v[4:5], off
	s_waitcnt vmcnt(1)
	v_lshrrev_b32_e32 v13, 16, v11
	s_waitcnt vmcnt(0)
	v_lshrrev_b32_e32 v14, 16, v4
	v_cvt_f32_f16_e32 v11, v11
	v_cvt_f32_f16_e32 v4, v4
	v_lshrrev_b32_e32 v15, 16, v12
	v_cvt_f32_f16_e32 v13, v13
	v_cvt_f32_f16_e32 v14, v14
	s_delay_alu instid0(VALU_DEP_1) | instskip(SKIP_3) | instid1(VALU_DEP_4)
	v_dual_add_f32 v13, v13, v14 :: v_dual_add_f32 v4, v11, v4
	v_cvt_f32_f16_e32 v11, v12
	v_lshrrev_b32_e32 v12, 16, v5
	v_cvt_f32_f16_e32 v5, v5
	v_fmac_f32_e32 v7, v4, v4
	v_cvt_f32_f16_e32 v4, v15
	s_delay_alu instid0(VALU_DEP_3) | instskip(SKIP_1) | instid1(VALU_DEP_1)
	v_add_f32_e32 v5, v11, v5
	v_cvt_f32_f16_e32 v11, v12
	v_dual_add_f32 v11, v4, v11 :: v_dual_add_nc_u32 v4, v9, v1
	v_fmac_f32_e32 v7, v13, v13
	s_delay_alu instid0(VALU_DEP_1) | instskip(NEXT) | instid1(VALU_DEP_1)
	v_fmac_f32_e32 v7, v5, v5
	v_fmac_f32_e32 v7, v11, v11
	s_delay_alu instid0(VALU_DEP_4)
	v_cmpx_gt_u32_e64 s23, v4
	s_cbranch_execz .LBB6_41
; %bb.45:                               ;   in Loop: Header=BB6_43 Depth=1
	v_mov_b32_e32 v5, v2
	v_add_nc_u32_e32 v1, v8, v1
	s_mov_b32 s29, -1
	s_mov_b32 s28, exec_lo
	s_delay_alu instid0(VALU_DEP_2) | instskip(NEXT) | instid1(VALU_DEP_1)
	v_lshlrev_b64 v[4:5], 3, v[4:5]
	v_add_co_u32 v11, vcc_lo, s9, v4
	s_delay_alu instid0(VALU_DEP_2)
	v_add_co_ci_u32_e32 v12, vcc_lo, s16, v5, vcc_lo
	v_add_co_u32 v4, vcc_lo, s17, v4
	v_add_co_ci_u32_e32 v5, vcc_lo, s22, v5, vcc_lo
	global_load_b64 v[11:12], v[11:12], off
	global_load_b64 v[4:5], v[4:5], off
	s_waitcnt vmcnt(1)
	v_lshrrev_b32_e32 v13, 16, v11
	v_cvt_f32_f16_e32 v11, v11
	s_waitcnt vmcnt(0)
	v_lshrrev_b32_e32 v14, 16, v4
	v_cvt_f32_f16_e32 v4, v4
	v_lshrrev_b32_e32 v15, 16, v12
	v_cvt_f32_f16_e32 v13, v13
	s_delay_alu instid0(VALU_DEP_4) | instskip(NEXT) | instid1(VALU_DEP_4)
	v_cvt_f32_f16_e32 v14, v14
	v_add_f32_e32 v4, v11, v4
	v_cvt_f32_f16_e32 v11, v12
	v_lshrrev_b32_e32 v12, 16, v5
	v_cvt_f32_f16_e32 v5, v5
	s_delay_alu instid0(VALU_DEP_4) | instskip(SKIP_1) | instid1(VALU_DEP_3)
	v_fmac_f32_e32 v7, v4, v4
	v_cvt_f32_f16_e32 v4, v15
	v_add_f32_e32 v5, v11, v5
	v_cvt_f32_f16_e32 v11, v12
	s_delay_alu instid0(VALU_DEP_1) | instskip(NEXT) | instid1(VALU_DEP_1)
	v_dual_add_f32 v13, v13, v14 :: v_dual_add_f32 v4, v4, v11
	v_fmac_f32_e32 v7, v13, v13
	s_delay_alu instid0(VALU_DEP_1) | instskip(NEXT) | instid1(VALU_DEP_1)
	v_fmac_f32_e32 v7, v5, v5
	v_fmac_f32_e32 v7, v4, v4
	v_cmpx_gt_u32_e64 s23, v1
	s_xor_b32 s28, exec_lo, s28
	s_cbranch_execz .LBB6_40
; %bb.46:                               ;   in Loop: Header=BB6_43 Depth=1
	v_lshlrev_b64 v[4:5], 3, v[1:2]
	s_delay_alu instid0(VALU_DEP_1) | instskip(NEXT) | instid1(VALU_DEP_2)
	v_add_co_u32 v11, vcc_lo, s9, v4
	v_add_co_ci_u32_e32 v12, vcc_lo, s16, v5, vcc_lo
	v_add_co_u32 v4, vcc_lo, s17, v4
	v_add_co_ci_u32_e32 v5, vcc_lo, s22, v5, vcc_lo
	global_load_b64 v[11:12], v[11:12], off
	global_load_b64 v[4:5], v[4:5], off
	s_waitcnt vmcnt(1)
	v_lshrrev_b32_e32 v1, 16, v11
	v_cvt_f32_f16_e32 v11, v11
	s_waitcnt vmcnt(0)
	v_lshrrev_b32_e32 v13, 16, v4
	v_cvt_f32_f16_e32 v4, v4
	v_lshrrev_b32_e32 v14, 16, v12
	v_cvt_f32_f16_e32 v1, v1
	s_delay_alu instid0(VALU_DEP_4) | instskip(NEXT) | instid1(VALU_DEP_4)
	v_cvt_f32_f16_e32 v13, v13
	v_add_f32_e32 v4, v11, v4
	v_cvt_f32_f16_e32 v11, v12
	v_lshrrev_b32_e32 v12, 16, v5
	v_cvt_f32_f16_e32 v5, v5
	v_add_f32_e32 v1, v1, v13
	v_fmac_f32_e32 v7, v4, v4
	v_cvt_f32_f16_e32 v4, v14
	s_delay_alu instid0(VALU_DEP_4) | instskip(SKIP_1) | instid1(VALU_DEP_4)
	v_add_f32_e32 v5, v11, v5
	v_cvt_f32_f16_e32 v11, v12
	v_fmac_f32_e32 v7, v1, v1
	v_add3_u32 v1, v10, v6, v3
	s_delay_alu instid0(VALU_DEP_3) | instskip(NEXT) | instid1(VALU_DEP_3)
	v_add_f32_e32 v3, v4, v11
	v_fmac_f32_e32 v7, v5, v5
	s_delay_alu instid0(VALU_DEP_3) | instskip(NEXT) | instid1(VALU_DEP_2)
	v_cmp_le_u32_e32 vcc_lo, s23, v1
	v_fmac_f32_e32 v7, v3, v3
	s_or_not1_b32 s29, vcc_lo, exec_lo
	s_branch .LBB6_40
.LBB6_47:
	s_or_b32 exec_lo, exec_lo, s5
.LBB6_48:
	s_delay_alu instid0(SALU_CYCLE_1)
	s_or_b32 exec_lo, exec_lo, s4
	v_mbcnt_lo_u32_b32 v6, -1, 0
	s_waitcnt lgkmcnt(0)
	s_cmp_lt_u32 s24, s3
	v_and_b32_e32 v4, 0x3e0, v0
	s_cselect_b32 s3, 12, 18
	s_delay_alu instid0(SALU_CYCLE_1)
	s_add_u32 s0, s0, s3
	v_cmp_ne_u32_e32 vcc_lo, 31, v6
	s_addc_u32 s1, s1, 0
	v_add_nc_u32_e32 v9, 1, v6
	v_add_nc_u32_e32 v12, 2, v6
	;; [unrolled: 1-line block ×3, first 2 shown]
	v_add_co_ci_u32_e32 v2, vcc_lo, 0, v6, vcc_lo
	v_mov_b32_e32 v1, 0
	v_cmp_gt_u32_e32 vcc_lo, 30, v6
	v_add_nc_u32_e32 v16, 8, v6
	s_delay_alu instid0(VALU_DEP_4)
	v_lshlrev_b32_e32 v8, 2, v2
	v_add_nc_u32_e32 v17, 16, v6
	global_load_u16 v1, v1, s[0:1]
	v_cndmask_b32_e64 v3, 0, 1, vcc_lo
	v_cmp_gt_u32_e32 vcc_lo, 28, v6
	ds_bpermute_b32 v2, v8, v7
	v_cmp_eq_u32_e64 s6, 0, v6
	v_lshlrev_b32_e32 v3, 1, v3
	v_cndmask_b32_e64 v5, 0, 1, vcc_lo
	v_cmp_gt_u32_e32 vcc_lo, 24, v6
	s_delay_alu instid0(VALU_DEP_2) | instskip(NEXT) | instid1(VALU_DEP_1)
	v_lshlrev_b32_e32 v5, 2, v5
	v_add_lshl_u32 v11, v5, v6, 2
	v_cndmask_b32_e64 v5, 0, 1, vcc_lo
	v_cmp_gt_u32_e32 vcc_lo, 16, v6
	s_waitcnt lgkmcnt(0)
	v_add_f32_e32 v2, v7, v2
	v_add_lshl_u32 v10, v3, v6, 2
	v_lshlrev_b32_e32 v5, 3, v5
	s_delay_alu instid0(VALU_DEP_1) | instskip(SKIP_1) | instid1(VALU_DEP_1)
	v_add_lshl_u32 v13, v5, v6, 2
	v_cndmask_b32_e64 v5, 0, 1, vcc_lo
	v_lshlrev_b32_e32 v5, 4, v5
	s_delay_alu instid0(VALU_DEP_1) | instskip(SKIP_3) | instid1(VALU_DEP_2)
	v_add_lshl_u32 v15, v5, v6, 2
	s_waitcnt vmcnt(0)
	v_sub_nc_u32_e64 v4, v1, v4 clamp
	v_readfirstlane_b32 s28, v1
	v_cmp_lt_u32_e64 s0, v9, v4
	v_cmp_lt_u32_e64 s1, v12, v4
	v_cmp_lt_u32_e64 s3, v14, v4
	v_cmp_lt_u32_e64 s5, v16, v4
	v_cmp_lt_u32_e64 s8, v17, v4
	v_cndmask_b32_e64 v2, v7, v2, s0
	ds_bpermute_b32 v3, v10, v2
	s_waitcnt lgkmcnt(0)
	v_add_f32_e32 v3, v2, v3
	s_delay_alu instid0(VALU_DEP_1) | instskip(SKIP_3) | instid1(VALU_DEP_1)
	v_cndmask_b32_e64 v2, v2, v3, s1
	ds_bpermute_b32 v3, v11, v2
	s_waitcnt lgkmcnt(0)
	v_add_f32_e32 v3, v2, v3
	v_cndmask_b32_e64 v2, v2, v3, s3
	ds_bpermute_b32 v3, v13, v2
	s_waitcnt lgkmcnt(0)
	v_add_f32_e32 v3, v2, v3
	s_delay_alu instid0(VALU_DEP_1) | instskip(SKIP_3) | instid1(VALU_DEP_1)
	v_cndmask_b32_e64 v2, v2, v3, s5
	ds_bpermute_b32 v3, v15, v2
	s_waitcnt lgkmcnt(0)
	v_add_f32_e32 v3, v2, v3
	v_cndmask_b32_e64 v1, v2, v3, s8
	s_and_saveexec_b32 s4, s6
	s_cbranch_execz .LBB6_50
; %bb.49:
	v_lshrrev_b32_e32 v2, 3, v0
	s_delay_alu instid0(VALU_DEP_1)
	v_and_b32_e32 v2, 0x7c, v2
	ds_store_b32 v2, v1
.LBB6_50:
	s_or_b32 exec_lo, exec_lo, s4
	v_cmp_gt_u32_e64 s7, 32, v0
	s_waitcnt lgkmcnt(0)
	s_waitcnt_vscnt null, 0x0
	s_barrier
	buffer_gl0_inv
	s_and_saveexec_b32 s4, s7
	s_cbranch_execz .LBB6_52
; %bb.51:
	v_lshlrev_b32_e32 v1, 2, v6
	s_add_i32 s29, s28, 31
	s_delay_alu instid0(SALU_CYCLE_1) | instskip(NEXT) | instid1(SALU_CYCLE_1)
	s_lshr_b32 s29, s29, 5
	v_cmp_gt_u32_e32 vcc_lo, s29, v9
	ds_load_b32 v1, v1
	s_waitcnt lgkmcnt(0)
	ds_bpermute_b32 v2, v8, v1
	s_waitcnt lgkmcnt(0)
	v_add_f32_e32 v2, v1, v2
	s_delay_alu instid0(VALU_DEP_1) | instskip(SKIP_4) | instid1(VALU_DEP_1)
	v_cndmask_b32_e32 v1, v1, v2, vcc_lo
	v_cmp_gt_u32_e32 vcc_lo, s29, v12
	ds_bpermute_b32 v2, v10, v1
	s_waitcnt lgkmcnt(0)
	v_add_f32_e32 v2, v1, v2
	v_cndmask_b32_e32 v1, v1, v2, vcc_lo
	v_cmp_gt_u32_e32 vcc_lo, s29, v14
	ds_bpermute_b32 v2, v11, v1
	s_waitcnt lgkmcnt(0)
	v_add_f32_e32 v2, v1, v2
	s_delay_alu instid0(VALU_DEP_1) | instskip(SKIP_4) | instid1(VALU_DEP_1)
	v_cndmask_b32_e32 v1, v1, v2, vcc_lo
	v_cmp_gt_u32_e32 vcc_lo, s29, v16
	ds_bpermute_b32 v2, v13, v1
	s_waitcnt lgkmcnt(0)
	v_add_f32_e32 v2, v1, v2
	v_cndmask_b32_e32 v1, v1, v2, vcc_lo
	v_cmp_gt_u32_e32 vcc_lo, s29, v17
	ds_bpermute_b32 v2, v15, v1
	s_waitcnt lgkmcnt(0)
	v_add_f32_e32 v2, v1, v2
	s_delay_alu instid0(VALU_DEP_1)
	v_cndmask_b32_e32 v1, v1, v2, vcc_lo
.LBB6_52:
	s_or_b32 exec_lo, exec_lo, s4
	v_cmp_eq_u32_e64 s4, 0, v0
	s_delay_alu instid0(VALU_DEP_1)
	s_and_saveexec_b32 s29, s4
	s_cbranch_execz .LBB6_54
; %bb.53:
	v_cvt_f32_i32_e32 v2, s21
	s_delay_alu instid0(VALU_DEP_1) | instskip(SKIP_1) | instid1(VALU_DEP_2)
	v_div_scale_f32 v3, null, v2, v2, v1
	v_div_scale_f32 v7, vcc_lo, v1, v2, v1
	v_rcp_f32_e32 v4, v3
	s_waitcnt_depctr 0xfff
	v_fma_f32 v5, -v3, v4, 1.0
	s_delay_alu instid0(VALU_DEP_1) | instskip(NEXT) | instid1(VALU_DEP_1)
	v_fmac_f32_e32 v4, v5, v4
	v_mul_f32_e32 v5, v7, v4
	s_delay_alu instid0(VALU_DEP_1) | instskip(NEXT) | instid1(VALU_DEP_1)
	v_fma_f32 v18, -v3, v5, v7
	v_fmac_f32_e32 v5, v18, v4
	s_delay_alu instid0(VALU_DEP_1) | instskip(NEXT) | instid1(VALU_DEP_1)
	v_fma_f32 v3, -v3, v5, v7
	v_div_fmas_f32 v3, v3, v4, v5
	s_delay_alu instid0(VALU_DEP_1) | instskip(NEXT) | instid1(VALU_DEP_1)
	v_div_fixup_f32 v1, v3, v2, v1
	v_add_f32_e32 v1, s20, v1
	s_delay_alu instid0(VALU_DEP_1) | instskip(SKIP_1) | instid1(VALU_DEP_2)
	v_mul_f32_e32 v2, 0x4b800000, v1
	v_cmp_gt_f32_e32 vcc_lo, 0x800000, v1
	v_cndmask_b32_e32 v1, v1, v2, vcc_lo
	s_delay_alu instid0(VALU_DEP_1) | instskip(SKIP_2) | instid1(VALU_DEP_1)
	v_rsq_f32_e32 v1, v1
	s_waitcnt_depctr 0xfff
	v_mul_f32_e32 v2, 0x45800000, v1
	v_dual_cndmask_b32 v1, v1, v2 :: v_dual_mov_b32 v2, 0
	ds_store_b32 v2, v1 offset:512
.LBB6_54:
	s_or_b32 exec_lo, exec_lo, s29
	v_mov_b32_e32 v18, 0
	s_waitcnt lgkmcnt(0)
	s_barrier
	buffer_gl0_inv
	ds_load_b32 v7, v18 offset:512
	s_and_saveexec_b32 s20, s2
	s_cbranch_execz .LBB6_64
; %bb.55:
	v_dual_mov_b32 v2, 0 :: v_dual_mov_b32 v1, v0
	v_mov_b32_e32 v18, 0
	s_mul_i32 s21, s28, 3
	s_lshl_b32 s30, s28, 1
	s_mov_b32 s29, 0
	s_add_i32 s31, s28, s28
                                        ; implicit-def: $sgpr33
	s_branch .LBB6_59
.LBB6_56:                               ;   in Loop: Header=BB6_59 Depth=1
	s_or_b32 exec_lo, exec_lo, s36
	s_delay_alu instid0(SALU_CYCLE_1)
	s_or_not1_b32 s36, s37, exec_lo
.LBB6_57:                               ;   in Loop: Header=BB6_59 Depth=1
	s_or_b32 exec_lo, exec_lo, s35
	s_delay_alu instid0(SALU_CYCLE_1) | instskip(SKIP_1) | instid1(SALU_CYCLE_1)
	s_and_not1_b32 s33, s33, exec_lo
	s_and_b32 s35, s36, exec_lo
	s_or_b32 s33, s33, s35
.LBB6_58:                               ;   in Loop: Header=BB6_59 Depth=1
	s_or_b32 exec_lo, exec_lo, s34
	s_delay_alu instid0(SALU_CYCLE_1) | instskip(NEXT) | instid1(SALU_CYCLE_1)
	s_and_b32 s34, exec_lo, s33
	s_or_b32 s29, s34, s29
	s_delay_alu instid0(SALU_CYCLE_1)
	s_and_not1_b32 exec_lo, exec_lo, s29
	s_cbranch_execz .LBB6_63
.LBB6_59:                               ; =>This Inner Loop Header: Depth=1
	v_lshlrev_b64 v[3:4], 3, v[1:2]
	s_or_b32 s33, s33, exec_lo
	s_mov_b32 s34, exec_lo
	s_delay_alu instid0(VALU_DEP_1) | instskip(NEXT) | instid1(VALU_DEP_2)
	v_add_co_u32 v19, vcc_lo, s9, v3
	v_add_co_ci_u32_e32 v20, vcc_lo, s16, v4, vcc_lo
	v_add_co_u32 v21, vcc_lo, s17, v3
	v_add_co_ci_u32_e32 v22, vcc_lo, s22, v4, vcc_lo
	v_add_co_u32 v3, vcc_lo, s18, v3
	global_load_b64 v[19:20], v[19:20], off
	global_load_b64 v[21:22], v[21:22], off
	v_add_co_ci_u32_e32 v4, vcc_lo, s19, v4, vcc_lo
	global_load_b64 v[3:4], v[3:4], off
	s_waitcnt vmcnt(2)
	v_lshrrev_b32_e32 v5, 16, v19
	s_waitcnt vmcnt(1)
	v_lshrrev_b32_e32 v24, 16, v21
	v_lshrrev_b32_e32 v23, 16, v20
	v_cvt_f32_f16_e32 v19, v19
	v_lshrrev_b32_e32 v25, 16, v22
	v_cvt_f32_f16_e32 v21, v21
	v_cvt_f32_f16_e32 v5, v5
	;; [unrolled: 1-line block ×6, first 2 shown]
	v_add_f32_e32 v19, v19, v21
	v_cvt_f32_f16_e32 v21, v25
	s_delay_alu instid0(VALU_DEP_4)
	v_dual_add_f32 v5, v5, v24 :: v_dual_add_f32 v20, v20, v22
	s_waitcnt vmcnt(0)
	v_lshrrev_b32_e32 v24, 16, v3
	s_waitcnt lgkmcnt(0)
	v_fma_mixlo_f16 v19, v7, v19, 0
	v_add_f32_e32 v21, v23, v21
	v_fma_mixlo_f16 v5, v7, v5, 0
	v_lshrrev_b32_e32 v22, 16, v4
	v_fma_mixlo_f16 v20, v7, v20, 0
	v_mul_f16_e32 v3, v3, v19
	v_fma_mixlo_f16 v19, v7, v21, 0
	v_mul_f16_e32 v5, v24, v5
	s_delay_alu instid0(VALU_DEP_4) | instskip(NEXT) | instid1(VALU_DEP_4)
	v_mul_f16_e32 v4, v4, v20
	v_cvt_f32_f16_e64 v3, |v3|
	s_delay_alu instid0(VALU_DEP_4) | instskip(NEXT) | instid1(VALU_DEP_4)
	v_mul_f16_e32 v19, v22, v19
	v_cvt_f32_f16_e64 v5, |v5|
	s_delay_alu instid0(VALU_DEP_4) | instskip(NEXT) | instid1(VALU_DEP_3)
	v_cvt_f32_f16_e64 v4, |v4|
	v_cvt_f32_f16_e64 v19, |v19|
	s_delay_alu instid0(VALU_DEP_3) | instskip(SKIP_1) | instid1(VALU_DEP_2)
	v_max3_f32 v5, v18, v3, v5
	v_add_nc_u32_e32 v3, s28, v1
	v_max3_f32 v18, v5, v4, v19
	s_delay_alu instid0(VALU_DEP_2)
	v_cmpx_gt_u32_e64 s23, v3
	s_cbranch_execz .LBB6_58
; %bb.60:                               ;   in Loop: Header=BB6_59 Depth=1
	v_mov_b32_e32 v4, v2
	s_mov_b32 s36, -1
	s_mov_b32 s35, exec_lo
	s_delay_alu instid0(VALU_DEP_1) | instskip(NEXT) | instid1(VALU_DEP_1)
	v_lshlrev_b64 v[4:5], 3, v[3:4]
	v_add_co_u32 v19, vcc_lo, s9, v4
	s_delay_alu instid0(VALU_DEP_2)
	v_add_co_ci_u32_e32 v20, vcc_lo, s16, v5, vcc_lo
	v_add_co_u32 v21, vcc_lo, s17, v4
	v_add_co_ci_u32_e32 v22, vcc_lo, s22, v5, vcc_lo
	v_add_co_u32 v4, vcc_lo, s18, v4
	global_load_b64 v[19:20], v[19:20], off
	global_load_b64 v[21:22], v[21:22], off
	v_add_co_ci_u32_e32 v5, vcc_lo, s19, v5, vcc_lo
	global_load_b64 v[4:5], v[4:5], off
	s_waitcnt vmcnt(2)
	v_lshrrev_b32_e32 v23, 16, v19
	s_waitcnt vmcnt(1)
	v_lshrrev_b32_e32 v25, 16, v21
	v_lshrrev_b32_e32 v24, 16, v20
	v_cvt_f32_f16_e32 v19, v19
	v_lshrrev_b32_e32 v26, 16, v22
	v_cvt_f32_f16_e32 v21, v21
	v_cvt_f32_f16_e32 v23, v23
	;; [unrolled: 1-line block ×5, first 2 shown]
	v_add_f32_e32 v19, v19, v21
	v_cvt_f32_f16_e32 v24, v24
	v_cvt_f32_f16_e32 v21, v26
	s_delay_alu instid0(VALU_DEP_4)
	v_dual_add_f32 v23, v23, v25 :: v_dual_add_f32 v20, v20, v22
	s_waitcnt vmcnt(0)
	v_lshrrev_b32_e32 v25, 16, v4
	v_fma_mixlo_f16 v19, v7, v19, 0
	v_add_f32_e32 v21, v24, v21
	v_fma_mixlo_f16 v22, v7, v23, 0
	v_lshrrev_b32_e32 v23, 16, v5
	v_fma_mixlo_f16 v20, v7, v20, 0
	v_mul_f16_e32 v4, v4, v19
	v_fma_mixlo_f16 v19, v7, v21, 0
	v_mul_f16_e32 v21, v25, v22
	s_delay_alu instid0(VALU_DEP_4) | instskip(NEXT) | instid1(VALU_DEP_4)
	v_mul_f16_e32 v5, v5, v20
	v_cvt_f32_f16_e64 v4, |v4|
	s_delay_alu instid0(VALU_DEP_4) | instskip(NEXT) | instid1(VALU_DEP_4)
	v_mul_f16_e32 v19, v23, v19
	v_cvt_f32_f16_e64 v20, |v21|
	s_delay_alu instid0(VALU_DEP_4) | instskip(NEXT) | instid1(VALU_DEP_3)
	v_cvt_f32_f16_e64 v5, |v5|
	v_cvt_f32_f16_e64 v19, |v19|
	s_delay_alu instid0(VALU_DEP_3) | instskip(SKIP_1) | instid1(VALU_DEP_2)
	v_max3_f32 v18, v18, v4, v20
	v_add_nc_u32_e32 v4, s30, v1
	v_max3_f32 v18, v18, v5, v19
	s_delay_alu instid0(VALU_DEP_2)
	v_cmpx_gt_u32_e64 s23, v4
	s_cbranch_execz .LBB6_57
; %bb.61:                               ;   in Loop: Header=BB6_59 Depth=1
	v_mov_b32_e32 v5, v2
	v_add_nc_u32_e32 v1, s21, v1
	s_mov_b32 s37, -1
	s_mov_b32 s36, exec_lo
	s_delay_alu instid0(VALU_DEP_2) | instskip(NEXT) | instid1(VALU_DEP_1)
	v_lshlrev_b64 v[4:5], 3, v[4:5]
	v_add_co_u32 v19, vcc_lo, s9, v4
	s_delay_alu instid0(VALU_DEP_2)
	v_add_co_ci_u32_e32 v20, vcc_lo, s16, v5, vcc_lo
	v_add_co_u32 v21, vcc_lo, s17, v4
	v_add_co_ci_u32_e32 v22, vcc_lo, s22, v5, vcc_lo
	v_add_co_u32 v4, vcc_lo, s18, v4
	global_load_b64 v[19:20], v[19:20], off
	global_load_b64 v[21:22], v[21:22], off
	v_add_co_ci_u32_e32 v5, vcc_lo, s19, v5, vcc_lo
	global_load_b64 v[4:5], v[4:5], off
	s_waitcnt vmcnt(2)
	v_lshrrev_b32_e32 v23, 16, v19
	s_waitcnt vmcnt(1)
	v_lshrrev_b32_e32 v25, 16, v21
	v_lshrrev_b32_e32 v24, 16, v20
	v_cvt_f32_f16_e32 v19, v19
	v_lshrrev_b32_e32 v26, 16, v22
	v_cvt_f32_f16_e32 v21, v21
	v_cvt_f32_f16_e32 v23, v23
	;; [unrolled: 1-line block ×6, first 2 shown]
	v_add_f32_e32 v19, v19, v21
	v_cvt_f32_f16_e32 v21, v26
	s_delay_alu instid0(VALU_DEP_4)
	v_dual_add_f32 v23, v23, v25 :: v_dual_add_f32 v20, v20, v22
	s_waitcnt vmcnt(0)
	v_lshrrev_b32_e32 v25, 16, v4
	v_fma_mixlo_f16 v19, v7, v19, 0
	v_add_f32_e32 v21, v24, v21
	v_fma_mixlo_f16 v22, v7, v23, 0
	v_lshrrev_b32_e32 v23, 16, v5
	v_fma_mixlo_f16 v20, v7, v20, 0
	v_mul_f16_e32 v4, v4, v19
	v_fma_mixlo_f16 v19, v7, v21, 0
	v_mul_f16_e32 v21, v25, v22
	s_delay_alu instid0(VALU_DEP_4) | instskip(NEXT) | instid1(VALU_DEP_4)
	v_mul_f16_e32 v5, v5, v20
	v_cvt_f32_f16_e64 v4, |v4|
	s_delay_alu instid0(VALU_DEP_4) | instskip(NEXT) | instid1(VALU_DEP_4)
	v_mul_f16_e32 v19, v23, v19
	v_cvt_f32_f16_e64 v20, |v21|
	s_delay_alu instid0(VALU_DEP_4) | instskip(NEXT) | instid1(VALU_DEP_3)
	v_cvt_f32_f16_e64 v5, |v5|
	v_cvt_f32_f16_e64 v19, |v19|
	s_delay_alu instid0(VALU_DEP_3) | instskip(NEXT) | instid1(VALU_DEP_1)
	v_max3_f32 v4, v18, v4, v20
	v_max3_f32 v18, v4, v5, v19
	v_cmpx_gt_u32_e64 s23, v1
	s_xor_b32 s36, exec_lo, s36
	s_cbranch_execz .LBB6_56
; %bb.62:                               ;   in Loop: Header=BB6_59 Depth=1
	v_lshlrev_b64 v[4:5], 3, v[1:2]
	s_delay_alu instid0(VALU_DEP_1) | instskip(NEXT) | instid1(VALU_DEP_2)
	v_add_co_u32 v19, vcc_lo, s9, v4
	v_add_co_ci_u32_e32 v20, vcc_lo, s16, v5, vcc_lo
	v_add_co_u32 v21, vcc_lo, s17, v4
	v_add_co_ci_u32_e32 v22, vcc_lo, s22, v5, vcc_lo
	v_add_co_u32 v4, vcc_lo, s18, v4
	global_load_b64 v[19:20], v[19:20], off
	global_load_b64 v[21:22], v[21:22], off
	v_add_co_ci_u32_e32 v5, vcc_lo, s19, v5, vcc_lo
	global_load_b64 v[4:5], v[4:5], off
	s_waitcnt vmcnt(2)
	v_lshrrev_b32_e32 v1, 16, v19
	s_waitcnt vmcnt(1)
	v_lshrrev_b32_e32 v24, 16, v21
	v_lshrrev_b32_e32 v23, 16, v20
	v_cvt_f32_f16_e32 v19, v19
	v_cvt_f32_f16_e32 v21, v21
	;; [unrolled: 1-line block ×4, first 2 shown]
	v_lshrrev_b32_e32 v25, 16, v22
	v_cvt_f32_f16_e32 v20, v20
	v_cvt_f32_f16_e32 v22, v22
	;; [unrolled: 1-line block ×3, first 2 shown]
	v_add_f32_e32 v19, v19, v21
	v_add_f32_e32 v1, v1, v24
	v_cvt_f32_f16_e32 v21, v25
	v_add_f32_e32 v20, v20, v22
	s_waitcnt vmcnt(0)
	v_lshrrev_b32_e32 v24, 16, v4
	v_fma_mixlo_f16 v19, v7, v19, 0
	v_fma_mixlo_f16 v1, v7, v1, 0
	v_add_f32_e32 v21, v23, v21
	v_lshrrev_b32_e32 v22, 16, v5
	v_fma_mixlo_f16 v20, v7, v20, 0
	v_mul_f16_e32 v4, v4, v19
	v_mul_f16_e32 v1, v24, v1
	v_fma_mixlo_f16 v19, v7, v21, 0
	s_delay_alu instid0(VALU_DEP_4) | instskip(NEXT) | instid1(VALU_DEP_4)
	v_mul_f16_e32 v5, v5, v20
	v_cvt_f32_f16_e64 v4, |v4|
	s_delay_alu instid0(VALU_DEP_4) | instskip(NEXT) | instid1(VALU_DEP_4)
	v_cvt_f32_f16_e64 v20, |v1|
	v_mul_f16_e32 v19, v22, v19
	v_add3_u32 v1, s31, s28, v3
	v_cvt_f32_f16_e64 v3, |v5|
	s_delay_alu instid0(VALU_DEP_4) | instskip(NEXT) | instid1(VALU_DEP_4)
	v_max3_f32 v4, v18, v4, v20
	v_cvt_f32_f16_e64 v5, |v19|
	s_delay_alu instid0(VALU_DEP_4) | instskip(NEXT) | instid1(VALU_DEP_2)
	v_cmp_le_u32_e32 vcc_lo, s23, v1
	v_max3_f32 v18, v4, v3, v5
	s_or_not1_b32 s37, vcc_lo, exec_lo
	s_branch .LBB6_56
.LBB6_63:
	s_or_b32 exec_lo, exec_lo, s29
.LBB6_64:
	s_delay_alu instid0(SALU_CYCLE_1) | instskip(SKIP_4) | instid1(VALU_DEP_1)
	s_or_b32 exec_lo, exec_lo, s20
	ds_bpermute_b32 v1, v8, v18
	s_waitcnt lgkmcnt(0)
	v_cmp_lt_f32_e32 vcc_lo, v18, v1
	v_cndmask_b32_e32 v1, v18, v1, vcc_lo
	v_cndmask_b32_e64 v1, v18, v1, s0
	s_or_b32 s0, s0, s1
	s_delay_alu instid0(SALU_CYCLE_1) | instskip(NEXT) | instid1(SALU_CYCLE_1)
	s_or_b32 s0, s3, s0
	s_or_b32 s0, s5, s0
	ds_bpermute_b32 v2, v10, v1
	s_waitcnt lgkmcnt(0)
	v_cmp_lt_f32_e32 vcc_lo, v1, v2
	v_cndmask_b32_e32 v2, v1, v2, vcc_lo
	s_delay_alu instid0(VALU_DEP_1) | instskip(SKIP_4) | instid1(VALU_DEP_1)
	v_cndmask_b32_e64 v1, v1, v2, s1
	ds_bpermute_b32 v2, v11, v1
	s_waitcnt lgkmcnt(0)
	v_cmp_lt_f32_e32 vcc_lo, v1, v2
	v_cndmask_b32_e32 v2, v1, v2, vcc_lo
	v_cndmask_b32_e64 v1, v1, v2, s3
	ds_bpermute_b32 v2, v13, v1
	s_waitcnt lgkmcnt(0)
	v_cmp_lt_f32_e32 vcc_lo, v1, v2
	v_cndmask_b32_e32 v2, v1, v2, vcc_lo
	s_delay_alu instid0(VALU_DEP_1)
	v_cndmask_b32_e64 v1, v1, v2, s5
	ds_bpermute_b32 v2, v15, v1
	s_waitcnt lgkmcnt(0)
	v_cmp_lt_f32_e32 vcc_lo, v1, v2
	s_and_b32 vcc_lo, s8, vcc_lo
	v_cndmask_b32_e32 v1, v1, v2, vcc_lo
	s_or_b32 vcc_lo, s8, s0
	s_delay_alu instid0(VALU_DEP_1)
	v_cndmask_b32_e32 v1, v18, v1, vcc_lo
	s_and_saveexec_b32 s0, s6
	s_cbranch_execz .LBB6_66
; %bb.65:
	v_lshrrev_b32_e32 v2, 3, v0
	s_delay_alu instid0(VALU_DEP_1)
	v_and_b32_e32 v2, 0x7c, v2
	ds_store_b32 v2, v1 offset:128
.LBB6_66:
	s_or_b32 exec_lo, exec_lo, s0
	s_waitcnt lgkmcnt(0)
	s_barrier
	buffer_gl0_inv
	s_and_saveexec_b32 s8, s7
	s_cbranch_execz .LBB6_68
; %bb.67:
	v_lshlrev_b32_e32 v1, 2, v6
	s_add_i32 s0, s28, 31
	s_delay_alu instid0(SALU_CYCLE_1)
	s_lshr_b32 s5, s0, 5
	ds_load_b32 v1, v1 offset:128
	s_waitcnt lgkmcnt(0)
	ds_bpermute_b32 v2, v8, v1
	s_waitcnt lgkmcnt(0)
	v_cmp_lt_f32_e32 vcc_lo, v1, v2
	v_cndmask_b32_e32 v2, v1, v2, vcc_lo
	v_cmp_gt_u32_e32 vcc_lo, s5, v9
	s_delay_alu instid0(VALU_DEP_2) | instskip(SKIP_3) | instid1(VALU_DEP_1)
	v_cndmask_b32_e32 v2, v1, v2, vcc_lo
	ds_bpermute_b32 v3, v10, v2
	s_waitcnt lgkmcnt(0)
	v_cmp_lt_f32_e64 s0, v2, v3
	v_cndmask_b32_e64 v3, v2, v3, s0
	v_cmp_gt_u32_e64 s0, s5, v12
	s_delay_alu instid0(VALU_DEP_1) | instskip(SKIP_4) | instid1(VALU_DEP_1)
	v_cndmask_b32_e64 v2, v2, v3, s0
	s_or_b32 s0, vcc_lo, s0
	ds_bpermute_b32 v3, v11, v2
	s_waitcnt lgkmcnt(0)
	v_cmp_lt_f32_e64 s1, v2, v3
	v_cndmask_b32_e64 v3, v2, v3, s1
	v_cmp_gt_u32_e64 s1, s5, v14
	s_delay_alu instid0(VALU_DEP_1) | instskip(SKIP_4) | instid1(VALU_DEP_1)
	v_cndmask_b32_e64 v2, v2, v3, s1
	s_or_b32 s0, s1, s0
	ds_bpermute_b32 v3, v13, v2
	s_waitcnt lgkmcnt(0)
	v_cmp_lt_f32_e64 s3, v2, v3
	v_cndmask_b32_e64 v3, v2, v3, s3
	v_cmp_gt_u32_e64 s3, s5, v16
	v_cmp_gt_u32_e64 s5, s5, v17
	s_delay_alu instid0(VALU_DEP_2) | instskip(SKIP_4) | instid1(VALU_DEP_1)
	v_cndmask_b32_e64 v2, v2, v3, s3
	s_or_b32 s0, s3, s0
	ds_bpermute_b32 v3, v15, v2
	s_waitcnt lgkmcnt(0)
	v_cmp_lt_f32_e64 s6, v2, v3
	s_and_b32 vcc_lo, s5, s6
	v_cndmask_b32_e32 v2, v2, v3, vcc_lo
	s_or_b32 vcc_lo, s5, s0
	s_delay_alu instid0(VALU_DEP_1)
	v_cndmask_b32_e32 v1, v1, v2, vcc_lo
.LBB6_68:
	s_or_b32 exec_lo, exec_lo, s8
	s_and_saveexec_b32 s0, s4
	s_cbranch_execz .LBB6_72
; %bb.69:
	s_cmp_eq_u64 s[26:27], 0
	s_cbranch_scc1 .LBB6_71
; %bb.70:
	s_load_b32 s1, s[26:27], 0x0
	v_max_f32_e32 v1, v1, v1
	s_waitcnt lgkmcnt(0)
	v_max_f32_e64 v2, s1, s1
	s_delay_alu instid0(VALU_DEP_1)
	v_min_f32_e32 v1, v1, v2
.LBB6_71:
	s_delay_alu instid0(VALU_DEP_1) | instskip(SKIP_2) | instid1(VALU_DEP_2)
	v_div_scale_f32 v2, null, 0x43e00000, 0x43e00000, v1
	v_div_scale_f32 v5, vcc_lo, v1, 0x43e00000, v1
	s_lshl_b64 s[4:5], s[24:25], 2
	v_rcp_f32_e32 v3, v2
	s_add_u32 s4, s14, s4
	s_addc_u32 s5, s15, s5
	s_waitcnt_depctr 0xfff
	v_fma_f32 v4, -v2, v3, 1.0
	s_delay_alu instid0(VALU_DEP_1) | instskip(NEXT) | instid1(VALU_DEP_1)
	v_fmac_f32_e32 v3, v4, v3
	v_mul_f32_e32 v4, v5, v3
	s_delay_alu instid0(VALU_DEP_1) | instskip(NEXT) | instid1(VALU_DEP_1)
	v_fma_f32 v6, -v2, v4, v5
	v_fmac_f32_e32 v4, v6, v3
	s_delay_alu instid0(VALU_DEP_1) | instskip(NEXT) | instid1(VALU_DEP_1)
	v_fma_f32 v2, -v2, v4, v5
	v_div_fmas_f32 v2, v2, v3, v4
	s_delay_alu instid0(VALU_DEP_1) | instskip(NEXT) | instid1(VALU_DEP_1)
	v_div_fixup_f32 v1, v2, 0x43e00000, v1
	v_dual_mov_b32 v2, 0 :: v_dual_max_f32 v1, 0x36924925, v1
	ds_store_b32 v2, v1 offset:516
	global_store_b32 v2, v1, s[4:5]
.LBB6_72:
	s_or_b32 exec_lo, exec_lo, s0
	s_waitcnt lgkmcnt(0)
	s_waitcnt_vscnt null, 0x0
	s_barrier
	buffer_gl0_inv
	s_and_saveexec_b32 s0, s2
	s_cbranch_execz .LBB6_177
; %bb.73:
	v_mov_b32_e32 v1, 0
	s_add_u32 s0, s12, s10
	s_addc_u32 s1, s13, s11
	s_mul_i32 s2, s28, 3
	s_lshl_b32 s3, s28, 1
	ds_load_b32 v8, v1 offset:516
	s_mov_b32 s4, 0
	s_mov_b32 s5, 0x43e00000
	s_add_i32 s6, s28, s28
	s_branch .LBB6_79
.LBB6_74:                               ;   in Loop: Header=BB6_79 Depth=1
	s_or_b32 exec_lo, exec_lo, s12
.LBB6_75:                               ;   in Loop: Header=BB6_79 Depth=1
	s_delay_alu instid0(SALU_CYCLE_1)
	s_or_b32 exec_lo, exec_lo, s11
	v_lshrrev_b32_e32 v10, 24, v13
	v_lshrrev_b32_e32 v3, 24, v3
	;; [unrolled: 1-line block ×3, first 2 shown]
	v_lshlrev_b32_e32 v11, 24, v11
	v_and_b32_e32 v9, 0xff, v9
	v_and_b32_e32 v10, 0x80, v10
	v_and_b32_e32 v3, 0x80, v3
	s_delay_alu instid0(VALU_DEP_3) | instskip(NEXT) | instid1(VALU_DEP_3)
	v_and_or_b32 v6, 0x80, v6, v9
	v_and_or_b32 v10, 0xff, v12, v10
	v_and_b32_e32 v12, 0x80000000, v4
	s_delay_alu instid0(VALU_DEP_4) | instskip(SKIP_3) | instid1(VALU_DEP_4)
	v_and_or_b32 v5, 0xff, v5, v3
	v_lshlrev_b64 v[3:4], 2, v[0:1]
	v_add3_u32 v0, s6, s28, v2
	v_lshlrev_b32_e32 v10, 16, v10
	v_lshlrev_b32_e32 v5, 8, v5
	s_delay_alu instid0(VALU_DEP_4) | instskip(NEXT) | instid1(VALU_DEP_3)
	v_add_co_u32 v2, vcc_lo, s0, v3
	v_or3_b32 v9, v12, v11, v10
	v_add_co_ci_u32_e32 v3, vcc_lo, s1, v4, vcc_lo
	v_cmp_le_u32_e32 vcc_lo, s23, v0
	s_delay_alu instid0(VALU_DEP_3)
	v_or3_b32 v4, v9, v5, v6
	s_or_not1_b32 s11, vcc_lo, exec_lo
	global_store_b32 v[2:3], v4, off
.LBB6_76:                               ;   in Loop: Header=BB6_79 Depth=1
	s_or_b32 exec_lo, exec_lo, s10
	s_delay_alu instid0(SALU_CYCLE_1)
	s_or_not1_b32 s10, s11, exec_lo
.LBB6_77:                               ;   in Loop: Header=BB6_79 Depth=1
	s_or_b32 exec_lo, exec_lo, s8
	s_delay_alu instid0(SALU_CYCLE_1)
	s_or_not1_b32 s8, s10, exec_lo
.LBB6_78:                               ;   in Loop: Header=BB6_79 Depth=1
	s_or_b32 exec_lo, exec_lo, s7
	s_delay_alu instid0(SALU_CYCLE_1) | instskip(NEXT) | instid1(SALU_CYCLE_1)
	s_and_b32 s7, exec_lo, s8
	s_or_b32 s4, s7, s4
	s_delay_alu instid0(SALU_CYCLE_1)
	s_and_not1_b32 exec_lo, exec_lo, s4
	s_cbranch_execz .LBB6_177
.LBB6_79:                               ; =>This Inner Loop Header: Depth=1
	v_lshlrev_b64 v[2:3], 3, v[0:1]
	s_mov_b32 s7, exec_lo
	s_delay_alu instid0(VALU_DEP_1) | instskip(NEXT) | instid1(VALU_DEP_2)
	v_add_co_u32 v4, vcc_lo, s9, v2
	v_add_co_ci_u32_e32 v5, vcc_lo, s16, v3, vcc_lo
	v_add_co_u32 v13, vcc_lo, s17, v2
	v_add_co_ci_u32_e32 v14, vcc_lo, s22, v3, vcc_lo
	v_add_co_u32 v2, vcc_lo, s18, v2
	global_load_b64 v[4:5], v[4:5], off
	global_load_b64 v[9:10], v[13:14], off
	v_add_co_ci_u32_e32 v3, vcc_lo, s19, v3, vcc_lo
	global_load_b64 v[2:3], v[2:3], off
	s_waitcnt vmcnt(2)
	v_cvt_f32_f16_e32 v6, v4
	s_waitcnt vmcnt(1)
	v_cvt_f32_f16_e32 v11, v9
	v_lshrrev_b32_e32 v4, 16, v4
	v_lshrrev_b32_e32 v9, 16, v9
	s_delay_alu instid0(VALU_DEP_3) | instskip(NEXT) | instid1(VALU_DEP_3)
	v_add_f32_e32 v6, v6, v11
	v_cvt_f32_f16_e32 v4, v4
	s_delay_alu instid0(VALU_DEP_2) | instskip(SKIP_1) | instid1(VALU_DEP_1)
	v_fma_mixlo_f16 v11, v7, v6, 0
	s_waitcnt vmcnt(0)
	v_mul_f16_e32 v11, v2, v11
	s_delay_alu instid0(VALU_DEP_1) | instskip(SKIP_1) | instid1(VALU_DEP_1)
	v_cvt_f32_f16_e32 v11, v11
	s_waitcnt lgkmcnt(0)
	v_div_scale_f32 v12, null, v8, v8, v11
	v_div_scale_f32 v17, vcc_lo, v11, v8, v11
	s_delay_alu instid0(VALU_DEP_2) | instskip(SKIP_2) | instid1(VALU_DEP_1)
	v_rcp_f32_e32 v15, v12
	s_waitcnt_depctr 0xfff
	v_fma_f32 v16, -v12, v15, 1.0
	v_fmac_f32_e32 v15, v16, v15
	s_delay_alu instid0(VALU_DEP_1) | instskip(NEXT) | instid1(VALU_DEP_1)
	v_mul_f32_e32 v16, v17, v15
	v_fma_f32 v18, -v12, v16, v17
	s_delay_alu instid0(VALU_DEP_1) | instskip(SKIP_2) | instid1(VALU_DEP_3)
	v_fmac_f32_e32 v16, v18, v15
	v_lshrrev_b32_e32 v18, 16, v5
	v_cvt_f32_f16_e32 v5, v5
	v_fma_f32 v12, -v12, v16, v17
	v_lshrrev_b32_e32 v17, 16, v10
	v_cvt_f32_f16_e32 v10, v10
	s_delay_alu instid0(VALU_DEP_1) | instskip(NEXT) | instid1(VALU_DEP_4)
	v_add_f32_e32 v10, v5, v10
	v_div_fmas_f32 v12, v12, v15, v16
	v_cvt_f32_f16_e32 v15, v18
	v_cvt_f32_f16_e32 v16, v17
	;; [unrolled: 1-line block ×3, first 2 shown]
	s_delay_alu instid0(VALU_DEP_4) | instskip(NEXT) | instid1(VALU_DEP_3)
	v_div_fixup_f32 v12, v12, v8, v11
	v_add_f32_e32 v9, v15, v16
	s_delay_alu instid0(VALU_DEP_3) | instskip(SKIP_1) | instid1(VALU_DEP_4)
	v_add_f32_e32 v11, v4, v17
	v_cvt_f16_f32_e32 v6, v6
	v_minmax_f32 v5, v12, s5, 0xc3e00000
	v_cvt_f16_f32_e32 v15, v10
	v_cvt_f16_f32_e32 v16, v9
	;; [unrolled: 1-line block ×3, first 2 shown]
	v_mov_b32_e32 v4, 0x7f
	v_and_b32_e32 v12, 0x7fffffff, v5
	s_delay_alu instid0(VALU_DEP_4) | instskip(NEXT) | instid1(VALU_DEP_4)
	v_pack_b32_f16 v16, v15, v16
	v_pack_b32_f16 v15, v6, v17
	v_mov_b32_e32 v6, 0x7f
	global_store_b64 v[13:14], v[15:16], off
	v_cmpx_gt_u32_e32 0x43f00000, v12
	s_cbranch_execz .LBB6_85
; %bb.80:                               ;   in Loop: Header=BB6_79 Depth=1
	s_mov_b32 s8, exec_lo
                                        ; implicit-def: $vgpr6
	v_cmpx_lt_u32_e32 0x3c7fffff, v12
	s_xor_b32 s8, exec_lo, s8
; %bb.81:                               ;   in Loop: Header=BB6_79 Depth=1
	v_bfe_u32 v6, v5, 20, 1
	s_delay_alu instid0(VALU_DEP_1) | instskip(NEXT) | instid1(VALU_DEP_1)
	v_add3_u32 v6, v5, v6, 0x407ffff
	v_lshrrev_b32_e32 v6, 20, v6
; %bb.82:                               ;   in Loop: Header=BB6_79 Depth=1
	s_and_not1_saveexec_b32 s8, s8
; %bb.83:                               ;   in Loop: Header=BB6_79 Depth=1
	v_add_f32_e64 v6, 0x46800000, |v5|
; %bb.84:                               ;   in Loop: Header=BB6_79 Depth=1
	s_or_b32 exec_lo, exec_lo, s8
.LBB6_85:                               ;   in Loop: Header=BB6_79 Depth=1
	s_delay_alu instid0(SALU_CYCLE_1) | instskip(SKIP_3) | instid1(VALU_DEP_1)
	s_or_b32 exec_lo, exec_lo, s7
	v_lshrrev_b32_e32 v2, 16, v2
	v_fma_mixlo_f16 v11, v7, v11, 0
	s_mov_b32 s7, exec_lo
	v_mul_f16_e32 v2, v2, v11
	s_delay_alu instid0(VALU_DEP_1) | instskip(NEXT) | instid1(VALU_DEP_1)
	v_cvt_f32_f16_e32 v2, v2
	v_div_scale_f32 v11, null, v8, v8, v2
	s_delay_alu instid0(VALU_DEP_1) | instskip(SKIP_2) | instid1(VALU_DEP_1)
	v_rcp_f32_e32 v12, v11
	s_waitcnt_depctr 0xfff
	v_fma_f32 v13, -v11, v12, 1.0
	v_fmac_f32_e32 v12, v13, v12
	v_div_scale_f32 v13, vcc_lo, v2, v8, v2
	s_delay_alu instid0(VALU_DEP_1) | instskip(NEXT) | instid1(VALU_DEP_1)
	v_mul_f32_e32 v14, v13, v12
	v_fma_f32 v15, -v11, v14, v13
	s_delay_alu instid0(VALU_DEP_1) | instskip(NEXT) | instid1(VALU_DEP_1)
	v_fmac_f32_e32 v14, v15, v12
	v_fma_f32 v11, -v11, v14, v13
	s_delay_alu instid0(VALU_DEP_1) | instskip(NEXT) | instid1(VALU_DEP_1)
	v_div_fmas_f32 v11, v11, v12, v14
	v_div_fixup_f32 v2, v11, v8, v2
	s_delay_alu instid0(VALU_DEP_1) | instskip(NEXT) | instid1(VALU_DEP_1)
	v_minmax_f32 v2, v2, s5, 0xc3e00000
	v_and_b32_e32 v11, 0x7fffffff, v2
	s_delay_alu instid0(VALU_DEP_1)
	v_cmpx_gt_u32_e32 0x43f00000, v11
	s_cbranch_execz .LBB6_91
; %bb.86:                               ;   in Loop: Header=BB6_79 Depth=1
	s_mov_b32 s8, exec_lo
                                        ; implicit-def: $vgpr4
	v_cmpx_lt_u32_e32 0x3c7fffff, v11
	s_xor_b32 s8, exec_lo, s8
; %bb.87:                               ;   in Loop: Header=BB6_79 Depth=1
	v_bfe_u32 v4, v2, 20, 1
	s_delay_alu instid0(VALU_DEP_1) | instskip(NEXT) | instid1(VALU_DEP_1)
	v_add3_u32 v4, v2, v4, 0x407ffff
	v_lshrrev_b32_e32 v4, 20, v4
; %bb.88:                               ;   in Loop: Header=BB6_79 Depth=1
	s_and_not1_saveexec_b32 s8, s8
; %bb.89:                               ;   in Loop: Header=BB6_79 Depth=1
	v_add_f32_e64 v4, 0x46800000, |v2|
; %bb.90:                               ;   in Loop: Header=BB6_79 Depth=1
	s_or_b32 exec_lo, exec_lo, s8
.LBB6_91:                               ;   in Loop: Header=BB6_79 Depth=1
	s_delay_alu instid0(SALU_CYCLE_1) | instskip(SKIP_2) | instid1(VALU_DEP_1)
	s_or_b32 exec_lo, exec_lo, s7
	v_fma_mixlo_f16 v10, v7, v10, 0
	s_mov_b32 s7, exec_lo
	v_mul_f16_e32 v10, v3, v10
	s_delay_alu instid0(VALU_DEP_1) | instskip(NEXT) | instid1(VALU_DEP_1)
	v_cvt_f32_f16_e32 v10, v10
	v_div_scale_f32 v11, null, v8, v8, v10
	v_div_scale_f32 v14, vcc_lo, v10, v8, v10
	s_delay_alu instid0(VALU_DEP_2) | instskip(SKIP_2) | instid1(VALU_DEP_1)
	v_rcp_f32_e32 v12, v11
	s_waitcnt_depctr 0xfff
	v_fma_f32 v13, -v11, v12, 1.0
	v_fmac_f32_e32 v12, v13, v12
	s_delay_alu instid0(VALU_DEP_1) | instskip(NEXT) | instid1(VALU_DEP_1)
	v_mul_f32_e32 v13, v14, v12
	v_fma_f32 v15, -v11, v13, v14
	s_delay_alu instid0(VALU_DEP_1) | instskip(NEXT) | instid1(VALU_DEP_1)
	v_fmac_f32_e32 v13, v15, v12
	v_fma_f32 v11, -v11, v13, v14
	s_delay_alu instid0(VALU_DEP_1) | instskip(NEXT) | instid1(VALU_DEP_1)
	v_div_fmas_f32 v11, v11, v12, v13
	v_div_fixup_f32 v10, v11, v8, v10
	v_mov_b32_e32 v11, 0x7f
	s_delay_alu instid0(VALU_DEP_2) | instskip(SKIP_1) | instid1(VALU_DEP_2)
	v_minmax_f32 v12, v10, s5, 0xc3e00000
	v_mov_b32_e32 v10, 0x7f
	v_and_b32_e32 v13, 0x7fffffff, v12
	s_delay_alu instid0(VALU_DEP_1)
	v_cmpx_gt_u32_e32 0x43f00000, v13
	s_cbranch_execz .LBB6_97
; %bb.92:                               ;   in Loop: Header=BB6_79 Depth=1
	s_mov_b32 s8, exec_lo
                                        ; implicit-def: $vgpr11
	v_cmpx_lt_u32_e32 0x3c7fffff, v13
	s_xor_b32 s8, exec_lo, s8
; %bb.93:                               ;   in Loop: Header=BB6_79 Depth=1
	v_bfe_u32 v11, v12, 20, 1
	s_delay_alu instid0(VALU_DEP_1) | instskip(NEXT) | instid1(VALU_DEP_1)
	v_add3_u32 v11, v12, v11, 0x407ffff
	v_lshrrev_b32_e32 v11, 20, v11
; %bb.94:                               ;   in Loop: Header=BB6_79 Depth=1
	s_and_not1_saveexec_b32 s8, s8
; %bb.95:                               ;   in Loop: Header=BB6_79 Depth=1
	v_add_f32_e64 v11, 0x46800000, |v12|
; %bb.96:                               ;   in Loop: Header=BB6_79 Depth=1
	s_or_b32 exec_lo, exec_lo, s8
.LBB6_97:                               ;   in Loop: Header=BB6_79 Depth=1
	s_delay_alu instid0(SALU_CYCLE_1) | instskip(SKIP_3) | instid1(VALU_DEP_1)
	s_or_b32 exec_lo, exec_lo, s7
	v_lshrrev_b32_e32 v3, 16, v3
	v_fma_mixlo_f16 v9, v7, v9, 0
	s_mov_b32 s7, exec_lo
	v_mul_f16_e32 v3, v3, v9
	s_delay_alu instid0(VALU_DEP_1) | instskip(NEXT) | instid1(VALU_DEP_1)
	v_cvt_f32_f16_e32 v3, v3
	v_div_scale_f32 v9, null, v8, v8, v3
	s_delay_alu instid0(VALU_DEP_1) | instskip(SKIP_2) | instid1(VALU_DEP_1)
	v_rcp_f32_e32 v13, v9
	s_waitcnt_depctr 0xfff
	v_fma_f32 v14, -v9, v13, 1.0
	v_fmac_f32_e32 v13, v14, v13
	v_div_scale_f32 v14, vcc_lo, v3, v8, v3
	s_delay_alu instid0(VALU_DEP_1) | instskip(NEXT) | instid1(VALU_DEP_1)
	v_mul_f32_e32 v15, v14, v13
	v_fma_f32 v16, -v9, v15, v14
	s_delay_alu instid0(VALU_DEP_1) | instskip(NEXT) | instid1(VALU_DEP_1)
	v_fmac_f32_e32 v15, v16, v13
	v_fma_f32 v9, -v9, v15, v14
	s_delay_alu instid0(VALU_DEP_1) | instskip(NEXT) | instid1(VALU_DEP_1)
	v_div_fmas_f32 v9, v9, v13, v15
	v_div_fixup_f32 v3, v9, v8, v3
	s_delay_alu instid0(VALU_DEP_1) | instskip(NEXT) | instid1(VALU_DEP_1)
	v_minmax_f32 v3, v3, s5, 0xc3e00000
	v_and_b32_e32 v9, 0x7fffffff, v3
	s_delay_alu instid0(VALU_DEP_1)
	v_cmpx_gt_u32_e32 0x43f00000, v9
	s_cbranch_execz .LBB6_103
; %bb.98:                               ;   in Loop: Header=BB6_79 Depth=1
	s_mov_b32 s8, exec_lo
                                        ; implicit-def: $vgpr10
	v_cmpx_lt_u32_e32 0x3c7fffff, v9
	s_xor_b32 s8, exec_lo, s8
; %bb.99:                               ;   in Loop: Header=BB6_79 Depth=1
	v_bfe_u32 v9, v3, 20, 1
	s_delay_alu instid0(VALU_DEP_1) | instskip(NEXT) | instid1(VALU_DEP_1)
	v_add3_u32 v9, v3, v9, 0x407ffff
	v_lshrrev_b32_e32 v10, 20, v9
; %bb.100:                              ;   in Loop: Header=BB6_79 Depth=1
	s_and_not1_saveexec_b32 s8, s8
; %bb.101:                              ;   in Loop: Header=BB6_79 Depth=1
	v_add_f32_e64 v10, 0x46800000, |v3|
; %bb.102:                              ;   in Loop: Header=BB6_79 Depth=1
	s_or_b32 exec_lo, exec_lo, s8
.LBB6_103:                              ;   in Loop: Header=BB6_79 Depth=1
	s_delay_alu instid0(SALU_CYCLE_1)
	s_or_b32 exec_lo, exec_lo, s7
	v_lshrrev_b32_e32 v9, 24, v12
	v_lshrrev_b32_e32 v2, 24, v2
	;; [unrolled: 1-line block ×3, first 2 shown]
	v_lshlrev_b32_e32 v10, 24, v10
	v_and_b32_e32 v6, 0xff, v6
	v_and_b32_e32 v9, 0x80, v9
	;; [unrolled: 1-line block ×3, first 2 shown]
	s_mov_b32 s8, -1
	s_mov_b32 s7, exec_lo
	v_and_or_b32 v5, 0x80, v5, v6
	v_and_or_b32 v9, 0xff, v11, v9
	v_and_b32_e32 v11, 0x80000000, v3
	v_and_or_b32 v2, 0xff, v4, v2
	v_lshlrev_b64 v[3:4], 2, v[0:1]
	s_delay_alu instid0(VALU_DEP_4) | instskip(NEXT) | instid1(VALU_DEP_3)
	v_lshlrev_b32_e32 v9, 16, v9
	v_lshlrev_b32_e32 v6, 8, v2
	v_add_nc_u32_e32 v2, s28, v0
	s_delay_alu instid0(VALU_DEP_4) | instskip(NEXT) | instid1(VALU_DEP_4)
	v_add_co_u32 v3, vcc_lo, s0, v3
	v_or3_b32 v9, v11, v10, v9
	v_add_co_ci_u32_e32 v4, vcc_lo, s1, v4, vcc_lo
	s_delay_alu instid0(VALU_DEP_2)
	v_or3_b32 v5, v9, v6, v5
	global_store_b32 v[3:4], v5, off
	v_cmpx_gt_u32_e64 s23, v2
	s_cbranch_execz .LBB6_78
; %bb.104:                              ;   in Loop: Header=BB6_79 Depth=1
	v_mov_b32_e32 v3, v1
	s_mov_b32 s8, exec_lo
	s_delay_alu instid0(VALU_DEP_1) | instskip(NEXT) | instid1(VALU_DEP_1)
	v_lshlrev_b64 v[4:5], 3, v[2:3]
	v_add_co_u32 v9, vcc_lo, s9, v4
	s_delay_alu instid0(VALU_DEP_2)
	v_add_co_ci_u32_e32 v10, vcc_lo, s16, v5, vcc_lo
	v_add_co_u32 v15, vcc_lo, s17, v4
	v_add_co_ci_u32_e32 v16, vcc_lo, s22, v5, vcc_lo
	v_add_co_u32 v4, vcc_lo, s18, v4
	global_load_b64 v[9:10], v[9:10], off
	global_load_b64 v[11:12], v[15:16], off
	v_add_co_ci_u32_e32 v5, vcc_lo, s19, v5, vcc_lo
	global_load_b64 v[4:5], v[4:5], off
	s_waitcnt vmcnt(2)
	v_cvt_f32_f16_e32 v6, v9
	s_waitcnt vmcnt(1)
	v_cvt_f32_f16_e32 v13, v11
	v_lshrrev_b32_e32 v9, 16, v9
	v_lshrrev_b32_e32 v11, 16, v11
	s_delay_alu instid0(VALU_DEP_3) | instskip(NEXT) | instid1(VALU_DEP_3)
	v_add_f32_e32 v6, v6, v13
	v_cvt_f32_f16_e32 v9, v9
	s_delay_alu instid0(VALU_DEP_2) | instskip(SKIP_1) | instid1(VALU_DEP_1)
	v_fma_mixlo_f16 v13, v7, v6, 0
	s_waitcnt vmcnt(0)
	v_mul_f16_e32 v13, v4, v13
	s_delay_alu instid0(VALU_DEP_1) | instskip(NEXT) | instid1(VALU_DEP_1)
	v_cvt_f32_f16_e32 v13, v13
	v_div_scale_f32 v14, null, v8, v8, v13
	v_div_scale_f32 v19, vcc_lo, v13, v8, v13
	s_delay_alu instid0(VALU_DEP_2) | instskip(SKIP_2) | instid1(VALU_DEP_1)
	v_rcp_f32_e32 v17, v14
	s_waitcnt_depctr 0xfff
	v_fma_f32 v18, -v14, v17, 1.0
	v_fmac_f32_e32 v17, v18, v17
	s_delay_alu instid0(VALU_DEP_1) | instskip(NEXT) | instid1(VALU_DEP_1)
	v_mul_f32_e32 v18, v19, v17
	v_fma_f32 v20, -v14, v18, v19
	s_delay_alu instid0(VALU_DEP_1) | instskip(SKIP_2) | instid1(VALU_DEP_3)
	v_fmac_f32_e32 v18, v20, v17
	v_lshrrev_b32_e32 v20, 16, v10
	v_cvt_f32_f16_e32 v10, v10
	v_fma_f32 v14, -v14, v18, v19
	v_lshrrev_b32_e32 v19, 16, v12
	v_cvt_f32_f16_e32 v12, v12
	s_delay_alu instid0(VALU_DEP_1)
	v_add_f32_e32 v12, v10, v12
	v_cvt_f16_f32_e32 v10, v6
	v_mov_b32_e32 v6, 0x7f
	v_div_fmas_f32 v14, v14, v17, v18
	v_cvt_f32_f16_e32 v17, v20
	v_cvt_f32_f16_e32 v18, v19
	;; [unrolled: 1-line block ×3, first 2 shown]
	s_delay_alu instid0(VALU_DEP_4) | instskip(NEXT) | instid1(VALU_DEP_3)
	v_div_fixup_f32 v14, v14, v8, v13
	v_add_f32_e32 v11, v17, v18
	s_delay_alu instid0(VALU_DEP_3) | instskip(SKIP_1) | instid1(VALU_DEP_4)
	v_add_f32_e32 v13, v9, v19
	v_cvt_f16_f32_e32 v17, v12
	v_minmax_f32 v9, v14, s5, 0xc3e00000
	s_delay_alu instid0(VALU_DEP_4) | instskip(NEXT) | instid1(VALU_DEP_4)
	v_cvt_f16_f32_e32 v18, v11
	v_cvt_f16_f32_e32 v19, v13
	s_delay_alu instid0(VALU_DEP_3) | instskip(NEXT) | instid1(VALU_DEP_3)
	v_and_b32_e32 v14, 0x7fffffff, v9
	v_pack_b32_f16 v18, v17, v18
	s_delay_alu instid0(VALU_DEP_3)
	v_pack_b32_f16 v17, v10, v19
	v_mov_b32_e32 v10, 0x7f
	global_store_b64 v[15:16], v[17:18], off
	v_cmpx_gt_u32_e32 0x43f00000, v14
	s_cbranch_execz .LBB6_110
; %bb.105:                              ;   in Loop: Header=BB6_79 Depth=1
	s_mov_b32 s10, exec_lo
                                        ; implicit-def: $vgpr10
	v_cmpx_lt_u32_e32 0x3c7fffff, v14
	s_xor_b32 s10, exec_lo, s10
; %bb.106:                              ;   in Loop: Header=BB6_79 Depth=1
	v_bfe_u32 v10, v9, 20, 1
	s_delay_alu instid0(VALU_DEP_1) | instskip(NEXT) | instid1(VALU_DEP_1)
	v_add3_u32 v10, v9, v10, 0x407ffff
	v_lshrrev_b32_e32 v10, 20, v10
; %bb.107:                              ;   in Loop: Header=BB6_79 Depth=1
	s_and_not1_saveexec_b32 s10, s10
; %bb.108:                              ;   in Loop: Header=BB6_79 Depth=1
	v_add_f32_e64 v10, 0x46800000, |v9|
; %bb.109:                              ;   in Loop: Header=BB6_79 Depth=1
	s_or_b32 exec_lo, exec_lo, s10
.LBB6_110:                              ;   in Loop: Header=BB6_79 Depth=1
	s_delay_alu instid0(SALU_CYCLE_1) | instskip(SKIP_3) | instid1(VALU_DEP_1)
	s_or_b32 exec_lo, exec_lo, s8
	v_lshrrev_b32_e32 v4, 16, v4
	v_fma_mixlo_f16 v13, v7, v13, 0
	s_mov_b32 s8, exec_lo
	v_mul_f16_e32 v4, v4, v13
	s_delay_alu instid0(VALU_DEP_1) | instskip(NEXT) | instid1(VALU_DEP_1)
	v_cvt_f32_f16_e32 v4, v4
	v_div_scale_f32 v13, null, v8, v8, v4
	s_delay_alu instid0(VALU_DEP_1) | instskip(SKIP_2) | instid1(VALU_DEP_1)
	v_rcp_f32_e32 v14, v13
	s_waitcnt_depctr 0xfff
	v_fma_f32 v15, -v13, v14, 1.0
	v_fmac_f32_e32 v14, v15, v14
	v_div_scale_f32 v15, vcc_lo, v4, v8, v4
	s_delay_alu instid0(VALU_DEP_1) | instskip(NEXT) | instid1(VALU_DEP_1)
	v_mul_f32_e32 v16, v15, v14
	v_fma_f32 v17, -v13, v16, v15
	s_delay_alu instid0(VALU_DEP_1) | instskip(NEXT) | instid1(VALU_DEP_1)
	v_fmac_f32_e32 v16, v17, v14
	v_fma_f32 v13, -v13, v16, v15
	s_delay_alu instid0(VALU_DEP_1) | instskip(NEXT) | instid1(VALU_DEP_1)
	v_div_fmas_f32 v13, v13, v14, v16
	v_div_fixup_f32 v4, v13, v8, v4
	s_delay_alu instid0(VALU_DEP_1) | instskip(NEXT) | instid1(VALU_DEP_1)
	v_minmax_f32 v4, v4, s5, 0xc3e00000
	v_and_b32_e32 v13, 0x7fffffff, v4
	s_delay_alu instid0(VALU_DEP_1)
	v_cmpx_gt_u32_e32 0x43f00000, v13
	s_cbranch_execz .LBB6_116
; %bb.111:                              ;   in Loop: Header=BB6_79 Depth=1
	s_mov_b32 s10, exec_lo
                                        ; implicit-def: $vgpr6
	v_cmpx_lt_u32_e32 0x3c7fffff, v13
	s_xor_b32 s10, exec_lo, s10
; %bb.112:                              ;   in Loop: Header=BB6_79 Depth=1
	v_bfe_u32 v6, v4, 20, 1
	s_delay_alu instid0(VALU_DEP_1) | instskip(NEXT) | instid1(VALU_DEP_1)
	v_add3_u32 v6, v4, v6, 0x407ffff
	v_lshrrev_b32_e32 v6, 20, v6
; %bb.113:                              ;   in Loop: Header=BB6_79 Depth=1
	s_and_not1_saveexec_b32 s10, s10
; %bb.114:                              ;   in Loop: Header=BB6_79 Depth=1
	v_add_f32_e64 v6, 0x46800000, |v4|
; %bb.115:                              ;   in Loop: Header=BB6_79 Depth=1
	s_or_b32 exec_lo, exec_lo, s10
.LBB6_116:                              ;   in Loop: Header=BB6_79 Depth=1
	s_delay_alu instid0(SALU_CYCLE_1) | instskip(SKIP_2) | instid1(VALU_DEP_1)
	s_or_b32 exec_lo, exec_lo, s8
	v_fma_mixlo_f16 v12, v7, v12, 0
	s_mov_b32 s8, exec_lo
	v_mul_f16_e32 v12, v5, v12
	s_delay_alu instid0(VALU_DEP_1) | instskip(NEXT) | instid1(VALU_DEP_1)
	v_cvt_f32_f16_e32 v12, v12
	v_div_scale_f32 v13, null, v8, v8, v12
	v_div_scale_f32 v16, vcc_lo, v12, v8, v12
	s_delay_alu instid0(VALU_DEP_2) | instskip(SKIP_2) | instid1(VALU_DEP_1)
	v_rcp_f32_e32 v14, v13
	s_waitcnt_depctr 0xfff
	v_fma_f32 v15, -v13, v14, 1.0
	v_fmac_f32_e32 v14, v15, v14
	s_delay_alu instid0(VALU_DEP_1) | instskip(NEXT) | instid1(VALU_DEP_1)
	v_mul_f32_e32 v15, v16, v14
	v_fma_f32 v17, -v13, v15, v16
	s_delay_alu instid0(VALU_DEP_1) | instskip(NEXT) | instid1(VALU_DEP_1)
	v_fmac_f32_e32 v15, v17, v14
	v_fma_f32 v13, -v13, v15, v16
	s_delay_alu instid0(VALU_DEP_1) | instskip(NEXT) | instid1(VALU_DEP_1)
	v_div_fmas_f32 v13, v13, v14, v15
	v_div_fixup_f32 v12, v13, v8, v12
	v_mov_b32_e32 v13, 0x7f
	s_delay_alu instid0(VALU_DEP_2) | instskip(SKIP_1) | instid1(VALU_DEP_2)
	v_minmax_f32 v14, v12, s5, 0xc3e00000
	v_mov_b32_e32 v12, 0x7f
	v_and_b32_e32 v15, 0x7fffffff, v14
	s_delay_alu instid0(VALU_DEP_1)
	v_cmpx_gt_u32_e32 0x43f00000, v15
	s_cbranch_execz .LBB6_122
; %bb.117:                              ;   in Loop: Header=BB6_79 Depth=1
	s_mov_b32 s10, exec_lo
                                        ; implicit-def: $vgpr13
	v_cmpx_lt_u32_e32 0x3c7fffff, v15
	s_xor_b32 s10, exec_lo, s10
; %bb.118:                              ;   in Loop: Header=BB6_79 Depth=1
	v_bfe_u32 v13, v14, 20, 1
	s_delay_alu instid0(VALU_DEP_1) | instskip(NEXT) | instid1(VALU_DEP_1)
	v_add3_u32 v13, v14, v13, 0x407ffff
	v_lshrrev_b32_e32 v13, 20, v13
; %bb.119:                              ;   in Loop: Header=BB6_79 Depth=1
	s_and_not1_saveexec_b32 s10, s10
; %bb.120:                              ;   in Loop: Header=BB6_79 Depth=1
	v_add_f32_e64 v13, 0x46800000, |v14|
; %bb.121:                              ;   in Loop: Header=BB6_79 Depth=1
	s_or_b32 exec_lo, exec_lo, s10
.LBB6_122:                              ;   in Loop: Header=BB6_79 Depth=1
	s_delay_alu instid0(SALU_CYCLE_1) | instskip(SKIP_3) | instid1(VALU_DEP_1)
	s_or_b32 exec_lo, exec_lo, s8
	v_lshrrev_b32_e32 v5, 16, v5
	v_fma_mixlo_f16 v11, v7, v11, 0
	s_mov_b32 s8, exec_lo
	v_mul_f16_e32 v5, v5, v11
	s_delay_alu instid0(VALU_DEP_1) | instskip(NEXT) | instid1(VALU_DEP_1)
	v_cvt_f32_f16_e32 v5, v5
	v_div_scale_f32 v11, null, v8, v8, v5
	s_delay_alu instid0(VALU_DEP_1) | instskip(SKIP_2) | instid1(VALU_DEP_1)
	v_rcp_f32_e32 v15, v11
	s_waitcnt_depctr 0xfff
	v_fma_f32 v16, -v11, v15, 1.0
	v_fmac_f32_e32 v15, v16, v15
	v_div_scale_f32 v16, vcc_lo, v5, v8, v5
	s_delay_alu instid0(VALU_DEP_1) | instskip(NEXT) | instid1(VALU_DEP_1)
	v_mul_f32_e32 v17, v16, v15
	v_fma_f32 v18, -v11, v17, v16
	s_delay_alu instid0(VALU_DEP_1) | instskip(NEXT) | instid1(VALU_DEP_1)
	v_fmac_f32_e32 v17, v18, v15
	v_fma_f32 v11, -v11, v17, v16
	s_delay_alu instid0(VALU_DEP_1) | instskip(NEXT) | instid1(VALU_DEP_1)
	v_div_fmas_f32 v11, v11, v15, v17
	v_div_fixup_f32 v5, v11, v8, v5
	s_delay_alu instid0(VALU_DEP_1) | instskip(NEXT) | instid1(VALU_DEP_1)
	v_minmax_f32 v5, v5, s5, 0xc3e00000
	v_and_b32_e32 v11, 0x7fffffff, v5
	s_delay_alu instid0(VALU_DEP_1)
	v_cmpx_gt_u32_e32 0x43f00000, v11
	s_cbranch_execz .LBB6_128
; %bb.123:                              ;   in Loop: Header=BB6_79 Depth=1
	s_mov_b32 s10, exec_lo
                                        ; implicit-def: $vgpr12
	v_cmpx_lt_u32_e32 0x3c7fffff, v11
	s_xor_b32 s10, exec_lo, s10
; %bb.124:                              ;   in Loop: Header=BB6_79 Depth=1
	v_bfe_u32 v11, v5, 20, 1
	s_delay_alu instid0(VALU_DEP_1) | instskip(NEXT) | instid1(VALU_DEP_1)
	v_add3_u32 v11, v5, v11, 0x407ffff
	v_lshrrev_b32_e32 v12, 20, v11
; %bb.125:                              ;   in Loop: Header=BB6_79 Depth=1
	s_and_not1_saveexec_b32 s10, s10
; %bb.126:                              ;   in Loop: Header=BB6_79 Depth=1
	v_add_f32_e64 v12, 0x46800000, |v5|
; %bb.127:                              ;   in Loop: Header=BB6_79 Depth=1
	s_or_b32 exec_lo, exec_lo, s10
.LBB6_128:                              ;   in Loop: Header=BB6_79 Depth=1
	s_delay_alu instid0(SALU_CYCLE_1)
	s_or_b32 exec_lo, exec_lo, s8
	v_lshrrev_b32_e32 v11, 24, v14
	v_lshrrev_b32_e32 v4, 24, v4
	;; [unrolled: 1-line block ×3, first 2 shown]
	v_lshlrev_b32_e32 v12, 24, v12
	v_and_b32_e32 v10, 0xff, v10
	v_and_b32_e32 v11, 0x80, v11
	;; [unrolled: 1-line block ×3, first 2 shown]
	s_mov_b32 s10, -1
	s_mov_b32 s8, exec_lo
	v_and_or_b32 v9, 0x80, v9, v10
	v_and_or_b32 v11, 0xff, v13, v11
	v_and_b32_e32 v13, 0x80000000, v5
	v_and_or_b32 v6, 0xff, v6, v4
	v_lshlrev_b64 v[4:5], 2, v[2:3]
	v_add_nc_u32_e32 v3, s3, v0
	v_lshlrev_b32_e32 v11, 16, v11
	s_delay_alu instid0(VALU_DEP_4) | instskip(NEXT) | instid1(VALU_DEP_4)
	v_lshlrev_b32_e32 v6, 8, v6
	v_add_co_u32 v4, vcc_lo, s0, v4
	s_delay_alu instid0(VALU_DEP_3) | instskip(SKIP_1) | instid1(VALU_DEP_2)
	v_or3_b32 v10, v13, v12, v11
	v_add_co_ci_u32_e32 v5, vcc_lo, s1, v5, vcc_lo
	v_or3_b32 v6, v10, v6, v9
	global_store_b32 v[4:5], v6, off
	v_cmpx_gt_u32_e64 s23, v3
	s_cbranch_execz .LBB6_77
; %bb.129:                              ;   in Loop: Header=BB6_79 Depth=1
	v_mov_b32_e32 v4, v1
	s_mov_b32 s10, exec_lo
	s_delay_alu instid0(VALU_DEP_1) | instskip(NEXT) | instid1(VALU_DEP_1)
	v_lshlrev_b64 v[5:6], 3, v[3:4]
	v_add_co_u32 v9, vcc_lo, s9, v5
	s_delay_alu instid0(VALU_DEP_2)
	v_add_co_ci_u32_e32 v10, vcc_lo, s16, v6, vcc_lo
	v_add_co_u32 v16, vcc_lo, s17, v5
	v_add_co_ci_u32_e32 v17, vcc_lo, s22, v6, vcc_lo
	v_add_co_u32 v5, vcc_lo, s18, v5
	global_load_b64 v[9:10], v[9:10], off
	global_load_b64 v[11:12], v[16:17], off
	v_add_co_ci_u32_e32 v6, vcc_lo, s19, v6, vcc_lo
	global_load_b64 v[5:6], v[5:6], off
	s_waitcnt vmcnt(2)
	v_cvt_f32_f16_e32 v13, v9
	s_waitcnt vmcnt(1)
	v_cvt_f32_f16_e32 v14, v11
	v_lshrrev_b32_e32 v9, 16, v9
	v_lshrrev_b32_e32 v11, 16, v11
	s_delay_alu instid0(VALU_DEP_3) | instskip(NEXT) | instid1(VALU_DEP_3)
	v_add_f32_e32 v15, v13, v14
	v_cvt_f32_f16_e32 v9, v9
	s_delay_alu instid0(VALU_DEP_3) | instskip(NEXT) | instid1(VALU_DEP_3)
	v_cvt_f32_f16_e32 v11, v11
	v_fma_mixlo_f16 v13, v7, v15, 0
	s_waitcnt vmcnt(0)
	s_delay_alu instid0(VALU_DEP_1) | instskip(NEXT) | instid1(VALU_DEP_1)
	v_mul_f16_e32 v13, v5, v13
	v_cvt_f32_f16_e32 v13, v13
	s_delay_alu instid0(VALU_DEP_1) | instskip(SKIP_1) | instid1(VALU_DEP_2)
	v_div_scale_f32 v14, null, v8, v8, v13
	v_div_scale_f32 v20, vcc_lo, v13, v8, v13
	v_rcp_f32_e32 v18, v14
	s_waitcnt_depctr 0xfff
	v_fma_f32 v19, -v14, v18, 1.0
	s_delay_alu instid0(VALU_DEP_1) | instskip(NEXT) | instid1(VALU_DEP_1)
	v_fmac_f32_e32 v18, v19, v18
	v_mul_f32_e32 v19, v20, v18
	s_delay_alu instid0(VALU_DEP_1) | instskip(NEXT) | instid1(VALU_DEP_1)
	v_fma_f32 v21, -v14, v19, v20
	v_fmac_f32_e32 v19, v21, v18
	v_lshrrev_b32_e32 v21, 16, v10
	v_cvt_f32_f16_e32 v10, v10
	s_delay_alu instid0(VALU_DEP_3) | instskip(SKIP_2) | instid1(VALU_DEP_3)
	v_fma_f32 v14, -v14, v19, v20
	v_lshrrev_b32_e32 v20, 16, v12
	v_cvt_f32_f16_e32 v12, v12
	v_div_fmas_f32 v14, v14, v18, v19
	v_cvt_f32_f16_e32 v18, v21
	s_delay_alu instid0(VALU_DEP_4) | instskip(NEXT) | instid1(VALU_DEP_3)
	v_cvt_f32_f16_e32 v19, v20
	v_div_fixup_f32 v20, v14, v8, v13
	v_add_f32_e32 v13, v10, v12
	s_delay_alu instid0(VALU_DEP_3) | instskip(NEXT) | instid1(VALU_DEP_3)
	v_add_f32_e32 v12, v18, v19
	v_minmax_f32 v10, v20, s5, 0xc3e00000
	v_add_f32_e32 v14, v9, v11
	v_cvt_f16_f32_e32 v11, v15
	v_cvt_f16_f32_e32 v18, v13
	;; [unrolled: 1-line block ×3, first 2 shown]
	v_and_b32_e32 v15, 0x7fffffff, v10
	v_cvt_f16_f32_e32 v20, v14
	v_mov_b32_e32 v9, 0x7f
	s_delay_alu instid0(VALU_DEP_4) | instskip(NEXT) | instid1(VALU_DEP_3)
	v_pack_b32_f16 v19, v18, v19
	v_pack_b32_f16 v18, v11, v20
	v_mov_b32_e32 v11, 0x7f
	global_store_b64 v[16:17], v[18:19], off
	v_cmpx_gt_u32_e32 0x43f00000, v15
	s_cbranch_execz .LBB6_135
; %bb.130:                              ;   in Loop: Header=BB6_79 Depth=1
	s_mov_b32 s11, exec_lo
                                        ; implicit-def: $vgpr11
	v_cmpx_lt_u32_e32 0x3c7fffff, v15
	s_xor_b32 s11, exec_lo, s11
; %bb.131:                              ;   in Loop: Header=BB6_79 Depth=1
	v_bfe_u32 v11, v10, 20, 1
	s_delay_alu instid0(VALU_DEP_1) | instskip(NEXT) | instid1(VALU_DEP_1)
	v_add3_u32 v11, v10, v11, 0x407ffff
	v_lshrrev_b32_e32 v11, 20, v11
; %bb.132:                              ;   in Loop: Header=BB6_79 Depth=1
	s_and_not1_saveexec_b32 s11, s11
; %bb.133:                              ;   in Loop: Header=BB6_79 Depth=1
	v_add_f32_e64 v11, 0x46800000, |v10|
; %bb.134:                              ;   in Loop: Header=BB6_79 Depth=1
	s_or_b32 exec_lo, exec_lo, s11
.LBB6_135:                              ;   in Loop: Header=BB6_79 Depth=1
	s_delay_alu instid0(SALU_CYCLE_1) | instskip(SKIP_3) | instid1(VALU_DEP_1)
	s_or_b32 exec_lo, exec_lo, s10
	v_lshrrev_b32_e32 v5, 16, v5
	v_fma_mixlo_f16 v14, v7, v14, 0
	s_mov_b32 s10, exec_lo
	v_mul_f16_e32 v5, v5, v14
	s_delay_alu instid0(VALU_DEP_1) | instskip(NEXT) | instid1(VALU_DEP_1)
	v_cvt_f32_f16_e32 v5, v5
	v_div_scale_f32 v14, null, v8, v8, v5
	s_delay_alu instid0(VALU_DEP_1) | instskip(SKIP_2) | instid1(VALU_DEP_1)
	v_rcp_f32_e32 v15, v14
	s_waitcnt_depctr 0xfff
	v_fma_f32 v16, -v14, v15, 1.0
	v_fmac_f32_e32 v15, v16, v15
	v_div_scale_f32 v16, vcc_lo, v5, v8, v5
	s_delay_alu instid0(VALU_DEP_1) | instskip(NEXT) | instid1(VALU_DEP_1)
	v_mul_f32_e32 v17, v16, v15
	v_fma_f32 v18, -v14, v17, v16
	s_delay_alu instid0(VALU_DEP_1) | instskip(NEXT) | instid1(VALU_DEP_1)
	v_fmac_f32_e32 v17, v18, v15
	v_fma_f32 v14, -v14, v17, v16
	s_delay_alu instid0(VALU_DEP_1) | instskip(NEXT) | instid1(VALU_DEP_1)
	v_div_fmas_f32 v14, v14, v15, v17
	v_div_fixup_f32 v5, v14, v8, v5
	s_delay_alu instid0(VALU_DEP_1) | instskip(NEXT) | instid1(VALU_DEP_1)
	v_minmax_f32 v5, v5, s5, 0xc3e00000
	v_and_b32_e32 v14, 0x7fffffff, v5
	s_delay_alu instid0(VALU_DEP_1)
	v_cmpx_gt_u32_e32 0x43f00000, v14
	s_cbranch_execz .LBB6_141
; %bb.136:                              ;   in Loop: Header=BB6_79 Depth=1
	s_mov_b32 s11, exec_lo
                                        ; implicit-def: $vgpr9
	v_cmpx_lt_u32_e32 0x3c7fffff, v14
	s_xor_b32 s11, exec_lo, s11
; %bb.137:                              ;   in Loop: Header=BB6_79 Depth=1
	v_bfe_u32 v9, v5, 20, 1
	s_delay_alu instid0(VALU_DEP_1) | instskip(NEXT) | instid1(VALU_DEP_1)
	v_add3_u32 v9, v5, v9, 0x407ffff
	v_lshrrev_b32_e32 v9, 20, v9
; %bb.138:                              ;   in Loop: Header=BB6_79 Depth=1
	s_and_not1_saveexec_b32 s11, s11
; %bb.139:                              ;   in Loop: Header=BB6_79 Depth=1
	v_add_f32_e64 v9, 0x46800000, |v5|
; %bb.140:                              ;   in Loop: Header=BB6_79 Depth=1
	s_or_b32 exec_lo, exec_lo, s11
.LBB6_141:                              ;   in Loop: Header=BB6_79 Depth=1
	s_delay_alu instid0(SALU_CYCLE_1) | instskip(SKIP_2) | instid1(VALU_DEP_1)
	s_or_b32 exec_lo, exec_lo, s10
	v_fma_mixlo_f16 v13, v7, v13, 0
	s_mov_b32 s10, exec_lo
	v_mul_f16_e32 v13, v6, v13
	s_delay_alu instid0(VALU_DEP_1) | instskip(NEXT) | instid1(VALU_DEP_1)
	v_cvt_f32_f16_e32 v13, v13
	v_div_scale_f32 v14, null, v8, v8, v13
	v_div_scale_f32 v17, vcc_lo, v13, v8, v13
	s_delay_alu instid0(VALU_DEP_2) | instskip(SKIP_2) | instid1(VALU_DEP_1)
	v_rcp_f32_e32 v15, v14
	s_waitcnt_depctr 0xfff
	v_fma_f32 v16, -v14, v15, 1.0
	v_fmac_f32_e32 v15, v16, v15
	s_delay_alu instid0(VALU_DEP_1) | instskip(NEXT) | instid1(VALU_DEP_1)
	v_mul_f32_e32 v16, v17, v15
	v_fma_f32 v18, -v14, v16, v17
	s_delay_alu instid0(VALU_DEP_1) | instskip(NEXT) | instid1(VALU_DEP_1)
	v_fmac_f32_e32 v16, v18, v15
	v_fma_f32 v14, -v14, v16, v17
	s_delay_alu instid0(VALU_DEP_1) | instskip(NEXT) | instid1(VALU_DEP_1)
	v_div_fmas_f32 v14, v14, v15, v16
	v_div_fixup_f32 v13, v14, v8, v13
	v_mov_b32_e32 v14, 0x7f
	s_delay_alu instid0(VALU_DEP_2) | instskip(SKIP_1) | instid1(VALU_DEP_2)
	v_minmax_f32 v15, v13, s5, 0xc3e00000
	v_mov_b32_e32 v13, 0x7f
	v_and_b32_e32 v16, 0x7fffffff, v15
	s_delay_alu instid0(VALU_DEP_1)
	v_cmpx_gt_u32_e32 0x43f00000, v16
	s_cbranch_execz .LBB6_147
; %bb.142:                              ;   in Loop: Header=BB6_79 Depth=1
	s_mov_b32 s11, exec_lo
                                        ; implicit-def: $vgpr14
	v_cmpx_lt_u32_e32 0x3c7fffff, v16
	s_xor_b32 s11, exec_lo, s11
; %bb.143:                              ;   in Loop: Header=BB6_79 Depth=1
	v_bfe_u32 v14, v15, 20, 1
	s_delay_alu instid0(VALU_DEP_1) | instskip(NEXT) | instid1(VALU_DEP_1)
	v_add3_u32 v14, v15, v14, 0x407ffff
	v_lshrrev_b32_e32 v14, 20, v14
; %bb.144:                              ;   in Loop: Header=BB6_79 Depth=1
	s_and_not1_saveexec_b32 s11, s11
; %bb.145:                              ;   in Loop: Header=BB6_79 Depth=1
	v_add_f32_e64 v14, 0x46800000, |v15|
; %bb.146:                              ;   in Loop: Header=BB6_79 Depth=1
	s_or_b32 exec_lo, exec_lo, s11
.LBB6_147:                              ;   in Loop: Header=BB6_79 Depth=1
	s_delay_alu instid0(SALU_CYCLE_1) | instskip(SKIP_3) | instid1(VALU_DEP_1)
	s_or_b32 exec_lo, exec_lo, s10
	v_lshrrev_b32_e32 v6, 16, v6
	v_fma_mixlo_f16 v12, v7, v12, 0
	s_mov_b32 s10, exec_lo
	v_mul_f16_e32 v6, v6, v12
	s_delay_alu instid0(VALU_DEP_1) | instskip(NEXT) | instid1(VALU_DEP_1)
	v_cvt_f32_f16_e32 v6, v6
	v_div_scale_f32 v12, null, v8, v8, v6
	s_delay_alu instid0(VALU_DEP_1) | instskip(SKIP_2) | instid1(VALU_DEP_1)
	v_rcp_f32_e32 v16, v12
	s_waitcnt_depctr 0xfff
	v_fma_f32 v17, -v12, v16, 1.0
	v_fmac_f32_e32 v16, v17, v16
	v_div_scale_f32 v17, vcc_lo, v6, v8, v6
	s_delay_alu instid0(VALU_DEP_1) | instskip(NEXT) | instid1(VALU_DEP_1)
	v_mul_f32_e32 v18, v17, v16
	v_fma_f32 v19, -v12, v18, v17
	s_delay_alu instid0(VALU_DEP_1) | instskip(NEXT) | instid1(VALU_DEP_1)
	v_fmac_f32_e32 v18, v19, v16
	v_fma_f32 v12, -v12, v18, v17
	s_delay_alu instid0(VALU_DEP_1) | instskip(NEXT) | instid1(VALU_DEP_1)
	v_div_fmas_f32 v12, v12, v16, v18
	v_div_fixup_f32 v6, v12, v8, v6
	s_delay_alu instid0(VALU_DEP_1) | instskip(NEXT) | instid1(VALU_DEP_1)
	v_minmax_f32 v6, v6, s5, 0xc3e00000
	v_and_b32_e32 v12, 0x7fffffff, v6
	s_delay_alu instid0(VALU_DEP_1)
	v_cmpx_gt_u32_e32 0x43f00000, v12
	s_cbranch_execz .LBB6_153
; %bb.148:                              ;   in Loop: Header=BB6_79 Depth=1
	s_mov_b32 s11, exec_lo
                                        ; implicit-def: $vgpr13
	v_cmpx_lt_u32_e32 0x3c7fffff, v12
	s_xor_b32 s11, exec_lo, s11
; %bb.149:                              ;   in Loop: Header=BB6_79 Depth=1
	v_bfe_u32 v12, v6, 20, 1
	s_delay_alu instid0(VALU_DEP_1) | instskip(NEXT) | instid1(VALU_DEP_1)
	v_add3_u32 v12, v6, v12, 0x407ffff
	v_lshrrev_b32_e32 v13, 20, v12
; %bb.150:                              ;   in Loop: Header=BB6_79 Depth=1
	s_and_not1_saveexec_b32 s11, s11
; %bb.151:                              ;   in Loop: Header=BB6_79 Depth=1
	v_add_f32_e64 v13, 0x46800000, |v6|
; %bb.152:                              ;   in Loop: Header=BB6_79 Depth=1
	s_or_b32 exec_lo, exec_lo, s11
.LBB6_153:                              ;   in Loop: Header=BB6_79 Depth=1
	s_delay_alu instid0(SALU_CYCLE_1)
	s_or_b32 exec_lo, exec_lo, s10
	v_lshrrev_b32_e32 v12, 24, v15
	v_lshrrev_b32_e32 v5, 24, v5
	;; [unrolled: 1-line block ×3, first 2 shown]
	v_lshlrev_b32_e32 v13, 24, v13
	v_and_b32_e32 v6, 0x80000000, v6
	v_and_b32_e32 v12, 0x80, v12
	;; [unrolled: 1-line block ×4, first 2 shown]
	v_lshlrev_b64 v[3:4], 2, v[3:4]
	v_add_nc_u32_e32 v0, s2, v0
	v_and_or_b32 v12, 0xff, v14, v12
	v_and_or_b32 v5, 0xff, v9, v5
	;; [unrolled: 1-line block ×3, first 2 shown]
	s_mov_b32 s11, -1
	v_add_co_u32 v3, vcc_lo, s0, v3
	v_lshlrev_b32_e32 v9, 16, v12
	v_lshlrev_b32_e32 v5, 8, v5
	v_add_co_ci_u32_e32 v4, vcc_lo, s1, v4, vcc_lo
	s_mov_b32 s10, exec_lo
	s_delay_alu instid0(VALU_DEP_3) | instskip(NEXT) | instid1(VALU_DEP_1)
	v_or3_b32 v6, v6, v13, v9
	v_or3_b32 v5, v6, v5, v10
	global_store_b32 v[3:4], v5, off
	v_cmpx_gt_u32_e64 s23, v0
	s_cbranch_execz .LBB6_76
; %bb.154:                              ;   in Loop: Header=BB6_79 Depth=1
	v_lshlrev_b64 v[3:4], 3, v[0:1]
	s_mov_b32 s11, exec_lo
	s_delay_alu instid0(VALU_DEP_1) | instskip(NEXT) | instid1(VALU_DEP_2)
	v_add_co_u32 v5, vcc_lo, s9, v3
	v_add_co_ci_u32_e32 v6, vcc_lo, s16, v4, vcc_lo
	v_add_co_u32 v14, vcc_lo, s17, v3
	v_add_co_ci_u32_e32 v15, vcc_lo, s22, v4, vcc_lo
	v_add_co_u32 v3, vcc_lo, s18, v3
	global_load_b64 v[5:6], v[5:6], off
	global_load_b64 v[9:10], v[14:15], off
	v_add_co_ci_u32_e32 v4, vcc_lo, s19, v4, vcc_lo
	global_load_b64 v[3:4], v[3:4], off
	s_waitcnt vmcnt(2)
	v_cvt_f32_f16_e32 v11, v5
	s_waitcnt vmcnt(1)
	v_cvt_f32_f16_e32 v12, v9
	v_lshrrev_b32_e32 v5, 16, v5
	v_lshrrev_b32_e32 v9, 16, v9
	s_delay_alu instid0(VALU_DEP_3) | instskip(NEXT) | instid1(VALU_DEP_3)
	v_add_f32_e32 v13, v11, v12
	v_cvt_f32_f16_e32 v5, v5
	s_delay_alu instid0(VALU_DEP_3) | instskip(NEXT) | instid1(VALU_DEP_3)
	v_cvt_f32_f16_e32 v9, v9
	v_fma_mixlo_f16 v11, v7, v13, 0
	s_waitcnt vmcnt(0)
	s_delay_alu instid0(VALU_DEP_1) | instskip(NEXT) | instid1(VALU_DEP_1)
	v_mul_f16_e32 v11, v3, v11
	v_cvt_f32_f16_e32 v11, v11
	s_delay_alu instid0(VALU_DEP_1) | instskip(SKIP_1) | instid1(VALU_DEP_2)
	v_div_scale_f32 v12, null, v8, v8, v11
	v_div_scale_f32 v18, vcc_lo, v11, v8, v11
	v_rcp_f32_e32 v16, v12
	s_waitcnt_depctr 0xfff
	v_fma_f32 v17, -v12, v16, 1.0
	s_delay_alu instid0(VALU_DEP_1) | instskip(NEXT) | instid1(VALU_DEP_1)
	v_fmac_f32_e32 v16, v17, v16
	v_mul_f32_e32 v17, v18, v16
	s_delay_alu instid0(VALU_DEP_1) | instskip(NEXT) | instid1(VALU_DEP_1)
	v_fma_f32 v19, -v12, v17, v18
	v_fmac_f32_e32 v17, v19, v16
	v_lshrrev_b32_e32 v19, 16, v6
	v_cvt_f32_f16_e32 v6, v6
	s_delay_alu instid0(VALU_DEP_3) | instskip(SKIP_2) | instid1(VALU_DEP_3)
	v_fma_f32 v12, -v12, v17, v18
	v_lshrrev_b32_e32 v18, 16, v10
	v_cvt_f32_f16_e32 v10, v10
	v_div_fmas_f32 v12, v12, v16, v17
	v_cvt_f32_f16_e32 v16, v19
	s_delay_alu instid0(VALU_DEP_4) | instskip(NEXT) | instid1(VALU_DEP_3)
	v_cvt_f32_f16_e32 v17, v18
	v_div_fixup_f32 v18, v12, v8, v11
	v_dual_add_f32 v12, v5, v9 :: v_dual_add_f32 v11, v6, v10
	s_delay_alu instid0(VALU_DEP_3) | instskip(SKIP_1) | instid1(VALU_DEP_4)
	v_add_f32_e32 v10, v16, v17
	v_cvt_f16_f32_e32 v9, v13
	v_minmax_f32 v6, v18, s5, 0xc3e00000
	s_delay_alu instid0(VALU_DEP_4) | instskip(SKIP_4) | instid1(VALU_DEP_3)
	v_cvt_f16_f32_e32 v18, v12
	v_cvt_f16_f32_e32 v16, v11
	;; [unrolled: 1-line block ×3, first 2 shown]
	v_mov_b32_e32 v5, 0x7f
	v_and_b32_e32 v13, 0x7fffffff, v6
	v_pack_b32_f16 v17, v16, v17
	v_pack_b32_f16 v16, v9, v18
	v_mov_b32_e32 v9, 0x7f
	global_store_b64 v[14:15], v[16:17], off
	v_cmpx_gt_u32_e32 0x43f00000, v13
	s_cbranch_execz .LBB6_160
; %bb.155:                              ;   in Loop: Header=BB6_79 Depth=1
	s_mov_b32 s12, exec_lo
                                        ; implicit-def: $vgpr9
	v_cmpx_lt_u32_e32 0x3c7fffff, v13
	s_xor_b32 s12, exec_lo, s12
; %bb.156:                              ;   in Loop: Header=BB6_79 Depth=1
	v_bfe_u32 v9, v6, 20, 1
	s_delay_alu instid0(VALU_DEP_1) | instskip(NEXT) | instid1(VALU_DEP_1)
	v_add3_u32 v9, v6, v9, 0x407ffff
	v_lshrrev_b32_e32 v9, 20, v9
; %bb.157:                              ;   in Loop: Header=BB6_79 Depth=1
	s_and_not1_saveexec_b32 s12, s12
; %bb.158:                              ;   in Loop: Header=BB6_79 Depth=1
	v_add_f32_e64 v9, 0x46800000, |v6|
; %bb.159:                              ;   in Loop: Header=BB6_79 Depth=1
	s_or_b32 exec_lo, exec_lo, s12
.LBB6_160:                              ;   in Loop: Header=BB6_79 Depth=1
	s_delay_alu instid0(SALU_CYCLE_1) | instskip(SKIP_3) | instid1(VALU_DEP_1)
	s_or_b32 exec_lo, exec_lo, s11
	v_lshrrev_b32_e32 v3, 16, v3
	v_fma_mixlo_f16 v12, v7, v12, 0
	s_mov_b32 s11, exec_lo
	v_mul_f16_e32 v3, v3, v12
	s_delay_alu instid0(VALU_DEP_1) | instskip(NEXT) | instid1(VALU_DEP_1)
	v_cvt_f32_f16_e32 v3, v3
	v_div_scale_f32 v12, null, v8, v8, v3
	s_delay_alu instid0(VALU_DEP_1) | instskip(SKIP_2) | instid1(VALU_DEP_1)
	v_rcp_f32_e32 v13, v12
	s_waitcnt_depctr 0xfff
	v_fma_f32 v14, -v12, v13, 1.0
	v_fmac_f32_e32 v13, v14, v13
	v_div_scale_f32 v14, vcc_lo, v3, v8, v3
	s_delay_alu instid0(VALU_DEP_1) | instskip(NEXT) | instid1(VALU_DEP_1)
	v_mul_f32_e32 v15, v14, v13
	v_fma_f32 v16, -v12, v15, v14
	s_delay_alu instid0(VALU_DEP_1) | instskip(NEXT) | instid1(VALU_DEP_1)
	v_fmac_f32_e32 v15, v16, v13
	v_fma_f32 v12, -v12, v15, v14
	s_delay_alu instid0(VALU_DEP_1) | instskip(NEXT) | instid1(VALU_DEP_1)
	v_div_fmas_f32 v12, v12, v13, v15
	v_div_fixup_f32 v3, v12, v8, v3
	s_delay_alu instid0(VALU_DEP_1) | instskip(NEXT) | instid1(VALU_DEP_1)
	v_minmax_f32 v3, v3, s5, 0xc3e00000
	v_and_b32_e32 v12, 0x7fffffff, v3
	s_delay_alu instid0(VALU_DEP_1)
	v_cmpx_gt_u32_e32 0x43f00000, v12
	s_cbranch_execz .LBB6_166
; %bb.161:                              ;   in Loop: Header=BB6_79 Depth=1
	s_mov_b32 s12, exec_lo
                                        ; implicit-def: $vgpr5
	v_cmpx_lt_u32_e32 0x3c7fffff, v12
	s_xor_b32 s12, exec_lo, s12
; %bb.162:                              ;   in Loop: Header=BB6_79 Depth=1
	v_bfe_u32 v5, v3, 20, 1
	s_delay_alu instid0(VALU_DEP_1) | instskip(NEXT) | instid1(VALU_DEP_1)
	v_add3_u32 v5, v3, v5, 0x407ffff
	v_lshrrev_b32_e32 v5, 20, v5
; %bb.163:                              ;   in Loop: Header=BB6_79 Depth=1
	s_and_not1_saveexec_b32 s12, s12
; %bb.164:                              ;   in Loop: Header=BB6_79 Depth=1
	v_add_f32_e64 v5, 0x46800000, |v3|
; %bb.165:                              ;   in Loop: Header=BB6_79 Depth=1
	s_or_b32 exec_lo, exec_lo, s12
.LBB6_166:                              ;   in Loop: Header=BB6_79 Depth=1
	s_delay_alu instid0(SALU_CYCLE_1) | instskip(SKIP_2) | instid1(VALU_DEP_1)
	s_or_b32 exec_lo, exec_lo, s11
	v_fma_mixlo_f16 v11, v7, v11, 0
	s_mov_b32 s11, exec_lo
	v_mul_f16_e32 v11, v4, v11
	s_delay_alu instid0(VALU_DEP_1) | instskip(NEXT) | instid1(VALU_DEP_1)
	v_cvt_f32_f16_e32 v11, v11
	v_div_scale_f32 v12, null, v8, v8, v11
	v_div_scale_f32 v15, vcc_lo, v11, v8, v11
	s_delay_alu instid0(VALU_DEP_2) | instskip(SKIP_2) | instid1(VALU_DEP_1)
	v_rcp_f32_e32 v13, v12
	s_waitcnt_depctr 0xfff
	v_fma_f32 v14, -v12, v13, 1.0
	v_fmac_f32_e32 v13, v14, v13
	s_delay_alu instid0(VALU_DEP_1) | instskip(NEXT) | instid1(VALU_DEP_1)
	v_mul_f32_e32 v14, v15, v13
	v_fma_f32 v16, -v12, v14, v15
	s_delay_alu instid0(VALU_DEP_1) | instskip(NEXT) | instid1(VALU_DEP_1)
	v_fmac_f32_e32 v14, v16, v13
	v_fma_f32 v12, -v12, v14, v15
	s_delay_alu instid0(VALU_DEP_1) | instskip(NEXT) | instid1(VALU_DEP_1)
	v_div_fmas_f32 v12, v12, v13, v14
	v_div_fixup_f32 v11, v12, v8, v11
	v_mov_b32_e32 v12, 0x7f
	s_delay_alu instid0(VALU_DEP_2) | instskip(SKIP_1) | instid1(VALU_DEP_2)
	v_minmax_f32 v13, v11, s5, 0xc3e00000
	v_mov_b32_e32 v11, 0x7f
	v_and_b32_e32 v14, 0x7fffffff, v13
	s_delay_alu instid0(VALU_DEP_1)
	v_cmpx_gt_u32_e32 0x43f00000, v14
	s_cbranch_execz .LBB6_172
; %bb.167:                              ;   in Loop: Header=BB6_79 Depth=1
	s_mov_b32 s12, exec_lo
                                        ; implicit-def: $vgpr12
	v_cmpx_lt_u32_e32 0x3c7fffff, v14
	s_xor_b32 s12, exec_lo, s12
; %bb.168:                              ;   in Loop: Header=BB6_79 Depth=1
	v_bfe_u32 v12, v13, 20, 1
	s_delay_alu instid0(VALU_DEP_1) | instskip(NEXT) | instid1(VALU_DEP_1)
	v_add3_u32 v12, v13, v12, 0x407ffff
	v_lshrrev_b32_e32 v12, 20, v12
; %bb.169:                              ;   in Loop: Header=BB6_79 Depth=1
	s_and_not1_saveexec_b32 s12, s12
; %bb.170:                              ;   in Loop: Header=BB6_79 Depth=1
	v_add_f32_e64 v12, 0x46800000, |v13|
; %bb.171:                              ;   in Loop: Header=BB6_79 Depth=1
	s_or_b32 exec_lo, exec_lo, s12
.LBB6_172:                              ;   in Loop: Header=BB6_79 Depth=1
	s_delay_alu instid0(SALU_CYCLE_1) | instskip(SKIP_3) | instid1(VALU_DEP_1)
	s_or_b32 exec_lo, exec_lo, s11
	v_lshrrev_b32_e32 v4, 16, v4
	v_fma_mixlo_f16 v10, v7, v10, 0
	s_mov_b32 s11, exec_lo
	v_mul_f16_e32 v4, v4, v10
	s_delay_alu instid0(VALU_DEP_1) | instskip(NEXT) | instid1(VALU_DEP_1)
	v_cvt_f32_f16_e32 v4, v4
	v_div_scale_f32 v10, null, v8, v8, v4
	s_delay_alu instid0(VALU_DEP_1) | instskip(SKIP_2) | instid1(VALU_DEP_1)
	v_rcp_f32_e32 v14, v10
	s_waitcnt_depctr 0xfff
	v_fma_f32 v15, -v10, v14, 1.0
	v_fmac_f32_e32 v14, v15, v14
	v_div_scale_f32 v15, vcc_lo, v4, v8, v4
	s_delay_alu instid0(VALU_DEP_1) | instskip(NEXT) | instid1(VALU_DEP_1)
	v_mul_f32_e32 v16, v15, v14
	v_fma_f32 v17, -v10, v16, v15
	s_delay_alu instid0(VALU_DEP_1) | instskip(NEXT) | instid1(VALU_DEP_1)
	v_fmac_f32_e32 v16, v17, v14
	v_fma_f32 v10, -v10, v16, v15
	s_delay_alu instid0(VALU_DEP_1) | instskip(NEXT) | instid1(VALU_DEP_1)
	v_div_fmas_f32 v10, v10, v14, v16
	v_div_fixup_f32 v4, v10, v8, v4
	s_delay_alu instid0(VALU_DEP_1) | instskip(NEXT) | instid1(VALU_DEP_1)
	v_minmax_f32 v4, v4, s5, 0xc3e00000
	v_and_b32_e32 v10, 0x7fffffff, v4
	s_delay_alu instid0(VALU_DEP_1)
	v_cmpx_gt_u32_e32 0x43f00000, v10
	s_cbranch_execz .LBB6_75
; %bb.173:                              ;   in Loop: Header=BB6_79 Depth=1
	s_mov_b32 s12, exec_lo
                                        ; implicit-def: $vgpr11
	v_cmpx_lt_u32_e32 0x3c7fffff, v10
	s_xor_b32 s12, exec_lo, s12
; %bb.174:                              ;   in Loop: Header=BB6_79 Depth=1
	v_bfe_u32 v10, v4, 20, 1
	s_delay_alu instid0(VALU_DEP_1) | instskip(NEXT) | instid1(VALU_DEP_1)
	v_add3_u32 v10, v4, v10, 0x407ffff
	v_lshrrev_b32_e32 v11, 20, v10
; %bb.175:                              ;   in Loop: Header=BB6_79 Depth=1
	s_and_not1_saveexec_b32 s12, s12
	s_cbranch_execz .LBB6_74
; %bb.176:                              ;   in Loop: Header=BB6_79 Depth=1
	v_add_f32_e64 v11, 0x46800000, |v4|
	s_branch .LBB6_74
.LBB6_177:
	s_nop 0
	s_sendmsg sendmsg(MSG_DEALLOC_VGPRS)
	s_endpgm
	.section	.rodata,"a",@progbits
	.p2align	6, 0x0
	.amdhsa_kernel _ZN4vllm39rms_norm_dynamic_per_token_quant_kernelIN3c104HalfENS1_13Float8_e4m3fnELb1EEEvPT0_PfPKT_S9_PKffiiPS7_
		.amdhsa_group_segment_fixed_size 528
		.amdhsa_private_segment_fixed_size 0
		.amdhsa_kernarg_size 320
		.amdhsa_user_sgpr_count 15
		.amdhsa_user_sgpr_dispatch_ptr 0
		.amdhsa_user_sgpr_queue_ptr 0
		.amdhsa_user_sgpr_kernarg_segment_ptr 1
		.amdhsa_user_sgpr_dispatch_id 0
		.amdhsa_user_sgpr_private_segment_size 0
		.amdhsa_wavefront_size32 1
		.amdhsa_uses_dynamic_stack 0
		.amdhsa_enable_private_segment 0
		.amdhsa_system_sgpr_workgroup_id_x 1
		.amdhsa_system_sgpr_workgroup_id_y 0
		.amdhsa_system_sgpr_workgroup_id_z 0
		.amdhsa_system_sgpr_workgroup_info 0
		.amdhsa_system_vgpr_workitem_id 0
		.amdhsa_next_free_vgpr 27
		.amdhsa_next_free_sgpr 38
		.amdhsa_reserve_vcc 1
		.amdhsa_float_round_mode_32 0
		.amdhsa_float_round_mode_16_64 0
		.amdhsa_float_denorm_mode_32 3
		.amdhsa_float_denorm_mode_16_64 3
		.amdhsa_dx10_clamp 1
		.amdhsa_ieee_mode 1
		.amdhsa_fp16_overflow 0
		.amdhsa_workgroup_processor_mode 1
		.amdhsa_memory_ordered 1
		.amdhsa_forward_progress 0
		.amdhsa_shared_vgpr_count 0
		.amdhsa_exception_fp_ieee_invalid_op 0
		.amdhsa_exception_fp_denorm_src 0
		.amdhsa_exception_fp_ieee_div_zero 0
		.amdhsa_exception_fp_ieee_overflow 0
		.amdhsa_exception_fp_ieee_underflow 0
		.amdhsa_exception_fp_ieee_inexact 0
		.amdhsa_exception_int_div_zero 0
	.end_amdhsa_kernel
	.section	.text._ZN4vllm39rms_norm_dynamic_per_token_quant_kernelIN3c104HalfENS1_13Float8_e4m3fnELb1EEEvPT0_PfPKT_S9_PKffiiPS7_,"axG",@progbits,_ZN4vllm39rms_norm_dynamic_per_token_quant_kernelIN3c104HalfENS1_13Float8_e4m3fnELb1EEEvPT0_PfPKT_S9_PKffiiPS7_,comdat
.Lfunc_end6:
	.size	_ZN4vllm39rms_norm_dynamic_per_token_quant_kernelIN3c104HalfENS1_13Float8_e4m3fnELb1EEEvPT0_PfPKT_S9_PKffiiPS7_, .Lfunc_end6-_ZN4vllm39rms_norm_dynamic_per_token_quant_kernelIN3c104HalfENS1_13Float8_e4m3fnELb1EEEvPT0_PfPKT_S9_PKffiiPS7_
                                        ; -- End function
	.section	.AMDGPU.csdata,"",@progbits
; Kernel info:
; codeLenInByte = 12228
; NumSgprs: 40
; NumVgprs: 27
; ScratchSize: 0
; MemoryBound: 0
; FloatMode: 240
; IeeeMode: 1
; LDSByteSize: 528 bytes/workgroup (compile time only)
; SGPRBlocks: 4
; VGPRBlocks: 3
; NumSGPRsForWavesPerEU: 40
; NumVGPRsForWavesPerEU: 27
; Occupancy: 16
; WaveLimiterHint : 0
; COMPUTE_PGM_RSRC2:SCRATCH_EN: 0
; COMPUTE_PGM_RSRC2:USER_SGPR: 15
; COMPUTE_PGM_RSRC2:TRAP_HANDLER: 0
; COMPUTE_PGM_RSRC2:TGID_X_EN: 1
; COMPUTE_PGM_RSRC2:TGID_Y_EN: 0
; COMPUTE_PGM_RSRC2:TGID_Z_EN: 0
; COMPUTE_PGM_RSRC2:TIDIG_COMP_CNT: 0
	.section	.text._ZN4vllm39rms_norm_dynamic_per_token_quant_kernelIN3c104HalfENS1_15Float8_e4m3fnuzELb1EEEvPT0_PfPKT_S9_PKffiiPS7_,"axG",@progbits,_ZN4vllm39rms_norm_dynamic_per_token_quant_kernelIN3c104HalfENS1_15Float8_e4m3fnuzELb1EEEvPT0_PfPKT_S9_PKffiiPS7_,comdat
	.protected	_ZN4vllm39rms_norm_dynamic_per_token_quant_kernelIN3c104HalfENS1_15Float8_e4m3fnuzELb1EEEvPT0_PfPKT_S9_PKffiiPS7_ ; -- Begin function _ZN4vllm39rms_norm_dynamic_per_token_quant_kernelIN3c104HalfENS1_15Float8_e4m3fnuzELb1EEEvPT0_PfPKT_S9_PKffiiPS7_
	.globl	_ZN4vllm39rms_norm_dynamic_per_token_quant_kernelIN3c104HalfENS1_15Float8_e4m3fnuzELb1EEEvPT0_PfPKT_S9_PKffiiPS7_
	.p2align	8
	.type	_ZN4vllm39rms_norm_dynamic_per_token_quant_kernelIN3c104HalfENS1_15Float8_e4m3fnuzELb1EEEvPT0_PfPKT_S9_PKffiiPS7_,@function
_ZN4vllm39rms_norm_dynamic_per_token_quant_kernelIN3c104HalfENS1_15Float8_e4m3fnuzELb1EEEvPT0_PfPKT_S9_PKffiiPS7_: ; @_ZN4vllm39rms_norm_dynamic_per_token_quant_kernelIN3c104HalfENS1_15Float8_e4m3fnuzELb1EEEvPT0_PfPKT_S9_PKffiiPS7_
; %bb.0:
	s_mov_b32 s24, s15
	s_clause 0x3
	s_load_b128 s[20:23], s[0:1], 0x28
	s_load_b64 s[26:27], s[0:1], 0x20
	s_load_b256 s[12:19], s[0:1], 0x0
	s_load_b64 s[28:29], s[0:1], 0x38
	s_waitcnt lgkmcnt(0)
	s_or_b32 s2, s22, s21
	s_delay_alu instid0(SALU_CYCLE_1) | instskip(NEXT) | instid1(SALU_CYCLE_1)
	s_and_b32 s2, s2, 3
	s_cmp_lg_u32 s2, 0
	s_cbranch_scc0 .LBB7_39
; %bb.1:
	v_cmp_gt_u32_e64 s2, s21, v0
	v_cmp_le_u32_e64 s3, s21, v0
                                        ; implicit-def: $sgpr7
                                        ; implicit-def: $sgpr4_sgpr5
	s_delay_alu instid0(VALU_DEP_1) | instskip(NEXT) | instid1(SALU_CYCLE_1)
	s_and_saveexec_b32 s6, s3
	s_xor_b32 s6, exec_lo, s6
; %bb.2:
	s_add_u32 s4, s0, 64
	s_addc_u32 s5, s1, 0
	s_mov_b32 s7, 0
; %bb.3:
	s_or_saveexec_b32 s6, s6
	v_mov_b32_e32 v1, s4
	v_dual_mov_b32 v5, s7 :: v_dual_mov_b32 v2, s5
	v_mov_b32_e32 v3, s24
	s_xor_b32 exec_lo, exec_lo, s6
	s_cbranch_execz .LBB7_7
; %bb.4:
	s_load_b32 s23, s[0:1], 0x4c
	s_ashr_i32 s5, s22, 31
	s_ashr_i32 s4, s21, 31
	s_mul_hi_u32 s8, s22, s24
	s_mul_i32 s5, s5, s24
	s_mul_i32 s9, s4, s24
	s_add_i32 s5, s8, s5
	s_mul_i32 s4, s22, s24
	s_mul_hi_u32 s7, s21, s24
	s_lshl_b64 s[4:5], s[4:5], 1
	s_add_i32 s11, s7, s9
	s_mul_i32 s10, s21, s24
	s_add_u32 s7, s16, s4
	s_addc_u32 s8, s17, s5
	s_lshl_b64 s[4:5], s[10:11], 1
	v_dual_mov_b32 v2, 0 :: v_dual_mov_b32 v5, 0
	s_add_u32 s9, s28, s4
	v_mov_b32_e32 v1, v0
	s_addc_u32 s10, s29, s5
	s_add_u32 s4, s0, 64
	s_addc_u32 s5, s1, 0
	s_waitcnt lgkmcnt(0)
	s_and_b32 s23, s23, 0xffff
	s_mov_b32 s11, 0
	.p2align	6
.LBB7_5:                                ; =>This Inner Loop Header: Depth=1
	v_lshlrev_b64 v[3:4], 1, v[1:2]
	v_add_nc_u32_e32 v1, s23, v1
	s_delay_alu instid0(VALU_DEP_2) | instskip(NEXT) | instid1(VALU_DEP_3)
	v_add_co_u32 v6, vcc_lo, s7, v3
	v_add_co_ci_u32_e32 v7, vcc_lo, s8, v4, vcc_lo
	v_add_co_u32 v3, vcc_lo, s9, v3
	v_add_co_ci_u32_e32 v4, vcc_lo, s10, v4, vcc_lo
	v_cmp_le_u32_e32 vcc_lo, s21, v1
	global_load_u16 v6, v[6:7], off
	global_load_u16 v3, v[3:4], off
	s_or_b32 s11, vcc_lo, s11
	s_waitcnt vmcnt(1)
	v_cvt_f32_f16_e32 v4, v6
	s_waitcnt vmcnt(0)
	v_cvt_f32_f16_e32 v3, v3
	s_delay_alu instid0(VALU_DEP_1) | instskip(NEXT) | instid1(VALU_DEP_1)
	v_add_f32_e32 v3, v4, v3
	v_fmac_f32_e32 v5, v3, v3
	s_and_not1_b32 exec_lo, exec_lo, s11
	s_cbranch_execnz .LBB7_5
; %bb.6:
	s_or_b32 exec_lo, exec_lo, s11
	v_dual_mov_b32 v1, s4 :: v_dual_mov_b32 v2, s5
	v_mov_b32_e32 v3, s24
.LBB7_7:
	s_or_b32 exec_lo, exec_lo, s6
	global_load_b32 v4, v[1:2], off
	v_and_b32_e32 v14, 0x3e0, v0
	s_waitcnt vmcnt(0)
	v_cmp_lt_u32_e32 vcc_lo, v3, v4
	v_cndmask_b32_e64 v3, 18, 12, vcc_lo
	s_delay_alu instid0(VALU_DEP_1) | instskip(SKIP_3) | instid1(VALU_DEP_1)
	v_add_co_u32 v1, vcc_lo, v1, v3
	v_add_co_ci_u32_e32 v2, vcc_lo, 0, v2, vcc_lo
	global_load_u16 v1, v[1:2], off
	v_mbcnt_lo_u32_b32 v2, -1, 0
	v_cmp_ne_u32_e32 vcc_lo, 31, v2
	v_cmp_eq_u32_e64 s5, 0, v2
	v_add_co_ci_u32_e32 v3, vcc_lo, 0, v2, vcc_lo
	v_cmp_gt_u32_e32 vcc_lo, 30, v2
	s_delay_alu instid0(VALU_DEP_2)
	v_lshlrev_b32_e32 v3, 2, v3
	v_cndmask_b32_e64 v7, 0, 1, vcc_lo
	ds_bpermute_b32 v6, v3, v5
	s_waitcnt lgkmcnt(0)
	v_dual_add_f32 v8, v5, v6 :: v_dual_lshlrev_b32 v7, 1, v7
	v_add_nc_u32_e32 v4, 1, v2
	s_delay_alu instid0(VALU_DEP_2) | instskip(SKIP_2) | instid1(VALU_DEP_1)
	v_add_lshl_u32 v6, v7, v2, 2
	s_waitcnt vmcnt(0)
	v_sub_nc_u32_e64 v15, v1, v14 clamp
	v_cmp_lt_u32_e32 vcc_lo, v4, v15
	v_cndmask_b32_e32 v5, v5, v8, vcc_lo
	v_cmp_gt_u32_e32 vcc_lo, 28, v2
	ds_bpermute_b32 v7, v6, v5
	v_cndmask_b32_e64 v8, 0, 1, vcc_lo
	s_delay_alu instid0(VALU_DEP_1) | instskip(SKIP_1) | instid1(VALU_DEP_1)
	v_lshlrev_b32_e32 v9, 2, v8
	v_add_nc_u32_e32 v8, 2, v2
	v_cmp_lt_u32_e32 vcc_lo, v8, v15
	s_waitcnt lgkmcnt(0)
	v_add_f32_e32 v10, v5, v7
	v_add_lshl_u32 v7, v9, v2, 2
	s_delay_alu instid0(VALU_DEP_2) | instskip(SKIP_3) | instid1(VALU_DEP_1)
	v_cndmask_b32_e32 v5, v5, v10, vcc_lo
	v_cmp_gt_u32_e32 vcc_lo, 24, v2
	ds_bpermute_b32 v9, v7, v5
	v_cndmask_b32_e64 v10, 0, 1, vcc_lo
	v_lshlrev_b32_e32 v11, 3, v10
	v_add_nc_u32_e32 v10, 4, v2
	s_delay_alu instid0(VALU_DEP_1) | instskip(SKIP_3) | instid1(VALU_DEP_2)
	v_cmp_lt_u32_e32 vcc_lo, v10, v15
	s_waitcnt lgkmcnt(0)
	v_add_f32_e32 v12, v5, v9
	v_add_lshl_u32 v9, v11, v2, 2
	v_cndmask_b32_e32 v5, v5, v12, vcc_lo
	v_cmp_gt_u32_e32 vcc_lo, 16, v2
	ds_bpermute_b32 v11, v9, v5
	v_cndmask_b32_e64 v12, 0, 1, vcc_lo
	s_delay_alu instid0(VALU_DEP_1) | instskip(SKIP_1) | instid1(VALU_DEP_1)
	v_lshlrev_b32_e32 v13, 4, v12
	v_add_nc_u32_e32 v12, 8, v2
	v_cmp_lt_u32_e32 vcc_lo, v12, v15
	s_waitcnt lgkmcnt(0)
	v_add_f32_e32 v16, v5, v11
	v_add_lshl_u32 v11, v13, v2, 2
	v_add_nc_u32_e32 v13, 16, v2
	s_delay_alu instid0(VALU_DEP_3) | instskip(NEXT) | instid1(VALU_DEP_2)
	v_cndmask_b32_e32 v5, v5, v16, vcc_lo
	v_cmp_lt_u32_e32 vcc_lo, v13, v15
	ds_bpermute_b32 v16, v11, v5
	s_waitcnt lgkmcnt(0)
	v_add_f32_e32 v16, v5, v16
	s_delay_alu instid0(VALU_DEP_1)
	v_cndmask_b32_e32 v5, v5, v16, vcc_lo
	s_and_saveexec_b32 s4, s5
	s_cbranch_execz .LBB7_9
; %bb.8:
	v_lshrrev_b32_e32 v15, 3, v0
	s_delay_alu instid0(VALU_DEP_1)
	v_and_b32_e32 v15, 0x7c, v15
	ds_store_b32 v15, v5 offset:256
.LBB7_9:
	s_or_b32 exec_lo, exec_lo, s4
	v_cmp_gt_u32_e64 s6, 32, v0
	v_lshlrev_b32_e32 v15, 2, v2
	s_waitcnt lgkmcnt(0)
	s_barrier
	buffer_gl0_inv
	s_and_saveexec_b32 s4, s6
	s_cbranch_execz .LBB7_11
; %bb.10:
	ds_load_b32 v2, v15 offset:256
	v_add_nc_u32_e32 v1, 31, v1
	s_delay_alu instid0(VALU_DEP_1) | instskip(NEXT) | instid1(VALU_DEP_1)
	v_lshrrev_b32_e32 v1, 5, v1
	v_cmp_lt_u32_e32 vcc_lo, v4, v1
	s_waitcnt lgkmcnt(0)
	ds_bpermute_b32 v5, v3, v2
	s_waitcnt lgkmcnt(0)
	v_add_f32_e32 v5, v2, v5
	s_delay_alu instid0(VALU_DEP_1) | instskip(SKIP_4) | instid1(VALU_DEP_1)
	v_cndmask_b32_e32 v2, v2, v5, vcc_lo
	v_cmp_lt_u32_e32 vcc_lo, v8, v1
	ds_bpermute_b32 v5, v6, v2
	s_waitcnt lgkmcnt(0)
	v_add_f32_e32 v5, v2, v5
	v_cndmask_b32_e32 v2, v2, v5, vcc_lo
	v_cmp_lt_u32_e32 vcc_lo, v10, v1
	ds_bpermute_b32 v5, v7, v2
	s_waitcnt lgkmcnt(0)
	v_add_f32_e32 v5, v2, v5
	s_delay_alu instid0(VALU_DEP_1) | instskip(SKIP_4) | instid1(VALU_DEP_1)
	v_cndmask_b32_e32 v2, v2, v5, vcc_lo
	v_cmp_lt_u32_e32 vcc_lo, v12, v1
	ds_bpermute_b32 v5, v9, v2
	s_waitcnt lgkmcnt(0)
	v_add_f32_e32 v5, v2, v5
	v_cndmask_b32_e32 v2, v2, v5, vcc_lo
	v_cmp_lt_u32_e32 vcc_lo, v13, v1
	ds_bpermute_b32 v5, v11, v2
	s_waitcnt lgkmcnt(0)
	v_add_f32_e32 v5, v2, v5
	s_delay_alu instid0(VALU_DEP_1)
	v_cndmask_b32_e32 v5, v2, v5, vcc_lo
.LBB7_11:
	s_or_b32 exec_lo, exec_lo, s4
	v_cmp_eq_u32_e64 s4, 0, v0
	s_mov_b32 s25, 0
	s_delay_alu instid0(VALU_DEP_1)
	s_and_saveexec_b32 s7, s4
	s_cbranch_execz .LBB7_13
; %bb.12:
	v_cvt_f32_i32_e32 v1, s21
	s_delay_alu instid0(VALU_DEP_1) | instskip(SKIP_1) | instid1(VALU_DEP_2)
	v_div_scale_f32 v2, null, v1, v1, v5
	v_div_scale_f32 v18, vcc_lo, v5, v1, v5
	v_rcp_f32_e32 v16, v2
	s_waitcnt_depctr 0xfff
	v_fma_f32 v17, -v2, v16, 1.0
	s_delay_alu instid0(VALU_DEP_1) | instskip(NEXT) | instid1(VALU_DEP_1)
	v_fmac_f32_e32 v16, v17, v16
	v_mul_f32_e32 v17, v18, v16
	s_delay_alu instid0(VALU_DEP_1) | instskip(NEXT) | instid1(VALU_DEP_1)
	v_fma_f32 v19, -v2, v17, v18
	v_fmac_f32_e32 v17, v19, v16
	s_delay_alu instid0(VALU_DEP_1) | instskip(NEXT) | instid1(VALU_DEP_1)
	v_fma_f32 v2, -v2, v17, v18
	v_div_fmas_f32 v2, v2, v16, v17
	s_delay_alu instid0(VALU_DEP_1) | instskip(NEXT) | instid1(VALU_DEP_1)
	v_div_fixup_f32 v1, v2, v1, v5
	v_add_f32_e32 v1, s20, v1
	s_delay_alu instid0(VALU_DEP_1) | instskip(SKIP_1) | instid1(VALU_DEP_2)
	v_mul_f32_e32 v2, 0x4b800000, v1
	v_cmp_gt_f32_e32 vcc_lo, 0x800000, v1
	v_cndmask_b32_e32 v1, v1, v2, vcc_lo
	s_delay_alu instid0(VALU_DEP_1) | instskip(SKIP_2) | instid1(VALU_DEP_1)
	v_rsq_f32_e32 v1, v1
	s_waitcnt_depctr 0xfff
	v_mul_f32_e32 v2, 0x45800000, v1
	v_dual_cndmask_b32 v1, v1, v2 :: v_dual_mov_b32 v2, 0
	ds_store_b32 v2, v1 offset:520
.LBB7_13:
	s_or_b32 exec_lo, exec_lo, s7
	v_mov_b32_e32 v1, 0
	s_waitcnt lgkmcnt(0)
	s_barrier
	buffer_gl0_inv
                                        ; implicit-def: $sgpr7
                                        ; implicit-def: $sgpr8_sgpr9
	ds_load_b32 v5, v1 offset:520
	s_waitcnt lgkmcnt(0)
	s_barrier
	buffer_gl0_inv
	s_and_saveexec_b32 s10, s3
	s_delay_alu instid0(SALU_CYCLE_1)
	s_xor_b32 s3, exec_lo, s10
; %bb.14:
	s_add_u32 s8, s0, 64
	s_addc_u32 s9, s1, 0
	s_mov_b32 s7, 0
; %bb.15:
	s_or_saveexec_b32 s3, s3
	v_dual_mov_b32 v16, s7 :: v_dual_mov_b32 v1, s8
	v_mov_b32_e32 v2, s9
	s_mul_hi_u32 s11, s21, s24
	s_mul_i32 s30, s21, s24
	s_mul_hi_u32 s23, s22, s24
	s_mul_i32 s34, s22, s24
	s_xor_b32 exec_lo, exec_lo, s3
	s_cbranch_execz .LBB7_19
; %bb.16:
	s_load_b32 s36, s[0:1], 0x4c
	s_ashr_i32 s8, s22, 31
	s_ashr_i32 s7, s21, 31
	s_mul_i32 s8, s8, s24
	s_mul_i32 s7, s7, s24
	s_add_i32 s35, s23, s8
	s_add_i32 s31, s11, s7
	s_lshl_b64 s[8:9], s[34:35], 1
	v_dual_mov_b32 v2, 0 :: v_dual_mov_b32 v1, v0
	s_add_u32 s7, s16, s8
	s_addc_u32 s10, s17, s9
	s_lshl_b64 s[8:9], s[30:31], 1
	v_mov_b32_e32 v16, 0
	s_add_u32 s31, s28, s8
	s_addc_u32 s33, s29, s9
	s_add_u32 s8, s0, 64
	s_addc_u32 s9, s1, 0
	s_mov_b32 s35, 0
	s_waitcnt lgkmcnt(0)
	s_and_b32 s36, s36, 0xffff
	.p2align	6
.LBB7_17:                               ; =>This Inner Loop Header: Depth=1
	v_lshlrev_b64 v[17:18], 1, v[1:2]
	s_delay_alu instid0(VALU_DEP_2) | instskip(NEXT) | instid1(VALU_DEP_2)
	v_dual_max_f32 v16, v16, v16 :: v_dual_add_nc_u32 v1, s36, v1
	v_add_co_u32 v19, vcc_lo, s7, v17
	s_delay_alu instid0(VALU_DEP_3)
	v_add_co_ci_u32_e32 v20, vcc_lo, s10, v18, vcc_lo
	v_add_co_u32 v21, vcc_lo, s31, v17
	v_add_co_ci_u32_e32 v22, vcc_lo, s33, v18, vcc_lo
	global_load_u16 v19, v[19:20], off
	global_load_u16 v20, v[21:22], off
	v_add_co_u32 v17, vcc_lo, s18, v17
	v_add_co_ci_u32_e32 v18, vcc_lo, s19, v18, vcc_lo
	v_cmp_le_u32_e32 vcc_lo, s21, v1
	global_load_u16 v17, v[17:18], off
	s_or_b32 s35, vcc_lo, s35
	s_waitcnt vmcnt(2)
	v_cvt_f32_f16_e32 v18, v19
	s_waitcnt vmcnt(1)
	v_cvt_f32_f16_e32 v19, v20
	s_delay_alu instid0(VALU_DEP_1) | instskip(NEXT) | instid1(VALU_DEP_1)
	v_add_f32_e32 v18, v18, v19
	v_fma_mixlo_f16 v18, v5, v18, 0
	s_waitcnt vmcnt(0)
	s_delay_alu instid0(VALU_DEP_1) | instskip(NEXT) | instid1(VALU_DEP_1)
	v_mul_f16_e32 v17, v17, v18
	v_cvt_f32_f16_e64 v17, |v17|
	s_delay_alu instid0(VALU_DEP_1)
	v_max_f32_e32 v16, v16, v17
	s_and_not1_b32 exec_lo, exec_lo, s35
	s_cbranch_execnz .LBB7_17
; %bb.18:
	s_or_b32 exec_lo, exec_lo, s35
	v_dual_mov_b32 v1, s8 :: v_dual_mov_b32 v2, s9
.LBB7_19:
	s_or_b32 exec_lo, exec_lo, s3
	global_load_b32 v17, v[1:2], off
	s_waitcnt vmcnt(0)
	v_cmp_lt_u32_e32 vcc_lo, s24, v17
	v_cndmask_b32_e64 v17, 18, 12, vcc_lo
	s_delay_alu instid0(VALU_DEP_1)
	v_add_co_u32 v1, vcc_lo, v1, v17
	v_add_co_ci_u32_e32 v2, vcc_lo, 0, v2, vcc_lo
	global_load_u16 v1, v[1:2], off
	ds_bpermute_b32 v2, v3, v16
	s_waitcnt lgkmcnt(0)
	v_cmp_lt_f32_e32 vcc_lo, v16, v2
	v_cndmask_b32_e32 v2, v16, v2, vcc_lo
	s_waitcnt vmcnt(0)
	v_sub_nc_u32_e64 v14, v1, v14 clamp
	s_delay_alu instid0(VALU_DEP_1)
	v_cmp_lt_u32_e32 vcc_lo, v4, v14
	v_cmp_lt_u32_e64 s9, v13, v14
	v_cndmask_b32_e32 v2, v16, v2, vcc_lo
	ds_bpermute_b32 v17, v6, v2
	s_waitcnt lgkmcnt(0)
	v_cmp_lt_f32_e64 s3, v2, v17
	s_delay_alu instid0(VALU_DEP_1) | instskip(SKIP_1) | instid1(VALU_DEP_1)
	v_cndmask_b32_e64 v17, v2, v17, s3
	v_cmp_lt_u32_e64 s3, v8, v14
	v_cndmask_b32_e64 v2, v2, v17, s3
	s_or_b32 s3, vcc_lo, s3
	ds_bpermute_b32 v17, v7, v2
	s_waitcnt lgkmcnt(0)
	v_cmp_lt_f32_e64 s7, v2, v17
	s_delay_alu instid0(VALU_DEP_1) | instskip(SKIP_1) | instid1(VALU_DEP_1)
	v_cndmask_b32_e64 v17, v2, v17, s7
	v_cmp_lt_u32_e64 s7, v10, v14
	v_cndmask_b32_e64 v2, v2, v17, s7
	s_or_b32 s3, s7, s3
	ds_bpermute_b32 v17, v9, v2
	s_waitcnt lgkmcnt(0)
	v_cmp_lt_f32_e64 s8, v2, v17
	s_delay_alu instid0(VALU_DEP_1) | instskip(SKIP_1) | instid1(VALU_DEP_1)
	v_cndmask_b32_e64 v17, v2, v17, s8
	v_cmp_lt_u32_e64 s8, v12, v14
	v_cndmask_b32_e64 v2, v2, v17, s8
	s_or_b32 s3, s8, s3
	ds_bpermute_b32 v17, v11, v2
	s_waitcnt lgkmcnt(0)
	v_cmp_lt_f32_e64 s10, v2, v17
	s_delay_alu instid0(VALU_DEP_1) | instskip(SKIP_2) | instid1(VALU_DEP_1)
	s_and_b32 vcc_lo, s9, s10
	v_cndmask_b32_e32 v2, v2, v17, vcc_lo
	s_or_b32 vcc_lo, s9, s3
	v_cndmask_b32_e32 v2, v16, v2, vcc_lo
	s_and_saveexec_b32 s3, s5
	s_cbranch_execz .LBB7_21
; %bb.20:
	v_lshrrev_b32_e32 v14, 3, v0
	s_delay_alu instid0(VALU_DEP_1)
	v_and_b32_e32 v14, 0x7c, v14
	ds_store_b32 v14, v2 offset:384
.LBB7_21:
	s_or_b32 exec_lo, exec_lo, s3
	s_waitcnt lgkmcnt(0)
	s_barrier
	buffer_gl0_inv
	s_and_saveexec_b32 s9, s6
	s_cbranch_execz .LBB7_23
; %bb.22:
	ds_load_b32 v2, v15 offset:384
	v_add_nc_u32_e32 v1, 31, v1
	s_delay_alu instid0(VALU_DEP_1) | instskip(NEXT) | instid1(VALU_DEP_1)
	v_lshrrev_b32_e32 v1, 5, v1
	v_cmp_lt_u32_e64 s7, v13, v1
	s_waitcnt lgkmcnt(0)
	ds_bpermute_b32 v3, v3, v2
	s_waitcnt lgkmcnt(0)
	v_cmp_lt_f32_e32 vcc_lo, v2, v3
	v_cndmask_b32_e32 v3, v2, v3, vcc_lo
	v_cmp_lt_u32_e32 vcc_lo, v4, v1
	s_delay_alu instid0(VALU_DEP_2) | instskip(SKIP_3) | instid1(VALU_DEP_1)
	v_cndmask_b32_e32 v3, v2, v3, vcc_lo
	ds_bpermute_b32 v4, v6, v3
	s_waitcnt lgkmcnt(0)
	v_cmp_lt_f32_e64 s3, v3, v4
	v_cndmask_b32_e64 v4, v3, v4, s3
	v_cmp_lt_u32_e64 s3, v8, v1
	s_delay_alu instid0(VALU_DEP_1) | instskip(SKIP_4) | instid1(VALU_DEP_1)
	v_cndmask_b32_e64 v3, v3, v4, s3
	s_or_b32 s3, vcc_lo, s3
	ds_bpermute_b32 v4, v7, v3
	s_waitcnt lgkmcnt(0)
	v_cmp_lt_f32_e64 s5, v3, v4
	v_cndmask_b32_e64 v4, v3, v4, s5
	v_cmp_lt_u32_e64 s5, v10, v1
	s_delay_alu instid0(VALU_DEP_1) | instskip(SKIP_4) | instid1(VALU_DEP_1)
	v_cndmask_b32_e64 v3, v3, v4, s5
	s_or_b32 s3, s5, s3
	ds_bpermute_b32 v4, v9, v3
	s_waitcnt lgkmcnt(0)
	v_cmp_lt_f32_e64 s6, v3, v4
	v_cndmask_b32_e64 v4, v3, v4, s6
	v_cmp_lt_u32_e64 s6, v12, v1
	s_delay_alu instid0(VALU_DEP_1) | instskip(SKIP_4) | instid1(VALU_DEP_1)
	v_cndmask_b32_e64 v3, v3, v4, s6
	s_or_b32 s3, s6, s3
	ds_bpermute_b32 v4, v11, v3
	s_waitcnt lgkmcnt(0)
	v_cmp_lt_f32_e64 s8, v3, v4
	s_and_b32 vcc_lo, s7, s8
	v_cndmask_b32_e32 v1, v3, v4, vcc_lo
	s_or_b32 vcc_lo, s7, s3
	s_delay_alu instid0(VALU_DEP_1)
	v_cndmask_b32_e32 v2, v2, v1, vcc_lo
.LBB7_23:
	s_or_b32 exec_lo, exec_lo, s9
	s_and_saveexec_b32 s3, s4
	s_cbranch_execz .LBB7_27
; %bb.24:
	s_cmp_eq_u64 s[26:27], 0
	s_cbranch_scc1 .LBB7_26
; %bb.25:
	s_load_b32 s4, s[26:27], 0x0
	v_max_f32_e32 v1, v2, v2
	s_waitcnt lgkmcnt(0)
	v_max_f32_e64 v2, s4, s4
	s_delay_alu instid0(VALU_DEP_1)
	v_min_f32_e32 v2, v1, v2
.LBB7_26:
	s_delay_alu instid0(VALU_DEP_1) | instskip(SKIP_2) | instid1(VALU_DEP_2)
	v_div_scale_f32 v1, null, 0x43600000, 0x43600000, v2
	v_div_scale_f32 v6, vcc_lo, v2, 0x43600000, v2
	s_lshl_b64 s[4:5], s[24:25], 2
	v_rcp_f32_e32 v3, v1
	s_add_u32 s4, s14, s4
	s_addc_u32 s5, s15, s5
	s_waitcnt_depctr 0xfff
	v_fma_f32 v4, -v1, v3, 1.0
	s_delay_alu instid0(VALU_DEP_1) | instskip(NEXT) | instid1(VALU_DEP_1)
	v_fmac_f32_e32 v3, v4, v3
	v_mul_f32_e32 v4, v6, v3
	s_delay_alu instid0(VALU_DEP_1) | instskip(NEXT) | instid1(VALU_DEP_1)
	v_fma_f32 v7, -v1, v4, v6
	v_fmac_f32_e32 v4, v7, v3
	s_delay_alu instid0(VALU_DEP_1) | instskip(NEXT) | instid1(VALU_DEP_1)
	v_fma_f32 v1, -v1, v4, v6
	v_div_fmas_f32 v1, v1, v3, v4
	s_delay_alu instid0(VALU_DEP_1) | instskip(NEXT) | instid1(VALU_DEP_1)
	v_div_fixup_f32 v1, v1, 0x43600000, v2
	v_dual_mov_b32 v2, 0 :: v_dual_max_f32 v1, 0x37124925, v1
	ds_store_b32 v2, v1 offset:524
	global_store_b32 v2, v1, s[4:5]
.LBB7_27:
	s_or_b32 exec_lo, exec_lo, s3
	s_waitcnt lgkmcnt(0)
	s_waitcnt_vscnt null, 0x0
	s_barrier
	buffer_gl0_inv
	s_and_saveexec_b32 s3, s2
	s_cbranch_execz .LBB7_38
; %bb.28:
	v_dual_mov_b32 v2, 0 :: v_dual_mov_b32 v1, v0
	s_load_b32 s2, s[0:1], 0x4c
	s_ashr_i32 s4, s22, 31
	s_ashr_i32 s5, s21, 31
	ds_load_b32 v6, v2 offset:524
	s_mul_i32 s4, s4, s24
	s_mul_i32 s5, s5, s24
	s_add_i32 s35, s23, s4
	s_add_i32 s4, s11, s5
	s_lshl_b64 s[6:7], s[34:35], 1
	s_mov_b32 s8, 0
	s_add_u32 s5, s16, s6
	s_addc_u32 s6, s17, s7
	s_mov_b32 s9, 0x43600000
	s_waitcnt lgkmcnt(0)
	s_and_b32 s7, s2, 0xffff
	s_branch .LBB7_31
.LBB7_29:                               ;   in Loop: Header=BB7_31 Depth=1
	s_or_b32 exec_lo, exec_lo, s11
.LBB7_30:                               ;   in Loop: Header=BB7_31 Depth=1
	s_delay_alu instid0(SALU_CYCLE_1) | instskip(SKIP_2) | instid1(VALU_DEP_1)
	s_or_b32 exec_lo, exec_lo, s2
	v_add_nc_u32_e32 v1, s7, v1
	v_add_co_u32 v3, s2, s12, v3
	v_add_co_ci_u32_e64 v4, s2, s13, v4, s2
	s_delay_alu instid0(VALU_DEP_3) | instskip(SKIP_2) | instid1(SALU_CYCLE_1)
	v_cmp_le_u32_e32 vcc_lo, s21, v1
	global_store_b8 v[3:4], v9, off
	s_or_b32 s8, vcc_lo, s8
	s_and_not1_b32 exec_lo, exec_lo, s8
	s_cbranch_execz .LBB7_38
.LBB7_31:                               ; =>This Inner Loop Header: Depth=1
	v_add_co_u32 v3, s2, s30, v1
	s_delay_alu instid0(VALU_DEP_1) | instskip(SKIP_2) | instid1(VALU_DEP_2)
	v_add_co_ci_u32_e64 v4, null, s4, 0, s2
	v_lshlrev_b64 v[7:8], 1, v[1:2]
	s_mov_b32 s2, exec_lo
	v_lshlrev_b64 v[9:10], 1, v[3:4]
	s_delay_alu instid0(VALU_DEP_2) | instskip(NEXT) | instid1(VALU_DEP_3)
	v_add_co_u32 v11, vcc_lo, s5, v7
	v_add_co_ci_u32_e32 v12, vcc_lo, s6, v8, vcc_lo
	s_delay_alu instid0(VALU_DEP_3) | instskip(NEXT) | instid1(VALU_DEP_4)
	v_add_co_u32 v13, vcc_lo, s28, v9
	v_add_co_ci_u32_e32 v14, vcc_lo, s29, v10, vcc_lo
	v_add_co_u32 v7, vcc_lo, s18, v7
	global_load_u16 v9, v[11:12], off
	global_load_u16 v10, v[13:14], off
	v_add_co_ci_u32_e32 v8, vcc_lo, s19, v8, vcc_lo
	global_load_u16 v7, v[7:8], off
	s_waitcnt vmcnt(2)
	v_cvt_f32_f16_e32 v8, v9
	s_waitcnt vmcnt(1)
	v_cvt_f32_f16_e32 v9, v10
	s_delay_alu instid0(VALU_DEP_1) | instskip(NEXT) | instid1(VALU_DEP_1)
	v_add_f32_e32 v9, v8, v9
	v_fma_mixlo_f16 v8, v5, v9, 0
	s_waitcnt vmcnt(0)
	s_delay_alu instid0(VALU_DEP_1) | instskip(NEXT) | instid1(VALU_DEP_1)
	v_mul_f16_e32 v7, v7, v8
	v_cvt_f32_f16_e32 v7, v7
	s_delay_alu instid0(VALU_DEP_1) | instskip(SKIP_1) | instid1(VALU_DEP_2)
	v_div_scale_f32 v8, null, v6, v6, v7
	v_div_scale_f32 v12, vcc_lo, v7, v6, v7
	v_rcp_f32_e32 v10, v8
	s_waitcnt_depctr 0xfff
	v_fma_f32 v11, -v8, v10, 1.0
	s_delay_alu instid0(VALU_DEP_1) | instskip(NEXT) | instid1(VALU_DEP_1)
	v_fmac_f32_e32 v10, v11, v10
	v_mul_f32_e32 v11, v12, v10
	s_delay_alu instid0(VALU_DEP_1) | instskip(NEXT) | instid1(VALU_DEP_1)
	v_fma_f32 v15, -v8, v11, v12
	v_fmac_f32_e32 v11, v15, v10
	s_delay_alu instid0(VALU_DEP_1) | instskip(NEXT) | instid1(VALU_DEP_1)
	v_fma_f32 v8, -v8, v11, v12
	v_div_fmas_f32 v8, v8, v10, v11
	v_cvt_f16_f32_e32 v10, v9
	v_mov_b32_e32 v9, 0x80
	s_delay_alu instid0(VALU_DEP_3) | instskip(SKIP_2) | instid1(VALU_DEP_1)
	v_div_fixup_f32 v7, v8, v6, v7
	global_store_b16 v[13:14], v10, off
	v_minmax_f32 v7, v7, s9, 0xc3600000
	v_and_b32_e32 v8, 0x7fffffff, v7
	s_delay_alu instid0(VALU_DEP_1)
	v_cmpx_gt_u32_e32 0x43800000, v8
	s_cbranch_execz .LBB7_30
; %bb.32:                               ;   in Loop: Header=BB7_31 Depth=1
	v_cmp_lt_u32_e32 vcc_lo, 0x3bffffff, v8
	s_mov_b32 s10, 0
                                        ; implicit-def: $vgpr8
	s_and_saveexec_b32 s11, vcc_lo
	s_delay_alu instid0(SALU_CYCLE_1)
	s_xor_b32 s11, exec_lo, s11
	s_cbranch_execnz .LBB7_35
; %bb.33:                               ;   in Loop: Header=BB7_31 Depth=1
	s_or_saveexec_b32 s11, s11
                                        ; implicit-def: $sgpr23
	s_delay_alu instid0(SALU_CYCLE_1)
	s_xor_b32 exec_lo, exec_lo, s11
	s_cbranch_execnz .LBB7_36
.LBB7_34:                               ;   in Loop: Header=BB7_31 Depth=1
	s_or_b32 exec_lo, exec_lo, s11
	v_mov_b32_e32 v9, s23
	s_and_saveexec_b32 s11, s10
	s_cbranch_execz .LBB7_29
	s_branch .LBB7_37
.LBB7_35:                               ;   in Loop: Header=BB7_31 Depth=1
	v_bfe_u32 v8, v7, 20, 1
	s_mov_b32 s10, exec_lo
	s_delay_alu instid0(VALU_DEP_1) | instskip(NEXT) | instid1(VALU_DEP_1)
	v_add3_u32 v8, v7, v8, 0x487ffff
	v_lshrrev_b32_e32 v8, 20, v8
	s_or_saveexec_b32 s11, s11
                                        ; implicit-def: $sgpr23
	s_delay_alu instid0(SALU_CYCLE_1)
	s_xor_b32 exec_lo, exec_lo, s11
	s_cbranch_execz .LBB7_34
.LBB7_36:                               ;   in Loop: Header=BB7_31 Depth=1
	v_add_f32_e64 v8, 0x46000000, |v7|
	s_and_not1_b32 s10, s10, exec_lo
	s_mov_b32 s23, 0
	s_delay_alu instid0(VALU_DEP_1) | instskip(NEXT) | instid1(VALU_DEP_1)
	v_and_b32_e32 v8, 0xff, v8
	v_cmp_ne_u32_e32 vcc_lo, 0, v8
	s_and_b32 s25, vcc_lo, exec_lo
	s_delay_alu instid0(SALU_CYCLE_1)
	s_or_b32 s10, s10, s25
	s_or_b32 exec_lo, exec_lo, s11
	v_mov_b32_e32 v9, s23
	s_and_saveexec_b32 s11, s10
	s_cbranch_execz .LBB7_29
.LBB7_37:                               ;   in Loop: Header=BB7_31 Depth=1
	v_lshrrev_b32_e32 v7, 24, v7
	s_delay_alu instid0(VALU_DEP_1)
	v_and_or_b32 v9, 0x80, v7, v8
	s_branch .LBB7_29
.LBB7_38:
	s_or_b32 exec_lo, exec_lo, s3
	s_branch .LBB7_211
.LBB7_39:
	s_cbranch_execz .LBB7_211
; %bb.40:
	s_ashr_i32 s2, s22, 31
	s_mul_hi_u32 s3, s22, s24
	s_mul_i32 s2, s2, s24
	s_ashr_i32 s4, s21, 31
	s_add_i32 s5, s3, s2
	s_load_b32 s3, s[0:1], 0x40
	s_mul_i32 s6, s4, s24
	s_mul_i32 s4, s22, s24
	s_mul_hi_u32 s2, s21, s24
	s_lshl_b64 s[4:5], s[4:5], 1
	s_add_i32 s11, s2, s6
	s_mul_i32 s10, s21, s24
	s_add_u32 s9, s16, s4
	s_addc_u32 s16, s17, s5
	s_lshl_b64 s[4:5], s[10:11], 1
	v_mov_b32_e32 v7, 0
	s_add_u32 s17, s28, s4
	s_addc_u32 s22, s29, s5
	s_ashr_i32 s23, s21, 2
	s_add_u32 s0, s0, 64
	v_cmp_gt_u32_e64 s2, s23, v0
	s_mov_b32 s25, 0
	s_addc_u32 s1, s1, 0
	s_delay_alu instid0(VALU_DEP_1)
	s_and_saveexec_b32 s4, s2
	s_cbranch_execz .LBB7_50
; %bb.41:
	s_waitcnt lgkmcnt(0)
	s_cmp_lt_u32 s24, s3
	v_mov_b32_e32 v2, 0
	s_cselect_b32 s5, 12, 18
	v_mov_b32_e32 v1, v0
	s_add_u32 s6, s0, s5
	s_addc_u32 s7, s1, 0
	s_mov_b32 s5, s25
	global_load_u16 v6, v2, s[6:7]
                                        ; implicit-def: $sgpr6
	s_waitcnt vmcnt(0)
	v_lshlrev_b32_e32 v9, 1, v6
	v_mul_lo_u32 v8, v6, 3
	v_add_nc_u32_e32 v10, v6, v6
	v_mov_b32_e32 v7, v2
	s_branch .LBB7_45
.LBB7_42:                               ;   in Loop: Header=BB7_45 Depth=1
	s_or_b32 exec_lo, exec_lo, s28
	s_delay_alu instid0(SALU_CYCLE_1)
	s_or_not1_b32 s28, s29, exec_lo
.LBB7_43:                               ;   in Loop: Header=BB7_45 Depth=1
	s_or_b32 exec_lo, exec_lo, s8
	s_delay_alu instid0(SALU_CYCLE_1) | instskip(SKIP_1) | instid1(SALU_CYCLE_1)
	s_and_not1_b32 s6, s6, exec_lo
	s_and_b32 s8, s28, exec_lo
	s_or_b32 s6, s6, s8
.LBB7_44:                               ;   in Loop: Header=BB7_45 Depth=1
	s_or_b32 exec_lo, exec_lo, s7
	s_delay_alu instid0(SALU_CYCLE_1) | instskip(NEXT) | instid1(SALU_CYCLE_1)
	s_and_b32 s7, exec_lo, s6
	s_or_b32 s5, s7, s5
	s_delay_alu instid0(SALU_CYCLE_1)
	s_and_not1_b32 exec_lo, exec_lo, s5
	s_cbranch_execz .LBB7_49
.LBB7_45:                               ; =>This Inner Loop Header: Depth=1
	v_lshlrev_b64 v[3:4], 3, v[1:2]
	s_or_b32 s6, s6, exec_lo
	s_mov_b32 s7, exec_lo
	s_delay_alu instid0(VALU_DEP_1) | instskip(NEXT) | instid1(VALU_DEP_2)
	v_add_co_u32 v11, vcc_lo, s9, v3
	v_add_co_ci_u32_e32 v12, vcc_lo, s16, v4, vcc_lo
	v_add_co_u32 v3, vcc_lo, s17, v3
	v_add_co_ci_u32_e32 v4, vcc_lo, s22, v4, vcc_lo
	global_load_b64 v[11:12], v[11:12], off
	global_load_b64 v[3:4], v[3:4], off
	s_waitcnt vmcnt(1)
	v_lshrrev_b32_e32 v5, 16, v11
	v_cvt_f32_f16_e32 v11, v11
	s_waitcnt vmcnt(0)
	v_lshrrev_b32_e32 v13, 16, v3
	v_cvt_f32_f16_e32 v3, v3
	v_lshrrev_b32_e32 v14, 16, v12
	v_cvt_f32_f16_e32 v5, v5
	s_delay_alu instid0(VALU_DEP_4) | instskip(NEXT) | instid1(VALU_DEP_4)
	v_cvt_f32_f16_e32 v13, v13
	v_add_f32_e32 v3, v11, v3
	v_cvt_f32_f16_e32 v11, v12
	v_lshrrev_b32_e32 v12, 16, v4
	v_cvt_f32_f16_e32 v4, v4
	v_add_f32_e32 v5, v5, v13
	v_fmac_f32_e32 v7, v3, v3
	v_cvt_f32_f16_e32 v3, v14
	s_delay_alu instid0(VALU_DEP_4) | instskip(SKIP_1) | instid1(VALU_DEP_4)
	v_add_f32_e32 v4, v11, v4
	v_cvt_f32_f16_e32 v11, v12
	v_fmac_f32_e32 v7, v5, v5
	s_delay_alu instid0(VALU_DEP_2) | instskip(NEXT) | instid1(VALU_DEP_2)
	v_add_f32_e32 v5, v3, v11
	v_fmac_f32_e32 v7, v4, v4
	v_add_nc_u32_e32 v3, v1, v6
	s_delay_alu instid0(VALU_DEP_2) | instskip(NEXT) | instid1(VALU_DEP_2)
	v_fmac_f32_e32 v7, v5, v5
	v_cmpx_gt_u32_e64 s23, v3
	s_cbranch_execz .LBB7_44
; %bb.46:                               ;   in Loop: Header=BB7_45 Depth=1
	v_mov_b32_e32 v4, v2
	s_mov_b32 s28, -1
	s_mov_b32 s8, exec_lo
	s_delay_alu instid0(VALU_DEP_1) | instskip(NEXT) | instid1(VALU_DEP_1)
	v_lshlrev_b64 v[4:5], 3, v[3:4]
	v_add_co_u32 v11, vcc_lo, s9, v4
	s_delay_alu instid0(VALU_DEP_2)
	v_add_co_ci_u32_e32 v12, vcc_lo, s16, v5, vcc_lo
	v_add_co_u32 v4, vcc_lo, s17, v4
	v_add_co_ci_u32_e32 v5, vcc_lo, s22, v5, vcc_lo
	global_load_b64 v[11:12], v[11:12], off
	global_load_b64 v[4:5], v[4:5], off
	s_waitcnt vmcnt(1)
	v_lshrrev_b32_e32 v13, 16, v11
	s_waitcnt vmcnt(0)
	v_lshrrev_b32_e32 v14, 16, v4
	v_cvt_f32_f16_e32 v11, v11
	v_cvt_f32_f16_e32 v4, v4
	v_lshrrev_b32_e32 v15, 16, v12
	v_cvt_f32_f16_e32 v13, v13
	v_cvt_f32_f16_e32 v14, v14
	s_delay_alu instid0(VALU_DEP_1) | instskip(SKIP_3) | instid1(VALU_DEP_4)
	v_dual_add_f32 v13, v13, v14 :: v_dual_add_f32 v4, v11, v4
	v_cvt_f32_f16_e32 v11, v12
	v_lshrrev_b32_e32 v12, 16, v5
	v_cvt_f32_f16_e32 v5, v5
	v_fmac_f32_e32 v7, v4, v4
	v_cvt_f32_f16_e32 v4, v15
	s_delay_alu instid0(VALU_DEP_3) | instskip(SKIP_1) | instid1(VALU_DEP_1)
	v_add_f32_e32 v5, v11, v5
	v_cvt_f32_f16_e32 v11, v12
	v_dual_add_f32 v11, v4, v11 :: v_dual_add_nc_u32 v4, v9, v1
	v_fmac_f32_e32 v7, v13, v13
	s_delay_alu instid0(VALU_DEP_1) | instskip(NEXT) | instid1(VALU_DEP_1)
	v_fmac_f32_e32 v7, v5, v5
	v_fmac_f32_e32 v7, v11, v11
	s_delay_alu instid0(VALU_DEP_4)
	v_cmpx_gt_u32_e64 s23, v4
	s_cbranch_execz .LBB7_43
; %bb.47:                               ;   in Loop: Header=BB7_45 Depth=1
	v_mov_b32_e32 v5, v2
	v_add_nc_u32_e32 v1, v8, v1
	s_mov_b32 s29, -1
	s_mov_b32 s28, exec_lo
	s_delay_alu instid0(VALU_DEP_2) | instskip(NEXT) | instid1(VALU_DEP_1)
	v_lshlrev_b64 v[4:5], 3, v[4:5]
	v_add_co_u32 v11, vcc_lo, s9, v4
	s_delay_alu instid0(VALU_DEP_2)
	v_add_co_ci_u32_e32 v12, vcc_lo, s16, v5, vcc_lo
	v_add_co_u32 v4, vcc_lo, s17, v4
	v_add_co_ci_u32_e32 v5, vcc_lo, s22, v5, vcc_lo
	global_load_b64 v[11:12], v[11:12], off
	global_load_b64 v[4:5], v[4:5], off
	s_waitcnt vmcnt(1)
	v_lshrrev_b32_e32 v13, 16, v11
	v_cvt_f32_f16_e32 v11, v11
	s_waitcnt vmcnt(0)
	v_lshrrev_b32_e32 v14, 16, v4
	v_cvt_f32_f16_e32 v4, v4
	v_lshrrev_b32_e32 v15, 16, v12
	v_cvt_f32_f16_e32 v13, v13
	s_delay_alu instid0(VALU_DEP_4) | instskip(NEXT) | instid1(VALU_DEP_4)
	v_cvt_f32_f16_e32 v14, v14
	v_add_f32_e32 v4, v11, v4
	v_cvt_f32_f16_e32 v11, v12
	v_lshrrev_b32_e32 v12, 16, v5
	v_cvt_f32_f16_e32 v5, v5
	s_delay_alu instid0(VALU_DEP_4) | instskip(SKIP_1) | instid1(VALU_DEP_3)
	v_fmac_f32_e32 v7, v4, v4
	v_cvt_f32_f16_e32 v4, v15
	v_add_f32_e32 v5, v11, v5
	v_cvt_f32_f16_e32 v11, v12
	s_delay_alu instid0(VALU_DEP_1) | instskip(NEXT) | instid1(VALU_DEP_1)
	v_dual_add_f32 v13, v13, v14 :: v_dual_add_f32 v4, v4, v11
	v_fmac_f32_e32 v7, v13, v13
	s_delay_alu instid0(VALU_DEP_1) | instskip(NEXT) | instid1(VALU_DEP_1)
	v_fmac_f32_e32 v7, v5, v5
	v_fmac_f32_e32 v7, v4, v4
	v_cmpx_gt_u32_e64 s23, v1
	s_xor_b32 s28, exec_lo, s28
	s_cbranch_execz .LBB7_42
; %bb.48:                               ;   in Loop: Header=BB7_45 Depth=1
	v_lshlrev_b64 v[4:5], 3, v[1:2]
	s_delay_alu instid0(VALU_DEP_1) | instskip(NEXT) | instid1(VALU_DEP_2)
	v_add_co_u32 v11, vcc_lo, s9, v4
	v_add_co_ci_u32_e32 v12, vcc_lo, s16, v5, vcc_lo
	v_add_co_u32 v4, vcc_lo, s17, v4
	v_add_co_ci_u32_e32 v5, vcc_lo, s22, v5, vcc_lo
	global_load_b64 v[11:12], v[11:12], off
	global_load_b64 v[4:5], v[4:5], off
	s_waitcnt vmcnt(1)
	v_lshrrev_b32_e32 v1, 16, v11
	v_cvt_f32_f16_e32 v11, v11
	s_waitcnt vmcnt(0)
	v_lshrrev_b32_e32 v13, 16, v4
	v_cvt_f32_f16_e32 v4, v4
	v_lshrrev_b32_e32 v14, 16, v12
	v_cvt_f32_f16_e32 v1, v1
	s_delay_alu instid0(VALU_DEP_4) | instskip(NEXT) | instid1(VALU_DEP_4)
	v_cvt_f32_f16_e32 v13, v13
	v_add_f32_e32 v4, v11, v4
	v_cvt_f32_f16_e32 v11, v12
	v_lshrrev_b32_e32 v12, 16, v5
	v_cvt_f32_f16_e32 v5, v5
	v_add_f32_e32 v1, v1, v13
	v_fmac_f32_e32 v7, v4, v4
	v_cvt_f32_f16_e32 v4, v14
	s_delay_alu instid0(VALU_DEP_4) | instskip(SKIP_1) | instid1(VALU_DEP_4)
	v_add_f32_e32 v5, v11, v5
	v_cvt_f32_f16_e32 v11, v12
	v_fmac_f32_e32 v7, v1, v1
	v_add3_u32 v1, v10, v6, v3
	s_delay_alu instid0(VALU_DEP_3) | instskip(NEXT) | instid1(VALU_DEP_3)
	v_add_f32_e32 v3, v4, v11
	v_fmac_f32_e32 v7, v5, v5
	s_delay_alu instid0(VALU_DEP_3) | instskip(NEXT) | instid1(VALU_DEP_2)
	v_cmp_le_u32_e32 vcc_lo, s23, v1
	v_fmac_f32_e32 v7, v3, v3
	s_or_not1_b32 s29, vcc_lo, exec_lo
	s_branch .LBB7_42
.LBB7_49:
	s_or_b32 exec_lo, exec_lo, s5
.LBB7_50:
	s_delay_alu instid0(SALU_CYCLE_1)
	s_or_b32 exec_lo, exec_lo, s4
	v_mbcnt_lo_u32_b32 v6, -1, 0
	s_waitcnt lgkmcnt(0)
	s_cmp_lt_u32 s24, s3
	v_and_b32_e32 v4, 0x3e0, v0
	s_cselect_b32 s3, 12, 18
	s_delay_alu instid0(SALU_CYCLE_1)
	s_add_u32 s0, s0, s3
	v_cmp_ne_u32_e32 vcc_lo, 31, v6
	s_addc_u32 s1, s1, 0
	v_add_nc_u32_e32 v9, 1, v6
	v_add_nc_u32_e32 v12, 2, v6
	v_add_nc_u32_e32 v14, 4, v6
	v_add_co_ci_u32_e32 v2, vcc_lo, 0, v6, vcc_lo
	v_mov_b32_e32 v1, 0
	v_cmp_gt_u32_e32 vcc_lo, 30, v6
	v_add_nc_u32_e32 v16, 8, v6
	s_delay_alu instid0(VALU_DEP_4)
	v_lshlrev_b32_e32 v8, 2, v2
	v_add_nc_u32_e32 v17, 16, v6
	global_load_u16 v1, v1, s[0:1]
	v_cndmask_b32_e64 v3, 0, 1, vcc_lo
	v_cmp_gt_u32_e32 vcc_lo, 28, v6
	ds_bpermute_b32 v2, v8, v7
	v_cmp_eq_u32_e64 s6, 0, v6
	v_lshlrev_b32_e32 v3, 1, v3
	v_cndmask_b32_e64 v5, 0, 1, vcc_lo
	v_cmp_gt_u32_e32 vcc_lo, 24, v6
	s_delay_alu instid0(VALU_DEP_2) | instskip(NEXT) | instid1(VALU_DEP_1)
	v_lshlrev_b32_e32 v5, 2, v5
	v_add_lshl_u32 v11, v5, v6, 2
	v_cndmask_b32_e64 v5, 0, 1, vcc_lo
	v_cmp_gt_u32_e32 vcc_lo, 16, v6
	s_waitcnt lgkmcnt(0)
	v_add_f32_e32 v2, v7, v2
	v_add_lshl_u32 v10, v3, v6, 2
	v_lshlrev_b32_e32 v5, 3, v5
	s_delay_alu instid0(VALU_DEP_1) | instskip(SKIP_1) | instid1(VALU_DEP_1)
	v_add_lshl_u32 v13, v5, v6, 2
	v_cndmask_b32_e64 v5, 0, 1, vcc_lo
	v_lshlrev_b32_e32 v5, 4, v5
	s_delay_alu instid0(VALU_DEP_1) | instskip(SKIP_3) | instid1(VALU_DEP_2)
	v_add_lshl_u32 v15, v5, v6, 2
	s_waitcnt vmcnt(0)
	v_sub_nc_u32_e64 v4, v1, v4 clamp
	v_readfirstlane_b32 s28, v1
	v_cmp_lt_u32_e64 s0, v9, v4
	v_cmp_lt_u32_e64 s1, v12, v4
	;; [unrolled: 1-line block ×5, first 2 shown]
	v_cndmask_b32_e64 v2, v7, v2, s0
	ds_bpermute_b32 v3, v10, v2
	s_waitcnt lgkmcnt(0)
	v_add_f32_e32 v3, v2, v3
	s_delay_alu instid0(VALU_DEP_1) | instskip(SKIP_3) | instid1(VALU_DEP_1)
	v_cndmask_b32_e64 v2, v2, v3, s1
	ds_bpermute_b32 v3, v11, v2
	s_waitcnt lgkmcnt(0)
	v_add_f32_e32 v3, v2, v3
	v_cndmask_b32_e64 v2, v2, v3, s3
	ds_bpermute_b32 v3, v13, v2
	s_waitcnt lgkmcnt(0)
	v_add_f32_e32 v3, v2, v3
	s_delay_alu instid0(VALU_DEP_1) | instskip(SKIP_3) | instid1(VALU_DEP_1)
	v_cndmask_b32_e64 v2, v2, v3, s5
	ds_bpermute_b32 v3, v15, v2
	s_waitcnt lgkmcnt(0)
	v_add_f32_e32 v3, v2, v3
	v_cndmask_b32_e64 v1, v2, v3, s8
	s_and_saveexec_b32 s4, s6
	s_cbranch_execz .LBB7_52
; %bb.51:
	v_lshrrev_b32_e32 v2, 3, v0
	s_delay_alu instid0(VALU_DEP_1)
	v_and_b32_e32 v2, 0x7c, v2
	ds_store_b32 v2, v1
.LBB7_52:
	s_or_b32 exec_lo, exec_lo, s4
	v_cmp_gt_u32_e64 s7, 32, v0
	s_waitcnt lgkmcnt(0)
	s_waitcnt_vscnt null, 0x0
	s_barrier
	buffer_gl0_inv
	s_and_saveexec_b32 s4, s7
	s_cbranch_execz .LBB7_54
; %bb.53:
	v_lshlrev_b32_e32 v1, 2, v6
	s_add_i32 s29, s28, 31
	s_delay_alu instid0(SALU_CYCLE_1) | instskip(NEXT) | instid1(SALU_CYCLE_1)
	s_lshr_b32 s29, s29, 5
	v_cmp_gt_u32_e32 vcc_lo, s29, v9
	ds_load_b32 v1, v1
	s_waitcnt lgkmcnt(0)
	ds_bpermute_b32 v2, v8, v1
	s_waitcnt lgkmcnt(0)
	v_add_f32_e32 v2, v1, v2
	s_delay_alu instid0(VALU_DEP_1) | instskip(SKIP_4) | instid1(VALU_DEP_1)
	v_cndmask_b32_e32 v1, v1, v2, vcc_lo
	v_cmp_gt_u32_e32 vcc_lo, s29, v12
	ds_bpermute_b32 v2, v10, v1
	s_waitcnt lgkmcnt(0)
	v_add_f32_e32 v2, v1, v2
	v_cndmask_b32_e32 v1, v1, v2, vcc_lo
	v_cmp_gt_u32_e32 vcc_lo, s29, v14
	ds_bpermute_b32 v2, v11, v1
	s_waitcnt lgkmcnt(0)
	v_add_f32_e32 v2, v1, v2
	s_delay_alu instid0(VALU_DEP_1) | instskip(SKIP_4) | instid1(VALU_DEP_1)
	v_cndmask_b32_e32 v1, v1, v2, vcc_lo
	v_cmp_gt_u32_e32 vcc_lo, s29, v16
	ds_bpermute_b32 v2, v13, v1
	s_waitcnt lgkmcnt(0)
	v_add_f32_e32 v2, v1, v2
	v_cndmask_b32_e32 v1, v1, v2, vcc_lo
	v_cmp_gt_u32_e32 vcc_lo, s29, v17
	ds_bpermute_b32 v2, v15, v1
	s_waitcnt lgkmcnt(0)
	v_add_f32_e32 v2, v1, v2
	s_delay_alu instid0(VALU_DEP_1)
	v_cndmask_b32_e32 v1, v1, v2, vcc_lo
.LBB7_54:
	s_or_b32 exec_lo, exec_lo, s4
	v_cmp_eq_u32_e64 s4, 0, v0
	s_delay_alu instid0(VALU_DEP_1)
	s_and_saveexec_b32 s29, s4
	s_cbranch_execz .LBB7_56
; %bb.55:
	v_cvt_f32_i32_e32 v2, s21
	s_delay_alu instid0(VALU_DEP_1) | instskip(SKIP_1) | instid1(VALU_DEP_2)
	v_div_scale_f32 v3, null, v2, v2, v1
	v_div_scale_f32 v7, vcc_lo, v1, v2, v1
	v_rcp_f32_e32 v4, v3
	s_waitcnt_depctr 0xfff
	v_fma_f32 v5, -v3, v4, 1.0
	s_delay_alu instid0(VALU_DEP_1) | instskip(NEXT) | instid1(VALU_DEP_1)
	v_fmac_f32_e32 v4, v5, v4
	v_mul_f32_e32 v5, v7, v4
	s_delay_alu instid0(VALU_DEP_1) | instskip(NEXT) | instid1(VALU_DEP_1)
	v_fma_f32 v18, -v3, v5, v7
	v_fmac_f32_e32 v5, v18, v4
	s_delay_alu instid0(VALU_DEP_1) | instskip(NEXT) | instid1(VALU_DEP_1)
	v_fma_f32 v3, -v3, v5, v7
	v_div_fmas_f32 v3, v3, v4, v5
	s_delay_alu instid0(VALU_DEP_1) | instskip(NEXT) | instid1(VALU_DEP_1)
	v_div_fixup_f32 v1, v3, v2, v1
	v_add_f32_e32 v1, s20, v1
	s_delay_alu instid0(VALU_DEP_1) | instskip(SKIP_1) | instid1(VALU_DEP_2)
	v_mul_f32_e32 v2, 0x4b800000, v1
	v_cmp_gt_f32_e32 vcc_lo, 0x800000, v1
	v_cndmask_b32_e32 v1, v1, v2, vcc_lo
	s_delay_alu instid0(VALU_DEP_1) | instskip(SKIP_2) | instid1(VALU_DEP_1)
	v_rsq_f32_e32 v1, v1
	s_waitcnt_depctr 0xfff
	v_mul_f32_e32 v2, 0x45800000, v1
	v_dual_cndmask_b32 v1, v1, v2 :: v_dual_mov_b32 v2, 0
	ds_store_b32 v2, v1 offset:512
.LBB7_56:
	s_or_b32 exec_lo, exec_lo, s29
	v_mov_b32_e32 v18, 0
	s_waitcnt lgkmcnt(0)
	s_barrier
	buffer_gl0_inv
	ds_load_b32 v7, v18 offset:512
	s_and_saveexec_b32 s20, s2
	s_cbranch_execz .LBB7_66
; %bb.57:
	v_dual_mov_b32 v2, 0 :: v_dual_mov_b32 v1, v0
	v_mov_b32_e32 v18, 0
	s_mul_i32 s21, s28, 3
	s_lshl_b32 s30, s28, 1
	s_mov_b32 s29, 0
	s_add_i32 s31, s28, s28
                                        ; implicit-def: $sgpr33
	s_branch .LBB7_61
.LBB7_58:                               ;   in Loop: Header=BB7_61 Depth=1
	s_or_b32 exec_lo, exec_lo, s36
	s_delay_alu instid0(SALU_CYCLE_1)
	s_or_not1_b32 s36, s37, exec_lo
.LBB7_59:                               ;   in Loop: Header=BB7_61 Depth=1
	s_or_b32 exec_lo, exec_lo, s35
	s_delay_alu instid0(SALU_CYCLE_1) | instskip(SKIP_1) | instid1(SALU_CYCLE_1)
	s_and_not1_b32 s33, s33, exec_lo
	s_and_b32 s35, s36, exec_lo
	s_or_b32 s33, s33, s35
.LBB7_60:                               ;   in Loop: Header=BB7_61 Depth=1
	s_or_b32 exec_lo, exec_lo, s34
	s_delay_alu instid0(SALU_CYCLE_1) | instskip(NEXT) | instid1(SALU_CYCLE_1)
	s_and_b32 s34, exec_lo, s33
	s_or_b32 s29, s34, s29
	s_delay_alu instid0(SALU_CYCLE_1)
	s_and_not1_b32 exec_lo, exec_lo, s29
	s_cbranch_execz .LBB7_65
.LBB7_61:                               ; =>This Inner Loop Header: Depth=1
	v_lshlrev_b64 v[3:4], 3, v[1:2]
	s_or_b32 s33, s33, exec_lo
	s_mov_b32 s34, exec_lo
	s_delay_alu instid0(VALU_DEP_1) | instskip(NEXT) | instid1(VALU_DEP_2)
	v_add_co_u32 v19, vcc_lo, s9, v3
	v_add_co_ci_u32_e32 v20, vcc_lo, s16, v4, vcc_lo
	v_add_co_u32 v21, vcc_lo, s17, v3
	v_add_co_ci_u32_e32 v22, vcc_lo, s22, v4, vcc_lo
	v_add_co_u32 v3, vcc_lo, s18, v3
	global_load_b64 v[19:20], v[19:20], off
	global_load_b64 v[21:22], v[21:22], off
	v_add_co_ci_u32_e32 v4, vcc_lo, s19, v4, vcc_lo
	global_load_b64 v[3:4], v[3:4], off
	s_waitcnt vmcnt(2)
	v_lshrrev_b32_e32 v5, 16, v19
	s_waitcnt vmcnt(1)
	v_lshrrev_b32_e32 v24, 16, v21
	v_lshrrev_b32_e32 v23, 16, v20
	v_cvt_f32_f16_e32 v19, v19
	v_lshrrev_b32_e32 v25, 16, v22
	v_cvt_f32_f16_e32 v21, v21
	v_cvt_f32_f16_e32 v5, v5
	;; [unrolled: 1-line block ×6, first 2 shown]
	v_add_f32_e32 v19, v19, v21
	v_cvt_f32_f16_e32 v21, v25
	s_delay_alu instid0(VALU_DEP_4)
	v_dual_add_f32 v5, v5, v24 :: v_dual_add_f32 v20, v20, v22
	s_waitcnt vmcnt(0)
	v_lshrrev_b32_e32 v24, 16, v3
	s_waitcnt lgkmcnt(0)
	v_fma_mixlo_f16 v19, v7, v19, 0
	v_add_f32_e32 v21, v23, v21
	v_fma_mixlo_f16 v5, v7, v5, 0
	v_lshrrev_b32_e32 v22, 16, v4
	v_fma_mixlo_f16 v20, v7, v20, 0
	v_mul_f16_e32 v3, v3, v19
	v_fma_mixlo_f16 v19, v7, v21, 0
	v_mul_f16_e32 v5, v24, v5
	s_delay_alu instid0(VALU_DEP_4) | instskip(NEXT) | instid1(VALU_DEP_4)
	v_mul_f16_e32 v4, v4, v20
	v_cvt_f32_f16_e64 v3, |v3|
	s_delay_alu instid0(VALU_DEP_4) | instskip(NEXT) | instid1(VALU_DEP_4)
	v_mul_f16_e32 v19, v22, v19
	v_cvt_f32_f16_e64 v5, |v5|
	s_delay_alu instid0(VALU_DEP_4) | instskip(NEXT) | instid1(VALU_DEP_3)
	v_cvt_f32_f16_e64 v4, |v4|
	v_cvt_f32_f16_e64 v19, |v19|
	s_delay_alu instid0(VALU_DEP_3) | instskip(SKIP_1) | instid1(VALU_DEP_2)
	v_max3_f32 v5, v18, v3, v5
	v_add_nc_u32_e32 v3, s28, v1
	v_max3_f32 v18, v5, v4, v19
	s_delay_alu instid0(VALU_DEP_2)
	v_cmpx_gt_u32_e64 s23, v3
	s_cbranch_execz .LBB7_60
; %bb.62:                               ;   in Loop: Header=BB7_61 Depth=1
	v_mov_b32_e32 v4, v2
	s_mov_b32 s36, -1
	s_mov_b32 s35, exec_lo
	s_delay_alu instid0(VALU_DEP_1) | instskip(NEXT) | instid1(VALU_DEP_1)
	v_lshlrev_b64 v[4:5], 3, v[3:4]
	v_add_co_u32 v19, vcc_lo, s9, v4
	s_delay_alu instid0(VALU_DEP_2)
	v_add_co_ci_u32_e32 v20, vcc_lo, s16, v5, vcc_lo
	v_add_co_u32 v21, vcc_lo, s17, v4
	v_add_co_ci_u32_e32 v22, vcc_lo, s22, v5, vcc_lo
	v_add_co_u32 v4, vcc_lo, s18, v4
	global_load_b64 v[19:20], v[19:20], off
	global_load_b64 v[21:22], v[21:22], off
	v_add_co_ci_u32_e32 v5, vcc_lo, s19, v5, vcc_lo
	global_load_b64 v[4:5], v[4:5], off
	s_waitcnt vmcnt(2)
	v_lshrrev_b32_e32 v23, 16, v19
	s_waitcnt vmcnt(1)
	v_lshrrev_b32_e32 v25, 16, v21
	v_lshrrev_b32_e32 v24, 16, v20
	v_cvt_f32_f16_e32 v19, v19
	v_lshrrev_b32_e32 v26, 16, v22
	v_cvt_f32_f16_e32 v21, v21
	v_cvt_f32_f16_e32 v23, v23
	;; [unrolled: 1-line block ×5, first 2 shown]
	v_add_f32_e32 v19, v19, v21
	v_cvt_f32_f16_e32 v24, v24
	v_cvt_f32_f16_e32 v21, v26
	s_delay_alu instid0(VALU_DEP_4)
	v_dual_add_f32 v23, v23, v25 :: v_dual_add_f32 v20, v20, v22
	s_waitcnt vmcnt(0)
	v_lshrrev_b32_e32 v25, 16, v4
	v_fma_mixlo_f16 v19, v7, v19, 0
	v_add_f32_e32 v21, v24, v21
	v_fma_mixlo_f16 v22, v7, v23, 0
	v_lshrrev_b32_e32 v23, 16, v5
	v_fma_mixlo_f16 v20, v7, v20, 0
	v_mul_f16_e32 v4, v4, v19
	v_fma_mixlo_f16 v19, v7, v21, 0
	v_mul_f16_e32 v21, v25, v22
	s_delay_alu instid0(VALU_DEP_4) | instskip(NEXT) | instid1(VALU_DEP_4)
	v_mul_f16_e32 v5, v5, v20
	v_cvt_f32_f16_e64 v4, |v4|
	s_delay_alu instid0(VALU_DEP_4) | instskip(NEXT) | instid1(VALU_DEP_4)
	v_mul_f16_e32 v19, v23, v19
	v_cvt_f32_f16_e64 v20, |v21|
	s_delay_alu instid0(VALU_DEP_4) | instskip(NEXT) | instid1(VALU_DEP_3)
	v_cvt_f32_f16_e64 v5, |v5|
	v_cvt_f32_f16_e64 v19, |v19|
	s_delay_alu instid0(VALU_DEP_3) | instskip(SKIP_1) | instid1(VALU_DEP_2)
	v_max3_f32 v18, v18, v4, v20
	v_add_nc_u32_e32 v4, s30, v1
	v_max3_f32 v18, v18, v5, v19
	s_delay_alu instid0(VALU_DEP_2)
	v_cmpx_gt_u32_e64 s23, v4
	s_cbranch_execz .LBB7_59
; %bb.63:                               ;   in Loop: Header=BB7_61 Depth=1
	v_mov_b32_e32 v5, v2
	v_add_nc_u32_e32 v1, s21, v1
	s_mov_b32 s37, -1
	s_mov_b32 s36, exec_lo
	s_delay_alu instid0(VALU_DEP_2) | instskip(NEXT) | instid1(VALU_DEP_1)
	v_lshlrev_b64 v[4:5], 3, v[4:5]
	v_add_co_u32 v19, vcc_lo, s9, v4
	s_delay_alu instid0(VALU_DEP_2)
	v_add_co_ci_u32_e32 v20, vcc_lo, s16, v5, vcc_lo
	v_add_co_u32 v21, vcc_lo, s17, v4
	v_add_co_ci_u32_e32 v22, vcc_lo, s22, v5, vcc_lo
	v_add_co_u32 v4, vcc_lo, s18, v4
	global_load_b64 v[19:20], v[19:20], off
	global_load_b64 v[21:22], v[21:22], off
	v_add_co_ci_u32_e32 v5, vcc_lo, s19, v5, vcc_lo
	global_load_b64 v[4:5], v[4:5], off
	s_waitcnt vmcnt(2)
	v_lshrrev_b32_e32 v23, 16, v19
	s_waitcnt vmcnt(1)
	v_lshrrev_b32_e32 v25, 16, v21
	v_lshrrev_b32_e32 v24, 16, v20
	v_cvt_f32_f16_e32 v19, v19
	v_lshrrev_b32_e32 v26, 16, v22
	v_cvt_f32_f16_e32 v21, v21
	v_cvt_f32_f16_e32 v23, v23
	;; [unrolled: 1-line block ×6, first 2 shown]
	v_add_f32_e32 v19, v19, v21
	v_cvt_f32_f16_e32 v21, v26
	s_delay_alu instid0(VALU_DEP_4)
	v_dual_add_f32 v23, v23, v25 :: v_dual_add_f32 v20, v20, v22
	s_waitcnt vmcnt(0)
	v_lshrrev_b32_e32 v25, 16, v4
	v_fma_mixlo_f16 v19, v7, v19, 0
	v_add_f32_e32 v21, v24, v21
	v_fma_mixlo_f16 v22, v7, v23, 0
	v_lshrrev_b32_e32 v23, 16, v5
	v_fma_mixlo_f16 v20, v7, v20, 0
	v_mul_f16_e32 v4, v4, v19
	v_fma_mixlo_f16 v19, v7, v21, 0
	v_mul_f16_e32 v21, v25, v22
	s_delay_alu instid0(VALU_DEP_4) | instskip(NEXT) | instid1(VALU_DEP_4)
	v_mul_f16_e32 v5, v5, v20
	v_cvt_f32_f16_e64 v4, |v4|
	s_delay_alu instid0(VALU_DEP_4) | instskip(NEXT) | instid1(VALU_DEP_4)
	v_mul_f16_e32 v19, v23, v19
	v_cvt_f32_f16_e64 v20, |v21|
	s_delay_alu instid0(VALU_DEP_4) | instskip(NEXT) | instid1(VALU_DEP_3)
	v_cvt_f32_f16_e64 v5, |v5|
	v_cvt_f32_f16_e64 v19, |v19|
	s_delay_alu instid0(VALU_DEP_3) | instskip(NEXT) | instid1(VALU_DEP_1)
	v_max3_f32 v4, v18, v4, v20
	v_max3_f32 v18, v4, v5, v19
	v_cmpx_gt_u32_e64 s23, v1
	s_xor_b32 s36, exec_lo, s36
	s_cbranch_execz .LBB7_58
; %bb.64:                               ;   in Loop: Header=BB7_61 Depth=1
	v_lshlrev_b64 v[4:5], 3, v[1:2]
	s_delay_alu instid0(VALU_DEP_1) | instskip(NEXT) | instid1(VALU_DEP_2)
	v_add_co_u32 v19, vcc_lo, s9, v4
	v_add_co_ci_u32_e32 v20, vcc_lo, s16, v5, vcc_lo
	v_add_co_u32 v21, vcc_lo, s17, v4
	v_add_co_ci_u32_e32 v22, vcc_lo, s22, v5, vcc_lo
	v_add_co_u32 v4, vcc_lo, s18, v4
	global_load_b64 v[19:20], v[19:20], off
	global_load_b64 v[21:22], v[21:22], off
	v_add_co_ci_u32_e32 v5, vcc_lo, s19, v5, vcc_lo
	global_load_b64 v[4:5], v[4:5], off
	s_waitcnt vmcnt(2)
	v_lshrrev_b32_e32 v1, 16, v19
	s_waitcnt vmcnt(1)
	v_lshrrev_b32_e32 v24, 16, v21
	v_lshrrev_b32_e32 v23, 16, v20
	v_cvt_f32_f16_e32 v19, v19
	v_cvt_f32_f16_e32 v21, v21
	v_cvt_f32_f16_e32 v1, v1
	v_cvt_f32_f16_e32 v24, v24
	v_lshrrev_b32_e32 v25, 16, v22
	v_cvt_f32_f16_e32 v20, v20
	v_cvt_f32_f16_e32 v22, v22
	;; [unrolled: 1-line block ×3, first 2 shown]
	v_add_f32_e32 v19, v19, v21
	v_add_f32_e32 v1, v1, v24
	v_cvt_f32_f16_e32 v21, v25
	v_add_f32_e32 v20, v20, v22
	s_waitcnt vmcnt(0)
	v_lshrrev_b32_e32 v24, 16, v4
	v_fma_mixlo_f16 v19, v7, v19, 0
	v_fma_mixlo_f16 v1, v7, v1, 0
	v_add_f32_e32 v21, v23, v21
	v_lshrrev_b32_e32 v22, 16, v5
	v_fma_mixlo_f16 v20, v7, v20, 0
	v_mul_f16_e32 v4, v4, v19
	v_mul_f16_e32 v1, v24, v1
	v_fma_mixlo_f16 v19, v7, v21, 0
	s_delay_alu instid0(VALU_DEP_4) | instskip(NEXT) | instid1(VALU_DEP_4)
	v_mul_f16_e32 v5, v5, v20
	v_cvt_f32_f16_e64 v4, |v4|
	s_delay_alu instid0(VALU_DEP_4) | instskip(NEXT) | instid1(VALU_DEP_4)
	v_cvt_f32_f16_e64 v20, |v1|
	v_mul_f16_e32 v19, v22, v19
	v_add3_u32 v1, s31, s28, v3
	v_cvt_f32_f16_e64 v3, |v5|
	s_delay_alu instid0(VALU_DEP_4) | instskip(NEXT) | instid1(VALU_DEP_4)
	v_max3_f32 v4, v18, v4, v20
	v_cvt_f32_f16_e64 v5, |v19|
	s_delay_alu instid0(VALU_DEP_4) | instskip(NEXT) | instid1(VALU_DEP_2)
	v_cmp_le_u32_e32 vcc_lo, s23, v1
	v_max3_f32 v18, v4, v3, v5
	s_or_not1_b32 s37, vcc_lo, exec_lo
	s_branch .LBB7_58
.LBB7_65:
	s_or_b32 exec_lo, exec_lo, s29
.LBB7_66:
	s_delay_alu instid0(SALU_CYCLE_1) | instskip(SKIP_4) | instid1(VALU_DEP_1)
	s_or_b32 exec_lo, exec_lo, s20
	ds_bpermute_b32 v1, v8, v18
	s_waitcnt lgkmcnt(0)
	v_cmp_lt_f32_e32 vcc_lo, v18, v1
	v_cndmask_b32_e32 v1, v18, v1, vcc_lo
	v_cndmask_b32_e64 v1, v18, v1, s0
	s_or_b32 s0, s0, s1
	s_delay_alu instid0(SALU_CYCLE_1) | instskip(NEXT) | instid1(SALU_CYCLE_1)
	s_or_b32 s0, s3, s0
	s_or_b32 s0, s5, s0
	ds_bpermute_b32 v2, v10, v1
	s_waitcnt lgkmcnt(0)
	v_cmp_lt_f32_e32 vcc_lo, v1, v2
	v_cndmask_b32_e32 v2, v1, v2, vcc_lo
	s_delay_alu instid0(VALU_DEP_1) | instskip(SKIP_4) | instid1(VALU_DEP_1)
	v_cndmask_b32_e64 v1, v1, v2, s1
	ds_bpermute_b32 v2, v11, v1
	s_waitcnt lgkmcnt(0)
	v_cmp_lt_f32_e32 vcc_lo, v1, v2
	v_cndmask_b32_e32 v2, v1, v2, vcc_lo
	v_cndmask_b32_e64 v1, v1, v2, s3
	ds_bpermute_b32 v2, v13, v1
	s_waitcnt lgkmcnt(0)
	v_cmp_lt_f32_e32 vcc_lo, v1, v2
	v_cndmask_b32_e32 v2, v1, v2, vcc_lo
	s_delay_alu instid0(VALU_DEP_1)
	v_cndmask_b32_e64 v1, v1, v2, s5
	ds_bpermute_b32 v2, v15, v1
	s_waitcnt lgkmcnt(0)
	v_cmp_lt_f32_e32 vcc_lo, v1, v2
	s_and_b32 vcc_lo, s8, vcc_lo
	v_cndmask_b32_e32 v1, v1, v2, vcc_lo
	s_or_b32 vcc_lo, s8, s0
	s_delay_alu instid0(VALU_DEP_1)
	v_cndmask_b32_e32 v1, v18, v1, vcc_lo
	s_and_saveexec_b32 s0, s6
	s_cbranch_execz .LBB7_68
; %bb.67:
	v_lshrrev_b32_e32 v2, 3, v0
	s_delay_alu instid0(VALU_DEP_1)
	v_and_b32_e32 v2, 0x7c, v2
	ds_store_b32 v2, v1 offset:128
.LBB7_68:
	s_or_b32 exec_lo, exec_lo, s0
	s_waitcnt lgkmcnt(0)
	s_barrier
	buffer_gl0_inv
	s_and_saveexec_b32 s8, s7
	s_cbranch_execz .LBB7_70
; %bb.69:
	v_lshlrev_b32_e32 v1, 2, v6
	s_add_i32 s0, s28, 31
	s_delay_alu instid0(SALU_CYCLE_1)
	s_lshr_b32 s5, s0, 5
	ds_load_b32 v1, v1 offset:128
	s_waitcnt lgkmcnt(0)
	ds_bpermute_b32 v2, v8, v1
	s_waitcnt lgkmcnt(0)
	v_cmp_lt_f32_e32 vcc_lo, v1, v2
	v_cndmask_b32_e32 v2, v1, v2, vcc_lo
	v_cmp_gt_u32_e32 vcc_lo, s5, v9
	s_delay_alu instid0(VALU_DEP_2) | instskip(SKIP_3) | instid1(VALU_DEP_1)
	v_cndmask_b32_e32 v2, v1, v2, vcc_lo
	ds_bpermute_b32 v3, v10, v2
	s_waitcnt lgkmcnt(0)
	v_cmp_lt_f32_e64 s0, v2, v3
	v_cndmask_b32_e64 v3, v2, v3, s0
	v_cmp_gt_u32_e64 s0, s5, v12
	s_delay_alu instid0(VALU_DEP_1) | instskip(SKIP_4) | instid1(VALU_DEP_1)
	v_cndmask_b32_e64 v2, v2, v3, s0
	s_or_b32 s0, vcc_lo, s0
	ds_bpermute_b32 v3, v11, v2
	s_waitcnt lgkmcnt(0)
	v_cmp_lt_f32_e64 s1, v2, v3
	v_cndmask_b32_e64 v3, v2, v3, s1
	v_cmp_gt_u32_e64 s1, s5, v14
	s_delay_alu instid0(VALU_DEP_1) | instskip(SKIP_4) | instid1(VALU_DEP_1)
	v_cndmask_b32_e64 v2, v2, v3, s1
	s_or_b32 s0, s1, s0
	ds_bpermute_b32 v3, v13, v2
	s_waitcnt lgkmcnt(0)
	v_cmp_lt_f32_e64 s3, v2, v3
	v_cndmask_b32_e64 v3, v2, v3, s3
	v_cmp_gt_u32_e64 s3, s5, v16
	v_cmp_gt_u32_e64 s5, s5, v17
	s_delay_alu instid0(VALU_DEP_2) | instskip(SKIP_4) | instid1(VALU_DEP_1)
	v_cndmask_b32_e64 v2, v2, v3, s3
	s_or_b32 s0, s3, s0
	ds_bpermute_b32 v3, v15, v2
	s_waitcnt lgkmcnt(0)
	v_cmp_lt_f32_e64 s6, v2, v3
	s_and_b32 vcc_lo, s5, s6
	v_cndmask_b32_e32 v2, v2, v3, vcc_lo
	s_or_b32 vcc_lo, s5, s0
	s_delay_alu instid0(VALU_DEP_1)
	v_cndmask_b32_e32 v1, v1, v2, vcc_lo
.LBB7_70:
	s_or_b32 exec_lo, exec_lo, s8
	s_and_saveexec_b32 s0, s4
	s_cbranch_execz .LBB7_74
; %bb.71:
	s_cmp_eq_u64 s[26:27], 0
	s_cbranch_scc1 .LBB7_73
; %bb.72:
	s_load_b32 s1, s[26:27], 0x0
	v_max_f32_e32 v1, v1, v1
	s_waitcnt lgkmcnt(0)
	v_max_f32_e64 v2, s1, s1
	s_delay_alu instid0(VALU_DEP_1)
	v_min_f32_e32 v1, v1, v2
.LBB7_73:
	s_delay_alu instid0(VALU_DEP_1) | instskip(SKIP_2) | instid1(VALU_DEP_2)
	v_div_scale_f32 v2, null, 0x43600000, 0x43600000, v1
	v_div_scale_f32 v5, vcc_lo, v1, 0x43600000, v1
	s_lshl_b64 s[4:5], s[24:25], 2
	v_rcp_f32_e32 v3, v2
	s_add_u32 s4, s14, s4
	s_addc_u32 s5, s15, s5
	s_waitcnt_depctr 0xfff
	v_fma_f32 v4, -v2, v3, 1.0
	s_delay_alu instid0(VALU_DEP_1) | instskip(NEXT) | instid1(VALU_DEP_1)
	v_fmac_f32_e32 v3, v4, v3
	v_mul_f32_e32 v4, v5, v3
	s_delay_alu instid0(VALU_DEP_1) | instskip(NEXT) | instid1(VALU_DEP_1)
	v_fma_f32 v6, -v2, v4, v5
	v_fmac_f32_e32 v4, v6, v3
	s_delay_alu instid0(VALU_DEP_1) | instskip(NEXT) | instid1(VALU_DEP_1)
	v_fma_f32 v2, -v2, v4, v5
	v_div_fmas_f32 v2, v2, v3, v4
	s_delay_alu instid0(VALU_DEP_1) | instskip(NEXT) | instid1(VALU_DEP_1)
	v_div_fixup_f32 v1, v2, 0x43600000, v1
	v_dual_mov_b32 v2, 0 :: v_dual_max_f32 v1, 0x37124925, v1
	ds_store_b32 v2, v1 offset:516
	global_store_b32 v2, v1, s[4:5]
.LBB7_74:
	s_or_b32 exec_lo, exec_lo, s0
	s_waitcnt lgkmcnt(0)
	s_waitcnt_vscnt null, 0x0
	s_barrier
	buffer_gl0_inv
	s_and_saveexec_b32 s0, s2
	s_cbranch_execz .LBB7_211
; %bb.75:
	v_mov_b32_e32 v1, 0
	s_add_u32 s0, s12, s10
	s_addc_u32 s1, s13, s11
	s_mul_i32 s2, s28, 3
	s_lshl_b32 s3, s28, 1
	ds_load_b32 v8, v1 offset:516
	s_mov_b32 s4, 0
	s_mov_b32 s5, 0x43600000
	s_branch .LBB7_81
.LBB7_76:                               ;   in Loop: Header=BB7_81 Depth=1
	s_or_b32 exec_lo, exec_lo, s12
.LBB7_77:                               ;   in Loop: Header=BB7_81 Depth=1
	s_delay_alu instid0(SALU_CYCLE_1)
	s_or_b32 exec_lo, exec_lo, s10
	v_lshlrev_b32_e32 v4, 16, v10
	v_lshlrev_b64 v[9:10], 2, v[0:1]
	v_lshlrev_b32_e32 v6, 8, v6
	s_add_i32 s10, s28, s28
	v_and_b32_e32 v5, 0xff, v5
	v_add3_u32 v0, s10, s28, v2
	v_perm_b32 v4, v3, v4, 0x4020c0c
	v_and_b32_e32 v6, 0xff00, v6
	v_add_co_u32 v2, vcc_lo, s0, v9
	v_add_co_ci_u32_e32 v3, vcc_lo, s1, v10, vcc_lo
	v_cmp_le_u32_e32 vcc_lo, s23, v0
	s_delay_alu instid0(VALU_DEP_4)
	v_or3_b32 v4, v4, v6, v5
	s_or_not1_b32 s10, vcc_lo, exec_lo
	global_store_b32 v[2:3], v4, off
.LBB7_78:                               ;   in Loop: Header=BB7_81 Depth=1
	s_or_b32 exec_lo, exec_lo, s8
	s_delay_alu instid0(SALU_CYCLE_1)
	s_or_not1_b32 s8, s10, exec_lo
.LBB7_79:                               ;   in Loop: Header=BB7_81 Depth=1
	s_or_b32 exec_lo, exec_lo, s7
	s_delay_alu instid0(SALU_CYCLE_1)
	s_or_not1_b32 s7, s8, exec_lo
.LBB7_80:                               ;   in Loop: Header=BB7_81 Depth=1
	s_or_b32 exec_lo, exec_lo, s6
	s_delay_alu instid0(SALU_CYCLE_1) | instskip(NEXT) | instid1(SALU_CYCLE_1)
	s_and_b32 s6, exec_lo, s7
	s_or_b32 s4, s6, s4
	s_delay_alu instid0(SALU_CYCLE_1)
	s_and_not1_b32 exec_lo, exec_lo, s4
	s_cbranch_execz .LBB7_211
.LBB7_81:                               ; =>This Inner Loop Header: Depth=1
	v_lshlrev_b64 v[2:3], 3, v[0:1]
	s_mov_b32 s6, exec_lo
	s_delay_alu instid0(VALU_DEP_1) | instskip(NEXT) | instid1(VALU_DEP_2)
	v_add_co_u32 v4, vcc_lo, s9, v2
	v_add_co_ci_u32_e32 v5, vcc_lo, s16, v3, vcc_lo
	v_add_co_u32 v13, vcc_lo, s17, v2
	v_add_co_ci_u32_e32 v14, vcc_lo, s22, v3, vcc_lo
	v_add_co_u32 v2, vcc_lo, s18, v2
	global_load_b64 v[4:5], v[4:5], off
	global_load_b64 v[9:10], v[13:14], off
	v_add_co_ci_u32_e32 v3, vcc_lo, s19, v3, vcc_lo
	global_load_b64 v[2:3], v[2:3], off
	s_waitcnt vmcnt(2)
	v_cvt_f32_f16_e32 v6, v4
	s_waitcnt vmcnt(1)
	v_cvt_f32_f16_e32 v11, v9
	v_lshrrev_b32_e32 v4, 16, v4
	v_lshrrev_b32_e32 v9, 16, v9
	s_delay_alu instid0(VALU_DEP_3) | instskip(NEXT) | instid1(VALU_DEP_3)
	v_add_f32_e32 v12, v6, v11
	v_cvt_f32_f16_e32 v4, v4
	s_delay_alu instid0(VALU_DEP_2) | instskip(SKIP_1) | instid1(VALU_DEP_1)
	v_fma_mixlo_f16 v6, v7, v12, 0
	s_waitcnt vmcnt(0)
	v_mul_f16_e32 v6, v2, v6
	s_delay_alu instid0(VALU_DEP_1) | instskip(SKIP_1) | instid1(VALU_DEP_1)
	v_cvt_f32_f16_e32 v6, v6
	s_waitcnt lgkmcnt(0)
	v_div_scale_f32 v11, null, v8, v8, v6
	v_div_scale_f32 v17, vcc_lo, v6, v8, v6
	s_delay_alu instid0(VALU_DEP_2) | instskip(SKIP_2) | instid1(VALU_DEP_1)
	v_rcp_f32_e32 v15, v11
	s_waitcnt_depctr 0xfff
	v_fma_f32 v16, -v11, v15, 1.0
	v_fmac_f32_e32 v15, v16, v15
	s_delay_alu instid0(VALU_DEP_1) | instskip(NEXT) | instid1(VALU_DEP_1)
	v_mul_f32_e32 v16, v17, v15
	v_fma_f32 v18, -v11, v16, v17
	s_delay_alu instid0(VALU_DEP_1) | instskip(SKIP_2) | instid1(VALU_DEP_3)
	v_fmac_f32_e32 v16, v18, v15
	v_lshrrev_b32_e32 v18, 16, v5
	v_cvt_f32_f16_e32 v5, v5
	v_fma_f32 v11, -v11, v16, v17
	v_lshrrev_b32_e32 v17, 16, v10
	v_cvt_f32_f16_e32 v10, v10
	s_delay_alu instid0(VALU_DEP_3) | instskip(SKIP_1) | instid1(VALU_DEP_4)
	v_div_fmas_f32 v11, v11, v15, v16
	v_cvt_f32_f16_e32 v15, v18
	v_cvt_f32_f16_e32 v16, v17
	;; [unrolled: 1-line block ×3, first 2 shown]
	v_add_f32_e32 v9, v5, v10
	v_div_fixup_f32 v11, v11, v8, v6
	v_cvt_f16_f32_e32 v5, v12
	v_add_f32_e32 v6, v15, v16
	v_add_f32_e32 v10, v4, v17
	v_cvt_f16_f32_e32 v15, v9
	v_minmax_f32 v11, v11, s5, 0xc3600000
	v_mov_b32_e32 v4, 0x80
	v_cvt_f16_f32_e32 v16, v6
	v_cvt_f16_f32_e32 v17, v10
	s_delay_alu instid0(VALU_DEP_4) | instskip(NEXT) | instid1(VALU_DEP_3)
	v_and_b32_e32 v12, 0x7fffffff, v11
	v_pack_b32_f16 v16, v15, v16
	s_delay_alu instid0(VALU_DEP_3)
	v_pack_b32_f16 v15, v5, v17
	v_mov_b32_e32 v5, 0x80
	global_store_b64 v[13:14], v[15:16], off
	v_cmpx_gt_u32_e32 0x43800000, v12
	s_cbranch_execz .LBB7_87
; %bb.82:                               ;   in Loop: Header=BB7_81 Depth=1
	v_cmp_lt_u32_e32 vcc_lo, 0x3bffffff, v12
	s_mov_b32 s7, 0
                                        ; implicit-def: $vgpr12
	s_and_saveexec_b32 s8, vcc_lo
	s_delay_alu instid0(SALU_CYCLE_1)
	s_xor_b32 s8, exec_lo, s8
	s_cbranch_execnz .LBB7_178
; %bb.83:                               ;   in Loop: Header=BB7_81 Depth=1
	s_or_saveexec_b32 s8, s8
                                        ; implicit-def: $sgpr10
	s_delay_alu instid0(SALU_CYCLE_1)
	s_xor_b32 exec_lo, exec_lo, s8
	s_cbranch_execnz .LBB7_179
.LBB7_84:                               ;   in Loop: Header=BB7_81 Depth=1
	s_or_b32 exec_lo, exec_lo, s8
	v_mov_b32_e32 v5, s10
	s_and_saveexec_b32 s8, s7
.LBB7_85:                               ;   in Loop: Header=BB7_81 Depth=1
	v_lshrrev_b32_e32 v5, 24, v11
	s_delay_alu instid0(VALU_DEP_1)
	v_and_or_b32 v5, 0x80, v5, v12
.LBB7_86:                               ;   in Loop: Header=BB7_81 Depth=1
	s_or_b32 exec_lo, exec_lo, s8
.LBB7_87:                               ;   in Loop: Header=BB7_81 Depth=1
	s_delay_alu instid0(SALU_CYCLE_1) | instskip(SKIP_3) | instid1(VALU_DEP_1)
	s_or_b32 exec_lo, exec_lo, s6
	v_lshrrev_b32_e32 v2, 16, v2
	v_fma_mixlo_f16 v10, v7, v10, 0
	s_mov_b32 s6, exec_lo
	v_mul_f16_e32 v2, v2, v10
	s_delay_alu instid0(VALU_DEP_1) | instskip(NEXT) | instid1(VALU_DEP_1)
	v_cvt_f32_f16_e32 v2, v2
	v_div_scale_f32 v10, null, v8, v8, v2
	s_delay_alu instid0(VALU_DEP_1) | instskip(SKIP_2) | instid1(VALU_DEP_1)
	v_rcp_f32_e32 v11, v10
	s_waitcnt_depctr 0xfff
	v_fma_f32 v12, -v10, v11, 1.0
	v_fmac_f32_e32 v11, v12, v11
	v_div_scale_f32 v12, vcc_lo, v2, v8, v2
	s_delay_alu instid0(VALU_DEP_1) | instskip(NEXT) | instid1(VALU_DEP_1)
	v_mul_f32_e32 v13, v12, v11
	v_fma_f32 v14, -v10, v13, v12
	s_delay_alu instid0(VALU_DEP_1) | instskip(NEXT) | instid1(VALU_DEP_1)
	v_fmac_f32_e32 v13, v14, v11
	v_fma_f32 v10, -v10, v13, v12
	s_delay_alu instid0(VALU_DEP_1) | instskip(NEXT) | instid1(VALU_DEP_1)
	v_div_fmas_f32 v10, v10, v11, v13
	v_div_fixup_f32 v2, v10, v8, v2
	s_delay_alu instid0(VALU_DEP_1) | instskip(NEXT) | instid1(VALU_DEP_1)
	v_minmax_f32 v2, v2, s5, 0xc3600000
	v_and_b32_e32 v10, 0x7fffffff, v2
	s_delay_alu instid0(VALU_DEP_1)
	v_cmpx_gt_u32_e32 0x43800000, v10
	s_cbranch_execz .LBB7_93
; %bb.88:                               ;   in Loop: Header=BB7_81 Depth=1
	v_cmp_lt_u32_e32 vcc_lo, 0x3bffffff, v10
	s_mov_b32 s7, 0
                                        ; implicit-def: $vgpr10
	s_and_saveexec_b32 s8, vcc_lo
	s_delay_alu instid0(SALU_CYCLE_1)
	s_xor_b32 s8, exec_lo, s8
	s_cbranch_execnz .LBB7_180
; %bb.89:                               ;   in Loop: Header=BB7_81 Depth=1
	s_or_saveexec_b32 s8, s8
                                        ; implicit-def: $sgpr10
	s_delay_alu instid0(SALU_CYCLE_1)
	s_xor_b32 exec_lo, exec_lo, s8
	s_cbranch_execnz .LBB7_181
.LBB7_90:                               ;   in Loop: Header=BB7_81 Depth=1
	s_or_b32 exec_lo, exec_lo, s8
	v_mov_b32_e32 v4, s10
	s_and_saveexec_b32 s8, s7
.LBB7_91:                               ;   in Loop: Header=BB7_81 Depth=1
	v_lshrrev_b32_e32 v2, 24, v2
	s_delay_alu instid0(VALU_DEP_1)
	v_and_or_b32 v4, 0x80, v2, v10
.LBB7_92:                               ;   in Loop: Header=BB7_81 Depth=1
	s_or_b32 exec_lo, exec_lo, s8
.LBB7_93:                               ;   in Loop: Header=BB7_81 Depth=1
	s_delay_alu instid0(SALU_CYCLE_1) | instskip(SKIP_2) | instid1(VALU_DEP_1)
	s_or_b32 exec_lo, exec_lo, s6
	v_fma_mixlo_f16 v2, v7, v9, 0
	s_mov_b32 s6, exec_lo
	v_mul_f16_e32 v2, v3, v2
	s_delay_alu instid0(VALU_DEP_1) | instskip(NEXT) | instid1(VALU_DEP_1)
	v_cvt_f32_f16_e32 v2, v2
	v_div_scale_f32 v9, null, v8, v8, v2
	v_div_scale_f32 v12, vcc_lo, v2, v8, v2
	s_delay_alu instid0(VALU_DEP_2) | instskip(SKIP_2) | instid1(VALU_DEP_1)
	v_rcp_f32_e32 v10, v9
	s_waitcnt_depctr 0xfff
	v_fma_f32 v11, -v9, v10, 1.0
	v_fmac_f32_e32 v10, v11, v10
	s_delay_alu instid0(VALU_DEP_1) | instskip(NEXT) | instid1(VALU_DEP_1)
	v_mul_f32_e32 v11, v12, v10
	v_fma_f32 v13, -v9, v11, v12
	s_delay_alu instid0(VALU_DEP_1) | instskip(NEXT) | instid1(VALU_DEP_1)
	v_fmac_f32_e32 v11, v13, v10
	v_fma_f32 v9, -v9, v11, v12
	s_delay_alu instid0(VALU_DEP_1) | instskip(NEXT) | instid1(VALU_DEP_1)
	v_div_fmas_f32 v9, v9, v10, v11
	v_div_fixup_f32 v2, v9, v8, v2
	v_mov_b32_e32 v9, 0x80
	s_delay_alu instid0(VALU_DEP_2) | instskip(SKIP_1) | instid1(VALU_DEP_2)
	v_minmax_f32 v10, v2, s5, 0xc3600000
	v_mov_b32_e32 v2, 0x80
	v_and_b32_e32 v11, 0x7fffffff, v10
	s_delay_alu instid0(VALU_DEP_1)
	v_cmpx_gt_u32_e32 0x43800000, v11
	s_cbranch_execz .LBB7_99
; %bb.94:                               ;   in Loop: Header=BB7_81 Depth=1
	v_cmp_lt_u32_e32 vcc_lo, 0x3bffffff, v11
	s_mov_b32 s7, 0
                                        ; implicit-def: $vgpr11
	s_and_saveexec_b32 s8, vcc_lo
	s_delay_alu instid0(SALU_CYCLE_1)
	s_xor_b32 s8, exec_lo, s8
	s_cbranch_execnz .LBB7_182
; %bb.95:                               ;   in Loop: Header=BB7_81 Depth=1
	s_or_saveexec_b32 s8, s8
                                        ; implicit-def: $sgpr10
	s_delay_alu instid0(SALU_CYCLE_1)
	s_xor_b32 exec_lo, exec_lo, s8
	s_cbranch_execnz .LBB7_183
.LBB7_96:                               ;   in Loop: Header=BB7_81 Depth=1
	s_or_b32 exec_lo, exec_lo, s8
	v_mov_b32_e32 v9, s10
	s_and_saveexec_b32 s8, s7
.LBB7_97:                               ;   in Loop: Header=BB7_81 Depth=1
	v_lshrrev_b32_e32 v9, 24, v10
	s_delay_alu instid0(VALU_DEP_1)
	v_and_or_b32 v9, 0x80, v9, v11
.LBB7_98:                               ;   in Loop: Header=BB7_81 Depth=1
	s_or_b32 exec_lo, exec_lo, s8
.LBB7_99:                               ;   in Loop: Header=BB7_81 Depth=1
	s_delay_alu instid0(SALU_CYCLE_1) | instskip(SKIP_3) | instid1(VALU_DEP_1)
	s_or_b32 exec_lo, exec_lo, s6
	v_lshrrev_b32_e32 v3, 16, v3
	v_fma_mixlo_f16 v6, v7, v6, 0
	s_mov_b32 s6, exec_lo
	v_mul_f16_e32 v3, v3, v6
	s_delay_alu instid0(VALU_DEP_1) | instskip(NEXT) | instid1(VALU_DEP_1)
	v_cvt_f32_f16_e32 v3, v3
	v_div_scale_f32 v6, null, v8, v8, v3
	s_delay_alu instid0(VALU_DEP_1) | instskip(SKIP_2) | instid1(VALU_DEP_1)
	v_rcp_f32_e32 v10, v6
	s_waitcnt_depctr 0xfff
	v_fma_f32 v11, -v6, v10, 1.0
	v_fmac_f32_e32 v10, v11, v10
	v_div_scale_f32 v11, vcc_lo, v3, v8, v3
	s_delay_alu instid0(VALU_DEP_1) | instskip(NEXT) | instid1(VALU_DEP_1)
	v_mul_f32_e32 v12, v11, v10
	v_fma_f32 v13, -v6, v12, v11
	s_delay_alu instid0(VALU_DEP_1) | instskip(NEXT) | instid1(VALU_DEP_1)
	v_fmac_f32_e32 v12, v13, v10
	v_fma_f32 v6, -v6, v12, v11
	s_delay_alu instid0(VALU_DEP_1) | instskip(NEXT) | instid1(VALU_DEP_1)
	v_div_fmas_f32 v6, v6, v10, v12
	v_div_fixup_f32 v3, v6, v8, v3
	s_delay_alu instid0(VALU_DEP_1) | instskip(NEXT) | instid1(VALU_DEP_1)
	v_minmax_f32 v3, v3, s5, 0xc3600000
	v_and_b32_e32 v6, 0x7fffffff, v3
	s_delay_alu instid0(VALU_DEP_1)
	v_cmpx_gt_u32_e32 0x43800000, v6
	s_cbranch_execz .LBB7_105
; %bb.100:                              ;   in Loop: Header=BB7_81 Depth=1
	v_cmp_lt_u32_e32 vcc_lo, 0x3bffffff, v6
	s_mov_b32 s7, 0
                                        ; implicit-def: $vgpr6
	s_and_saveexec_b32 s8, vcc_lo
	s_delay_alu instid0(SALU_CYCLE_1)
	s_xor_b32 s8, exec_lo, s8
	s_cbranch_execnz .LBB7_184
; %bb.101:                              ;   in Loop: Header=BB7_81 Depth=1
	s_or_saveexec_b32 s8, s8
                                        ; implicit-def: $sgpr10
	s_delay_alu instid0(SALU_CYCLE_1)
	s_xor_b32 exec_lo, exec_lo, s8
	s_cbranch_execnz .LBB7_185
.LBB7_102:                              ;   in Loop: Header=BB7_81 Depth=1
	s_or_b32 exec_lo, exec_lo, s8
	v_mov_b32_e32 v2, s10
	s_and_saveexec_b32 s8, s7
.LBB7_103:                              ;   in Loop: Header=BB7_81 Depth=1
	v_lshrrev_b32_e32 v2, 24, v3
	s_delay_alu instid0(VALU_DEP_1)
	v_and_or_b32 v2, 0x80, v2, v6
.LBB7_104:                              ;   in Loop: Header=BB7_81 Depth=1
	s_or_b32 exec_lo, exec_lo, s8
.LBB7_105:                              ;   in Loop: Header=BB7_81 Depth=1
	s_delay_alu instid0(SALU_CYCLE_1)
	s_or_b32 exec_lo, exec_lo, s6
	v_lshlrev_b32_e32 v6, 16, v9
	v_lshlrev_b32_e32 v9, 8, v4
	v_lshlrev_b64 v[3:4], 2, v[0:1]
	v_and_b32_e32 v5, 0xff, v5
	s_mov_b32 s7, -1
	v_perm_b32 v6, v2, v6, 0x4020c0c
	v_and_b32_e32 v9, 0xff00, v9
	v_add_nc_u32_e32 v2, s28, v0
	v_add_co_u32 v3, vcc_lo, s0, v3
	v_add_co_ci_u32_e32 v4, vcc_lo, s1, v4, vcc_lo
	s_delay_alu instid0(VALU_DEP_4)
	v_or3_b32 v5, v6, v9, v5
	s_mov_b32 s6, exec_lo
	global_store_b32 v[3:4], v5, off
	v_cmpx_gt_u32_e64 s23, v2
	s_cbranch_execz .LBB7_80
; %bb.106:                              ;   in Loop: Header=BB7_81 Depth=1
	v_mov_b32_e32 v3, v1
	s_mov_b32 s7, exec_lo
	s_delay_alu instid0(VALU_DEP_1) | instskip(NEXT) | instid1(VALU_DEP_1)
	v_lshlrev_b64 v[4:5], 3, v[2:3]
	v_add_co_u32 v9, vcc_lo, s9, v4
	s_delay_alu instid0(VALU_DEP_2)
	v_add_co_ci_u32_e32 v10, vcc_lo, s16, v5, vcc_lo
	v_add_co_u32 v15, vcc_lo, s17, v4
	v_add_co_ci_u32_e32 v16, vcc_lo, s22, v5, vcc_lo
	v_add_co_u32 v4, vcc_lo, s18, v4
	global_load_b64 v[9:10], v[9:10], off
	global_load_b64 v[11:12], v[15:16], off
	v_add_co_ci_u32_e32 v5, vcc_lo, s19, v5, vcc_lo
	global_load_b64 v[4:5], v[4:5], off
	s_waitcnt vmcnt(2)
	v_cvt_f32_f16_e32 v6, v9
	s_waitcnt vmcnt(1)
	v_cvt_f32_f16_e32 v13, v11
	v_lshrrev_b32_e32 v9, 16, v9
	v_lshrrev_b32_e32 v11, 16, v11
	s_delay_alu instid0(VALU_DEP_3) | instskip(NEXT) | instid1(VALU_DEP_3)
	v_add_f32_e32 v6, v6, v13
	v_cvt_f32_f16_e32 v9, v9
	s_delay_alu instid0(VALU_DEP_2) | instskip(SKIP_1) | instid1(VALU_DEP_1)
	v_fma_mixlo_f16 v13, v7, v6, 0
	s_waitcnt vmcnt(0)
	v_mul_f16_e32 v13, v4, v13
	s_delay_alu instid0(VALU_DEP_1) | instskip(NEXT) | instid1(VALU_DEP_1)
	v_cvt_f32_f16_e32 v13, v13
	v_div_scale_f32 v14, null, v8, v8, v13
	v_div_scale_f32 v19, vcc_lo, v13, v8, v13
	s_delay_alu instid0(VALU_DEP_2) | instskip(SKIP_2) | instid1(VALU_DEP_1)
	v_rcp_f32_e32 v17, v14
	s_waitcnt_depctr 0xfff
	v_fma_f32 v18, -v14, v17, 1.0
	v_fmac_f32_e32 v17, v18, v17
	s_delay_alu instid0(VALU_DEP_1) | instskip(NEXT) | instid1(VALU_DEP_1)
	v_mul_f32_e32 v18, v19, v17
	v_fma_f32 v20, -v14, v18, v19
	s_delay_alu instid0(VALU_DEP_1) | instskip(SKIP_2) | instid1(VALU_DEP_3)
	v_fmac_f32_e32 v18, v20, v17
	v_lshrrev_b32_e32 v20, 16, v10
	v_cvt_f32_f16_e32 v10, v10
	v_fma_f32 v14, -v14, v18, v19
	v_lshrrev_b32_e32 v19, 16, v12
	v_cvt_f32_f16_e32 v12, v12
	s_delay_alu instid0(VALU_DEP_3) | instskip(SKIP_1) | instid1(VALU_DEP_4)
	v_div_fmas_f32 v14, v14, v17, v18
	v_cvt_f32_f16_e32 v17, v20
	v_cvt_f32_f16_e32 v18, v19
	;; [unrolled: 1-line block ×3, first 2 shown]
	v_add_f32_e32 v11, v10, v12
	v_div_fixup_f32 v13, v14, v8, v13
	s_delay_alu instid0(VALU_DEP_4) | instskip(NEXT) | instid1(VALU_DEP_4)
	v_add_f32_e32 v10, v17, v18
	v_add_f32_e32 v12, v9, v19
	v_cvt_f16_f32_e32 v9, v6
	s_delay_alu instid0(VALU_DEP_4)
	v_minmax_f32 v13, v13, s5, 0xc3600000
	v_cvt_f16_f32_e32 v17, v11
	v_cvt_f16_f32_e32 v18, v10
	;; [unrolled: 1-line block ×3, first 2 shown]
	v_mov_b32_e32 v6, 0x80
	v_and_b32_e32 v14, 0x7fffffff, v13
	s_delay_alu instid0(VALU_DEP_4) | instskip(NEXT) | instid1(VALU_DEP_4)
	v_pack_b32_f16 v18, v17, v18
	v_pack_b32_f16 v17, v9, v19
	v_mov_b32_e32 v9, 0x80
	global_store_b64 v[15:16], v[17:18], off
	v_cmpx_gt_u32_e32 0x43800000, v14
	s_cbranch_execz .LBB7_112
; %bb.107:                              ;   in Loop: Header=BB7_81 Depth=1
	v_cmp_lt_u32_e32 vcc_lo, 0x3bffffff, v14
	s_mov_b32 s8, 0
                                        ; implicit-def: $vgpr14
	s_and_saveexec_b32 s10, vcc_lo
	s_delay_alu instid0(SALU_CYCLE_1)
	s_xor_b32 s10, exec_lo, s10
	s_cbranch_execnz .LBB7_186
; %bb.108:                              ;   in Loop: Header=BB7_81 Depth=1
	s_or_saveexec_b32 s10, s10
                                        ; implicit-def: $sgpr11
	s_delay_alu instid0(SALU_CYCLE_1)
	s_xor_b32 exec_lo, exec_lo, s10
	s_cbranch_execnz .LBB7_187
.LBB7_109:                              ;   in Loop: Header=BB7_81 Depth=1
	s_or_b32 exec_lo, exec_lo, s10
	v_mov_b32_e32 v9, s11
	s_and_saveexec_b32 s10, s8
.LBB7_110:                              ;   in Loop: Header=BB7_81 Depth=1
	v_lshrrev_b32_e32 v9, 24, v13
	s_delay_alu instid0(VALU_DEP_1)
	v_and_or_b32 v9, 0x80, v9, v14
.LBB7_111:                              ;   in Loop: Header=BB7_81 Depth=1
	s_or_b32 exec_lo, exec_lo, s10
.LBB7_112:                              ;   in Loop: Header=BB7_81 Depth=1
	s_delay_alu instid0(SALU_CYCLE_1) | instskip(SKIP_3) | instid1(VALU_DEP_1)
	s_or_b32 exec_lo, exec_lo, s7
	v_lshrrev_b32_e32 v4, 16, v4
	v_fma_mixlo_f16 v12, v7, v12, 0
	s_mov_b32 s7, exec_lo
	v_mul_f16_e32 v4, v4, v12
	s_delay_alu instid0(VALU_DEP_1) | instskip(NEXT) | instid1(VALU_DEP_1)
	v_cvt_f32_f16_e32 v4, v4
	v_div_scale_f32 v12, null, v8, v8, v4
	s_delay_alu instid0(VALU_DEP_1) | instskip(SKIP_2) | instid1(VALU_DEP_1)
	v_rcp_f32_e32 v13, v12
	s_waitcnt_depctr 0xfff
	v_fma_f32 v14, -v12, v13, 1.0
	v_fmac_f32_e32 v13, v14, v13
	v_div_scale_f32 v14, vcc_lo, v4, v8, v4
	s_delay_alu instid0(VALU_DEP_1) | instskip(NEXT) | instid1(VALU_DEP_1)
	v_mul_f32_e32 v15, v14, v13
	v_fma_f32 v16, -v12, v15, v14
	s_delay_alu instid0(VALU_DEP_1) | instskip(NEXT) | instid1(VALU_DEP_1)
	v_fmac_f32_e32 v15, v16, v13
	v_fma_f32 v12, -v12, v15, v14
	s_delay_alu instid0(VALU_DEP_1) | instskip(NEXT) | instid1(VALU_DEP_1)
	v_div_fmas_f32 v12, v12, v13, v15
	v_div_fixup_f32 v4, v12, v8, v4
	s_delay_alu instid0(VALU_DEP_1) | instskip(NEXT) | instid1(VALU_DEP_1)
	v_minmax_f32 v4, v4, s5, 0xc3600000
	v_and_b32_e32 v12, 0x7fffffff, v4
	s_delay_alu instid0(VALU_DEP_1)
	v_cmpx_gt_u32_e32 0x43800000, v12
	s_cbranch_execz .LBB7_118
; %bb.113:                              ;   in Loop: Header=BB7_81 Depth=1
	v_cmp_lt_u32_e32 vcc_lo, 0x3bffffff, v12
	s_mov_b32 s8, 0
                                        ; implicit-def: $vgpr12
	s_and_saveexec_b32 s10, vcc_lo
	s_delay_alu instid0(SALU_CYCLE_1)
	s_xor_b32 s10, exec_lo, s10
	s_cbranch_execnz .LBB7_188
; %bb.114:                              ;   in Loop: Header=BB7_81 Depth=1
	s_or_saveexec_b32 s10, s10
                                        ; implicit-def: $sgpr11
	s_delay_alu instid0(SALU_CYCLE_1)
	s_xor_b32 exec_lo, exec_lo, s10
	s_cbranch_execnz .LBB7_189
.LBB7_115:                              ;   in Loop: Header=BB7_81 Depth=1
	s_or_b32 exec_lo, exec_lo, s10
	v_mov_b32_e32 v6, s11
	s_and_saveexec_b32 s10, s8
.LBB7_116:                              ;   in Loop: Header=BB7_81 Depth=1
	v_lshrrev_b32_e32 v4, 24, v4
	s_delay_alu instid0(VALU_DEP_1)
	v_and_or_b32 v6, 0x80, v4, v12
.LBB7_117:                              ;   in Loop: Header=BB7_81 Depth=1
	s_or_b32 exec_lo, exec_lo, s10
.LBB7_118:                              ;   in Loop: Header=BB7_81 Depth=1
	s_delay_alu instid0(SALU_CYCLE_1) | instskip(SKIP_2) | instid1(VALU_DEP_1)
	s_or_b32 exec_lo, exec_lo, s7
	v_fma_mixlo_f16 v4, v7, v11, 0
	s_mov_b32 s7, exec_lo
	v_mul_f16_e32 v4, v5, v4
	s_delay_alu instid0(VALU_DEP_1) | instskip(NEXT) | instid1(VALU_DEP_1)
	v_cvt_f32_f16_e32 v4, v4
	v_div_scale_f32 v11, null, v8, v8, v4
	v_div_scale_f32 v14, vcc_lo, v4, v8, v4
	s_delay_alu instid0(VALU_DEP_2) | instskip(SKIP_2) | instid1(VALU_DEP_1)
	v_rcp_f32_e32 v12, v11
	s_waitcnt_depctr 0xfff
	v_fma_f32 v13, -v11, v12, 1.0
	v_fmac_f32_e32 v12, v13, v12
	s_delay_alu instid0(VALU_DEP_1) | instskip(NEXT) | instid1(VALU_DEP_1)
	v_mul_f32_e32 v13, v14, v12
	v_fma_f32 v15, -v11, v13, v14
	s_delay_alu instid0(VALU_DEP_1) | instskip(NEXT) | instid1(VALU_DEP_1)
	v_fmac_f32_e32 v13, v15, v12
	v_fma_f32 v11, -v11, v13, v14
	s_delay_alu instid0(VALU_DEP_1) | instskip(NEXT) | instid1(VALU_DEP_1)
	v_div_fmas_f32 v11, v11, v12, v13
	v_div_fixup_f32 v4, v11, v8, v4
	v_mov_b32_e32 v11, 0x80
	s_delay_alu instid0(VALU_DEP_2) | instskip(SKIP_1) | instid1(VALU_DEP_2)
	v_minmax_f32 v12, v4, s5, 0xc3600000
	v_mov_b32_e32 v4, 0x80
	v_and_b32_e32 v13, 0x7fffffff, v12
	s_delay_alu instid0(VALU_DEP_1)
	v_cmpx_gt_u32_e32 0x43800000, v13
	s_cbranch_execz .LBB7_124
; %bb.119:                              ;   in Loop: Header=BB7_81 Depth=1
	v_cmp_lt_u32_e32 vcc_lo, 0x3bffffff, v13
	s_mov_b32 s8, 0
                                        ; implicit-def: $vgpr13
	s_and_saveexec_b32 s10, vcc_lo
	s_delay_alu instid0(SALU_CYCLE_1)
	s_xor_b32 s10, exec_lo, s10
	s_cbranch_execnz .LBB7_190
; %bb.120:                              ;   in Loop: Header=BB7_81 Depth=1
	s_or_saveexec_b32 s10, s10
                                        ; implicit-def: $sgpr11
	s_delay_alu instid0(SALU_CYCLE_1)
	s_xor_b32 exec_lo, exec_lo, s10
	s_cbranch_execnz .LBB7_191
.LBB7_121:                              ;   in Loop: Header=BB7_81 Depth=1
	s_or_b32 exec_lo, exec_lo, s10
	v_mov_b32_e32 v11, s11
	s_and_saveexec_b32 s10, s8
.LBB7_122:                              ;   in Loop: Header=BB7_81 Depth=1
	v_lshrrev_b32_e32 v11, 24, v12
	s_delay_alu instid0(VALU_DEP_1)
	v_and_or_b32 v11, 0x80, v11, v13
.LBB7_123:                              ;   in Loop: Header=BB7_81 Depth=1
	s_or_b32 exec_lo, exec_lo, s10
.LBB7_124:                              ;   in Loop: Header=BB7_81 Depth=1
	s_delay_alu instid0(SALU_CYCLE_1) | instskip(SKIP_3) | instid1(VALU_DEP_1)
	s_or_b32 exec_lo, exec_lo, s7
	v_lshrrev_b32_e32 v5, 16, v5
	v_fma_mixlo_f16 v10, v7, v10, 0
	s_mov_b32 s7, exec_lo
	v_mul_f16_e32 v5, v5, v10
	s_delay_alu instid0(VALU_DEP_1) | instskip(NEXT) | instid1(VALU_DEP_1)
	v_cvt_f32_f16_e32 v5, v5
	v_div_scale_f32 v10, null, v8, v8, v5
	s_delay_alu instid0(VALU_DEP_1) | instskip(SKIP_2) | instid1(VALU_DEP_1)
	v_rcp_f32_e32 v12, v10
	s_waitcnt_depctr 0xfff
	v_fma_f32 v13, -v10, v12, 1.0
	v_fmac_f32_e32 v12, v13, v12
	v_div_scale_f32 v13, vcc_lo, v5, v8, v5
	s_delay_alu instid0(VALU_DEP_1) | instskip(NEXT) | instid1(VALU_DEP_1)
	v_mul_f32_e32 v14, v13, v12
	v_fma_f32 v15, -v10, v14, v13
	s_delay_alu instid0(VALU_DEP_1) | instskip(NEXT) | instid1(VALU_DEP_1)
	v_fmac_f32_e32 v14, v15, v12
	v_fma_f32 v10, -v10, v14, v13
	s_delay_alu instid0(VALU_DEP_1) | instskip(NEXT) | instid1(VALU_DEP_1)
	v_div_fmas_f32 v10, v10, v12, v14
	v_div_fixup_f32 v5, v10, v8, v5
	s_delay_alu instid0(VALU_DEP_1) | instskip(NEXT) | instid1(VALU_DEP_1)
	v_minmax_f32 v5, v5, s5, 0xc3600000
	v_and_b32_e32 v10, 0x7fffffff, v5
	s_delay_alu instid0(VALU_DEP_1)
	v_cmpx_gt_u32_e32 0x43800000, v10
	s_cbranch_execz .LBB7_130
; %bb.125:                              ;   in Loop: Header=BB7_81 Depth=1
	v_cmp_lt_u32_e32 vcc_lo, 0x3bffffff, v10
	s_mov_b32 s8, 0
                                        ; implicit-def: $vgpr10
	s_and_saveexec_b32 s10, vcc_lo
	s_delay_alu instid0(SALU_CYCLE_1)
	s_xor_b32 s10, exec_lo, s10
	s_cbranch_execnz .LBB7_192
; %bb.126:                              ;   in Loop: Header=BB7_81 Depth=1
	s_or_saveexec_b32 s10, s10
                                        ; implicit-def: $sgpr11
	s_delay_alu instid0(SALU_CYCLE_1)
	s_xor_b32 exec_lo, exec_lo, s10
	s_cbranch_execnz .LBB7_193
.LBB7_127:                              ;   in Loop: Header=BB7_81 Depth=1
	s_or_b32 exec_lo, exec_lo, s10
	v_mov_b32_e32 v4, s11
	s_and_saveexec_b32 s10, s8
.LBB7_128:                              ;   in Loop: Header=BB7_81 Depth=1
	v_lshrrev_b32_e32 v4, 24, v5
	s_delay_alu instid0(VALU_DEP_1)
	v_and_or_b32 v4, 0x80, v4, v10
.LBB7_129:                              ;   in Loop: Header=BB7_81 Depth=1
	s_or_b32 exec_lo, exec_lo, s10
.LBB7_130:                              ;   in Loop: Header=BB7_81 Depth=1
	s_delay_alu instid0(SALU_CYCLE_1)
	s_or_b32 exec_lo, exec_lo, s7
	v_lshlrev_b32_e32 v10, 16, v11
	v_lshlrev_b32_e32 v11, 8, v6
	v_lshlrev_b64 v[5:6], 2, v[2:3]
	v_and_b32_e32 v9, 0xff, v9
	v_add_nc_u32_e32 v3, s3, v0
	v_perm_b32 v10, v4, v10, 0x4020c0c
	v_and_b32_e32 v11, 0xff00, v11
	s_mov_b32 s8, -1
	v_add_co_u32 v4, vcc_lo, s0, v5
	v_add_co_ci_u32_e32 v5, vcc_lo, s1, v6, vcc_lo
	s_delay_alu instid0(VALU_DEP_3)
	v_or3_b32 v6, v10, v11, v9
	s_mov_b32 s7, exec_lo
	global_store_b32 v[4:5], v6, off
	v_cmpx_gt_u32_e64 s23, v3
	s_cbranch_execz .LBB7_79
; %bb.131:                              ;   in Loop: Header=BB7_81 Depth=1
	v_mov_b32_e32 v4, v1
	s_mov_b32 s8, exec_lo
	s_delay_alu instid0(VALU_DEP_1) | instskip(NEXT) | instid1(VALU_DEP_1)
	v_lshlrev_b64 v[5:6], 3, v[3:4]
	v_add_co_u32 v9, vcc_lo, s9, v5
	s_delay_alu instid0(VALU_DEP_2)
	v_add_co_ci_u32_e32 v10, vcc_lo, s16, v6, vcc_lo
	v_add_co_u32 v16, vcc_lo, s17, v5
	v_add_co_ci_u32_e32 v17, vcc_lo, s22, v6, vcc_lo
	v_add_co_u32 v5, vcc_lo, s18, v5
	global_load_b64 v[9:10], v[9:10], off
	global_load_b64 v[11:12], v[16:17], off
	v_add_co_ci_u32_e32 v6, vcc_lo, s19, v6, vcc_lo
	global_load_b64 v[5:6], v[5:6], off
	s_waitcnt vmcnt(2)
	v_cvt_f32_f16_e32 v13, v9
	s_waitcnt vmcnt(1)
	v_cvt_f32_f16_e32 v14, v11
	v_lshrrev_b32_e32 v9, 16, v9
	v_lshrrev_b32_e32 v11, 16, v11
	s_delay_alu instid0(VALU_DEP_3) | instskip(NEXT) | instid1(VALU_DEP_3)
	v_add_f32_e32 v15, v13, v14
	v_cvt_f32_f16_e32 v9, v9
	s_delay_alu instid0(VALU_DEP_2) | instskip(SKIP_1) | instid1(VALU_DEP_1)
	v_fma_mixlo_f16 v13, v7, v15, 0
	s_waitcnt vmcnt(0)
	v_mul_f16_e32 v13, v5, v13
	s_delay_alu instid0(VALU_DEP_1) | instskip(NEXT) | instid1(VALU_DEP_1)
	v_cvt_f32_f16_e32 v13, v13
	v_div_scale_f32 v14, null, v8, v8, v13
	v_div_scale_f32 v20, vcc_lo, v13, v8, v13
	s_delay_alu instid0(VALU_DEP_2) | instskip(SKIP_2) | instid1(VALU_DEP_1)
	v_rcp_f32_e32 v18, v14
	s_waitcnt_depctr 0xfff
	v_fma_f32 v19, -v14, v18, 1.0
	v_fmac_f32_e32 v18, v19, v18
	s_delay_alu instid0(VALU_DEP_1) | instskip(NEXT) | instid1(VALU_DEP_1)
	v_mul_f32_e32 v19, v20, v18
	v_fma_f32 v21, -v14, v19, v20
	s_delay_alu instid0(VALU_DEP_1) | instskip(SKIP_2) | instid1(VALU_DEP_3)
	v_fmac_f32_e32 v19, v21, v18
	v_lshrrev_b32_e32 v21, 16, v10
	v_cvt_f32_f16_e32 v10, v10
	v_fma_f32 v14, -v14, v19, v20
	v_lshrrev_b32_e32 v20, 16, v12
	v_cvt_f32_f16_e32 v12, v12
	s_delay_alu instid0(VALU_DEP_3) | instskip(SKIP_1) | instid1(VALU_DEP_4)
	v_div_fmas_f32 v14, v14, v18, v19
	v_cvt_f32_f16_e32 v18, v21
	v_cvt_f32_f16_e32 v19, v20
	;; [unrolled: 1-line block ×3, first 2 shown]
	v_add_f32_e32 v12, v10, v12
	v_div_fixup_f32 v14, v14, v8, v13
	v_cvt_f16_f32_e32 v10, v15
	v_add_f32_e32 v11, v18, v19
	v_add_f32_e32 v13, v9, v20
	v_cvt_f16_f32_e32 v18, v12
	v_minmax_f32 v14, v14, s5, 0xc3600000
	v_mov_b32_e32 v9, 0x80
	v_cvt_f16_f32_e32 v19, v11
	v_cvt_f16_f32_e32 v20, v13
	s_delay_alu instid0(VALU_DEP_4) | instskip(NEXT) | instid1(VALU_DEP_3)
	v_and_b32_e32 v15, 0x7fffffff, v14
	v_pack_b32_f16 v19, v18, v19
	s_delay_alu instid0(VALU_DEP_3)
	v_pack_b32_f16 v18, v10, v20
	v_mov_b32_e32 v10, 0x80
	global_store_b64 v[16:17], v[18:19], off
	v_cmpx_gt_u32_e32 0x43800000, v15
	s_cbranch_execz .LBB7_137
; %bb.132:                              ;   in Loop: Header=BB7_81 Depth=1
	v_cmp_lt_u32_e32 vcc_lo, 0x3bffffff, v15
	s_mov_b32 s10, 0
                                        ; implicit-def: $vgpr15
	s_and_saveexec_b32 s11, vcc_lo
	s_delay_alu instid0(SALU_CYCLE_1)
	s_xor_b32 s11, exec_lo, s11
	s_cbranch_execnz .LBB7_194
; %bb.133:                              ;   in Loop: Header=BB7_81 Depth=1
	s_or_saveexec_b32 s11, s11
                                        ; implicit-def: $sgpr12
	s_delay_alu instid0(SALU_CYCLE_1)
	s_xor_b32 exec_lo, exec_lo, s11
	s_cbranch_execnz .LBB7_195
.LBB7_134:                              ;   in Loop: Header=BB7_81 Depth=1
	s_or_b32 exec_lo, exec_lo, s11
	v_mov_b32_e32 v10, s12
	s_and_saveexec_b32 s11, s10
.LBB7_135:                              ;   in Loop: Header=BB7_81 Depth=1
	v_lshrrev_b32_e32 v10, 24, v14
	s_delay_alu instid0(VALU_DEP_1)
	v_and_or_b32 v10, 0x80, v10, v15
.LBB7_136:                              ;   in Loop: Header=BB7_81 Depth=1
	s_or_b32 exec_lo, exec_lo, s11
.LBB7_137:                              ;   in Loop: Header=BB7_81 Depth=1
	s_delay_alu instid0(SALU_CYCLE_1) | instskip(SKIP_3) | instid1(VALU_DEP_1)
	s_or_b32 exec_lo, exec_lo, s8
	v_lshrrev_b32_e32 v5, 16, v5
	v_fma_mixlo_f16 v13, v7, v13, 0
	s_mov_b32 s8, exec_lo
	v_mul_f16_e32 v5, v5, v13
	s_delay_alu instid0(VALU_DEP_1) | instskip(NEXT) | instid1(VALU_DEP_1)
	v_cvt_f32_f16_e32 v5, v5
	v_div_scale_f32 v13, null, v8, v8, v5
	s_delay_alu instid0(VALU_DEP_1) | instskip(SKIP_2) | instid1(VALU_DEP_1)
	v_rcp_f32_e32 v14, v13
	s_waitcnt_depctr 0xfff
	v_fma_f32 v15, -v13, v14, 1.0
	v_fmac_f32_e32 v14, v15, v14
	v_div_scale_f32 v15, vcc_lo, v5, v8, v5
	s_delay_alu instid0(VALU_DEP_1) | instskip(NEXT) | instid1(VALU_DEP_1)
	v_mul_f32_e32 v16, v15, v14
	v_fma_f32 v17, -v13, v16, v15
	s_delay_alu instid0(VALU_DEP_1) | instskip(NEXT) | instid1(VALU_DEP_1)
	v_fmac_f32_e32 v16, v17, v14
	v_fma_f32 v13, -v13, v16, v15
	s_delay_alu instid0(VALU_DEP_1) | instskip(NEXT) | instid1(VALU_DEP_1)
	v_div_fmas_f32 v13, v13, v14, v16
	v_div_fixup_f32 v5, v13, v8, v5
	s_delay_alu instid0(VALU_DEP_1) | instskip(NEXT) | instid1(VALU_DEP_1)
	v_minmax_f32 v5, v5, s5, 0xc3600000
	v_and_b32_e32 v13, 0x7fffffff, v5
	s_delay_alu instid0(VALU_DEP_1)
	v_cmpx_gt_u32_e32 0x43800000, v13
	s_cbranch_execz .LBB7_143
; %bb.138:                              ;   in Loop: Header=BB7_81 Depth=1
	v_cmp_lt_u32_e32 vcc_lo, 0x3bffffff, v13
	s_mov_b32 s10, 0
                                        ; implicit-def: $vgpr13
	s_and_saveexec_b32 s11, vcc_lo
	s_delay_alu instid0(SALU_CYCLE_1)
	s_xor_b32 s11, exec_lo, s11
	s_cbranch_execnz .LBB7_196
; %bb.139:                              ;   in Loop: Header=BB7_81 Depth=1
	s_or_saveexec_b32 s11, s11
                                        ; implicit-def: $sgpr12
	s_delay_alu instid0(SALU_CYCLE_1)
	s_xor_b32 exec_lo, exec_lo, s11
	s_cbranch_execnz .LBB7_197
.LBB7_140:                              ;   in Loop: Header=BB7_81 Depth=1
	s_or_b32 exec_lo, exec_lo, s11
	v_mov_b32_e32 v9, s12
	s_and_saveexec_b32 s11, s10
.LBB7_141:                              ;   in Loop: Header=BB7_81 Depth=1
	v_lshrrev_b32_e32 v5, 24, v5
	s_delay_alu instid0(VALU_DEP_1)
	v_and_or_b32 v9, 0x80, v5, v13
.LBB7_142:                              ;   in Loop: Header=BB7_81 Depth=1
	s_or_b32 exec_lo, exec_lo, s11
.LBB7_143:                              ;   in Loop: Header=BB7_81 Depth=1
	s_delay_alu instid0(SALU_CYCLE_1) | instskip(SKIP_2) | instid1(VALU_DEP_1)
	s_or_b32 exec_lo, exec_lo, s8
	v_fma_mixlo_f16 v5, v7, v12, 0
	s_mov_b32 s8, exec_lo
	v_mul_f16_e32 v5, v6, v5
	s_delay_alu instid0(VALU_DEP_1) | instskip(NEXT) | instid1(VALU_DEP_1)
	v_cvt_f32_f16_e32 v5, v5
	v_div_scale_f32 v12, null, v8, v8, v5
	v_div_scale_f32 v15, vcc_lo, v5, v8, v5
	s_delay_alu instid0(VALU_DEP_2) | instskip(SKIP_2) | instid1(VALU_DEP_1)
	v_rcp_f32_e32 v13, v12
	s_waitcnt_depctr 0xfff
	v_fma_f32 v14, -v12, v13, 1.0
	v_fmac_f32_e32 v13, v14, v13
	s_delay_alu instid0(VALU_DEP_1) | instskip(NEXT) | instid1(VALU_DEP_1)
	v_mul_f32_e32 v14, v15, v13
	v_fma_f32 v16, -v12, v14, v15
	s_delay_alu instid0(VALU_DEP_1) | instskip(NEXT) | instid1(VALU_DEP_1)
	v_fmac_f32_e32 v14, v16, v13
	v_fma_f32 v12, -v12, v14, v15
	s_delay_alu instid0(VALU_DEP_1) | instskip(NEXT) | instid1(VALU_DEP_1)
	v_div_fmas_f32 v12, v12, v13, v14
	v_div_fixup_f32 v5, v12, v8, v5
	v_mov_b32_e32 v12, 0x80
	s_delay_alu instid0(VALU_DEP_2) | instskip(SKIP_1) | instid1(VALU_DEP_2)
	v_minmax_f32 v13, v5, s5, 0xc3600000
	v_mov_b32_e32 v5, 0x80
	v_and_b32_e32 v14, 0x7fffffff, v13
	s_delay_alu instid0(VALU_DEP_1)
	v_cmpx_gt_u32_e32 0x43800000, v14
	s_cbranch_execz .LBB7_149
; %bb.144:                              ;   in Loop: Header=BB7_81 Depth=1
	v_cmp_lt_u32_e32 vcc_lo, 0x3bffffff, v14
	s_mov_b32 s10, 0
                                        ; implicit-def: $vgpr14
	s_and_saveexec_b32 s11, vcc_lo
	s_delay_alu instid0(SALU_CYCLE_1)
	s_xor_b32 s11, exec_lo, s11
	s_cbranch_execnz .LBB7_198
; %bb.145:                              ;   in Loop: Header=BB7_81 Depth=1
	s_or_saveexec_b32 s11, s11
                                        ; implicit-def: $sgpr12
	s_delay_alu instid0(SALU_CYCLE_1)
	s_xor_b32 exec_lo, exec_lo, s11
	s_cbranch_execnz .LBB7_199
.LBB7_146:                              ;   in Loop: Header=BB7_81 Depth=1
	s_or_b32 exec_lo, exec_lo, s11
	v_mov_b32_e32 v12, s12
	s_and_saveexec_b32 s11, s10
.LBB7_147:                              ;   in Loop: Header=BB7_81 Depth=1
	v_lshrrev_b32_e32 v12, 24, v13
	s_delay_alu instid0(VALU_DEP_1)
	v_and_or_b32 v12, 0x80, v12, v14
.LBB7_148:                              ;   in Loop: Header=BB7_81 Depth=1
	s_or_b32 exec_lo, exec_lo, s11
.LBB7_149:                              ;   in Loop: Header=BB7_81 Depth=1
	s_delay_alu instid0(SALU_CYCLE_1) | instskip(SKIP_3) | instid1(VALU_DEP_1)
	s_or_b32 exec_lo, exec_lo, s8
	v_lshrrev_b32_e32 v6, 16, v6
	v_fma_mixlo_f16 v11, v7, v11, 0
	s_mov_b32 s8, exec_lo
	v_mul_f16_e32 v6, v6, v11
	s_delay_alu instid0(VALU_DEP_1) | instskip(NEXT) | instid1(VALU_DEP_1)
	v_cvt_f32_f16_e32 v6, v6
	v_div_scale_f32 v11, null, v8, v8, v6
	s_delay_alu instid0(VALU_DEP_1) | instskip(SKIP_2) | instid1(VALU_DEP_1)
	v_rcp_f32_e32 v13, v11
	s_waitcnt_depctr 0xfff
	v_fma_f32 v14, -v11, v13, 1.0
	v_fmac_f32_e32 v13, v14, v13
	v_div_scale_f32 v14, vcc_lo, v6, v8, v6
	s_delay_alu instid0(VALU_DEP_1) | instskip(NEXT) | instid1(VALU_DEP_1)
	v_mul_f32_e32 v15, v14, v13
	v_fma_f32 v16, -v11, v15, v14
	s_delay_alu instid0(VALU_DEP_1) | instskip(NEXT) | instid1(VALU_DEP_1)
	v_fmac_f32_e32 v15, v16, v13
	v_fma_f32 v11, -v11, v15, v14
	s_delay_alu instid0(VALU_DEP_1) | instskip(NEXT) | instid1(VALU_DEP_1)
	v_div_fmas_f32 v11, v11, v13, v15
	v_div_fixup_f32 v6, v11, v8, v6
	s_delay_alu instid0(VALU_DEP_1) | instskip(NEXT) | instid1(VALU_DEP_1)
	v_minmax_f32 v6, v6, s5, 0xc3600000
	v_and_b32_e32 v11, 0x7fffffff, v6
	s_delay_alu instid0(VALU_DEP_1)
	v_cmpx_gt_u32_e32 0x43800000, v11
	s_cbranch_execz .LBB7_155
; %bb.150:                              ;   in Loop: Header=BB7_81 Depth=1
	v_cmp_lt_u32_e32 vcc_lo, 0x3bffffff, v11
	s_mov_b32 s10, 0
                                        ; implicit-def: $vgpr11
	s_and_saveexec_b32 s11, vcc_lo
	s_delay_alu instid0(SALU_CYCLE_1)
	s_xor_b32 s11, exec_lo, s11
	s_cbranch_execnz .LBB7_200
; %bb.151:                              ;   in Loop: Header=BB7_81 Depth=1
	s_or_saveexec_b32 s11, s11
                                        ; implicit-def: $sgpr12
	s_delay_alu instid0(SALU_CYCLE_1)
	s_xor_b32 exec_lo, exec_lo, s11
	s_cbranch_execnz .LBB7_201
.LBB7_152:                              ;   in Loop: Header=BB7_81 Depth=1
	s_or_b32 exec_lo, exec_lo, s11
	v_mov_b32_e32 v5, s12
	s_and_saveexec_b32 s11, s10
.LBB7_153:                              ;   in Loop: Header=BB7_81 Depth=1
	v_lshrrev_b32_e32 v5, 24, v6
	s_delay_alu instid0(VALU_DEP_1)
	v_and_or_b32 v5, 0x80, v5, v11
.LBB7_154:                              ;   in Loop: Header=BB7_81 Depth=1
	s_or_b32 exec_lo, exec_lo, s11
.LBB7_155:                              ;   in Loop: Header=BB7_81 Depth=1
	s_delay_alu instid0(SALU_CYCLE_1)
	s_or_b32 exec_lo, exec_lo, s8
	v_lshlrev_b32_e32 v6, 16, v12
	v_lshlrev_b32_e32 v9, 8, v9
	v_lshlrev_b64 v[3:4], 2, v[3:4]
	v_and_b32_e32 v10, 0xff, v10
	v_add_nc_u32_e32 v0, s2, v0
	v_perm_b32 v5, v5, v6, 0x4020c0c
	v_and_b32_e32 v6, 0xff00, v9
	s_mov_b32 s10, -1
	v_add_co_u32 v3, vcc_lo, s0, v3
	v_add_co_ci_u32_e32 v4, vcc_lo, s1, v4, vcc_lo
	s_delay_alu instid0(VALU_DEP_3)
	v_or3_b32 v5, v5, v6, v10
	s_mov_b32 s8, exec_lo
	global_store_b32 v[3:4], v5, off
	v_cmpx_gt_u32_e64 s23, v0
	s_cbranch_execz .LBB7_78
; %bb.156:                              ;   in Loop: Header=BB7_81 Depth=1
	v_lshlrev_b64 v[3:4], 3, v[0:1]
	s_mov_b32 s10, exec_lo
	s_delay_alu instid0(VALU_DEP_1) | instskip(NEXT) | instid1(VALU_DEP_2)
	v_add_co_u32 v5, vcc_lo, s9, v3
	v_add_co_ci_u32_e32 v6, vcc_lo, s16, v4, vcc_lo
	v_add_co_u32 v14, vcc_lo, s17, v3
	v_add_co_ci_u32_e32 v15, vcc_lo, s22, v4, vcc_lo
	v_add_co_u32 v3, vcc_lo, s18, v3
	global_load_b64 v[5:6], v[5:6], off
	global_load_b64 v[9:10], v[14:15], off
	v_add_co_ci_u32_e32 v4, vcc_lo, s19, v4, vcc_lo
	global_load_b64 v[3:4], v[3:4], off
	s_waitcnt vmcnt(2)
	v_cvt_f32_f16_e32 v11, v5
	s_waitcnt vmcnt(1)
	v_cvt_f32_f16_e32 v12, v9
	v_lshrrev_b32_e32 v5, 16, v5
	v_lshrrev_b32_e32 v9, 16, v9
	s_delay_alu instid0(VALU_DEP_3) | instskip(NEXT) | instid1(VALU_DEP_3)
	v_add_f32_e32 v13, v11, v12
	v_cvt_f32_f16_e32 v5, v5
	s_delay_alu instid0(VALU_DEP_2) | instskip(SKIP_1) | instid1(VALU_DEP_1)
	v_fma_mixlo_f16 v11, v7, v13, 0
	s_waitcnt vmcnt(0)
	v_mul_f16_e32 v11, v3, v11
	s_delay_alu instid0(VALU_DEP_1) | instskip(NEXT) | instid1(VALU_DEP_1)
	v_cvt_f32_f16_e32 v11, v11
	v_div_scale_f32 v12, null, v8, v8, v11
	v_div_scale_f32 v18, vcc_lo, v11, v8, v11
	s_delay_alu instid0(VALU_DEP_2) | instskip(SKIP_2) | instid1(VALU_DEP_1)
	v_rcp_f32_e32 v16, v12
	s_waitcnt_depctr 0xfff
	v_fma_f32 v17, -v12, v16, 1.0
	v_fmac_f32_e32 v16, v17, v16
	s_delay_alu instid0(VALU_DEP_1) | instskip(NEXT) | instid1(VALU_DEP_1)
	v_mul_f32_e32 v17, v18, v16
	v_fma_f32 v19, -v12, v17, v18
	s_delay_alu instid0(VALU_DEP_1) | instskip(SKIP_2) | instid1(VALU_DEP_3)
	v_fmac_f32_e32 v17, v19, v16
	v_lshrrev_b32_e32 v19, 16, v6
	v_cvt_f32_f16_e32 v6, v6
	v_fma_f32 v12, -v12, v17, v18
	v_lshrrev_b32_e32 v18, 16, v10
	v_cvt_f32_f16_e32 v10, v10
	s_delay_alu instid0(VALU_DEP_3) | instskip(SKIP_1) | instid1(VALU_DEP_4)
	v_div_fmas_f32 v12, v12, v16, v17
	v_cvt_f32_f16_e32 v16, v19
	v_cvt_f32_f16_e32 v17, v18
	;; [unrolled: 1-line block ×3, first 2 shown]
	v_add_f32_e32 v10, v6, v10
	v_mov_b32_e32 v6, 0x80
	v_div_fixup_f32 v12, v12, v8, v11
	v_add_f32_e32 v9, v16, v17
	v_add_f32_e32 v11, v5, v18
	v_cvt_f16_f32_e32 v5, v13
	v_cvt_f16_f32_e32 v16, v10
	v_minmax_f32 v12, v12, s5, 0xc3600000
	v_cvt_f16_f32_e32 v17, v9
	v_cvt_f16_f32_e32 v18, v11
	s_delay_alu instid0(VALU_DEP_3) | instskip(NEXT) | instid1(VALU_DEP_3)
	v_and_b32_e32 v13, 0x7fffffff, v12
	v_pack_b32_f16 v17, v16, v17
	s_delay_alu instid0(VALU_DEP_3)
	v_pack_b32_f16 v16, v5, v18
	v_mov_b32_e32 v5, 0x80
	global_store_b64 v[14:15], v[16:17], off
	v_cmpx_gt_u32_e32 0x43800000, v13
	s_cbranch_execz .LBB7_162
; %bb.157:                              ;   in Loop: Header=BB7_81 Depth=1
	v_cmp_lt_u32_e32 vcc_lo, 0x3bffffff, v13
	s_mov_b32 s11, 0
                                        ; implicit-def: $vgpr13
	s_and_saveexec_b32 s12, vcc_lo
	s_delay_alu instid0(SALU_CYCLE_1)
	s_xor_b32 s12, exec_lo, s12
	s_cbranch_execnz .LBB7_202
; %bb.158:                              ;   in Loop: Header=BB7_81 Depth=1
	s_or_saveexec_b32 s12, s12
                                        ; implicit-def: $sgpr13
	s_delay_alu instid0(SALU_CYCLE_1)
	s_xor_b32 exec_lo, exec_lo, s12
	s_cbranch_execnz .LBB7_203
.LBB7_159:                              ;   in Loop: Header=BB7_81 Depth=1
	s_or_b32 exec_lo, exec_lo, s12
	v_mov_b32_e32 v5, s13
	s_and_saveexec_b32 s12, s11
.LBB7_160:                              ;   in Loop: Header=BB7_81 Depth=1
	v_lshrrev_b32_e32 v5, 24, v12
	s_delay_alu instid0(VALU_DEP_1)
	v_and_or_b32 v5, 0x80, v5, v13
.LBB7_161:                              ;   in Loop: Header=BB7_81 Depth=1
	s_or_b32 exec_lo, exec_lo, s12
.LBB7_162:                              ;   in Loop: Header=BB7_81 Depth=1
	s_delay_alu instid0(SALU_CYCLE_1) | instskip(SKIP_3) | instid1(VALU_DEP_1)
	s_or_b32 exec_lo, exec_lo, s10
	v_lshrrev_b32_e32 v3, 16, v3
	v_fma_mixlo_f16 v11, v7, v11, 0
	s_mov_b32 s10, exec_lo
	v_mul_f16_e32 v3, v3, v11
	s_delay_alu instid0(VALU_DEP_1) | instskip(NEXT) | instid1(VALU_DEP_1)
	v_cvt_f32_f16_e32 v3, v3
	v_div_scale_f32 v11, null, v8, v8, v3
	s_delay_alu instid0(VALU_DEP_1) | instskip(SKIP_2) | instid1(VALU_DEP_1)
	v_rcp_f32_e32 v12, v11
	s_waitcnt_depctr 0xfff
	v_fma_f32 v13, -v11, v12, 1.0
	v_fmac_f32_e32 v12, v13, v12
	v_div_scale_f32 v13, vcc_lo, v3, v8, v3
	s_delay_alu instid0(VALU_DEP_1) | instskip(NEXT) | instid1(VALU_DEP_1)
	v_mul_f32_e32 v14, v13, v12
	v_fma_f32 v15, -v11, v14, v13
	s_delay_alu instid0(VALU_DEP_1) | instskip(NEXT) | instid1(VALU_DEP_1)
	v_fmac_f32_e32 v14, v15, v12
	v_fma_f32 v11, -v11, v14, v13
	s_delay_alu instid0(VALU_DEP_1) | instskip(NEXT) | instid1(VALU_DEP_1)
	v_div_fmas_f32 v11, v11, v12, v14
	v_div_fixup_f32 v3, v11, v8, v3
	s_delay_alu instid0(VALU_DEP_1) | instskip(NEXT) | instid1(VALU_DEP_1)
	v_minmax_f32 v3, v3, s5, 0xc3600000
	v_and_b32_e32 v11, 0x7fffffff, v3
	s_delay_alu instid0(VALU_DEP_1)
	v_cmpx_gt_u32_e32 0x43800000, v11
	s_cbranch_execz .LBB7_168
; %bb.163:                              ;   in Loop: Header=BB7_81 Depth=1
	v_cmp_lt_u32_e32 vcc_lo, 0x3bffffff, v11
	s_mov_b32 s11, 0
                                        ; implicit-def: $vgpr11
	s_and_saveexec_b32 s12, vcc_lo
	s_delay_alu instid0(SALU_CYCLE_1)
	s_xor_b32 s12, exec_lo, s12
	s_cbranch_execnz .LBB7_204
; %bb.164:                              ;   in Loop: Header=BB7_81 Depth=1
	s_or_saveexec_b32 s12, s12
                                        ; implicit-def: $sgpr13
	s_delay_alu instid0(SALU_CYCLE_1)
	s_xor_b32 exec_lo, exec_lo, s12
	s_cbranch_execnz .LBB7_205
.LBB7_165:                              ;   in Loop: Header=BB7_81 Depth=1
	s_or_b32 exec_lo, exec_lo, s12
	v_mov_b32_e32 v6, s13
	s_and_saveexec_b32 s12, s11
.LBB7_166:                              ;   in Loop: Header=BB7_81 Depth=1
	v_lshrrev_b32_e32 v3, 24, v3
	s_delay_alu instid0(VALU_DEP_1)
	v_and_or_b32 v6, 0x80, v3, v11
.LBB7_167:                              ;   in Loop: Header=BB7_81 Depth=1
	s_or_b32 exec_lo, exec_lo, s12
.LBB7_168:                              ;   in Loop: Header=BB7_81 Depth=1
	s_delay_alu instid0(SALU_CYCLE_1) | instskip(SKIP_2) | instid1(VALU_DEP_1)
	s_or_b32 exec_lo, exec_lo, s10
	v_fma_mixlo_f16 v3, v7, v10, 0
	s_mov_b32 s10, exec_lo
	v_mul_f16_e32 v3, v4, v3
	s_delay_alu instid0(VALU_DEP_1) | instskip(NEXT) | instid1(VALU_DEP_1)
	v_cvt_f32_f16_e32 v3, v3
	v_div_scale_f32 v10, null, v8, v8, v3
	v_div_scale_f32 v13, vcc_lo, v3, v8, v3
	s_delay_alu instid0(VALU_DEP_2) | instskip(SKIP_2) | instid1(VALU_DEP_1)
	v_rcp_f32_e32 v11, v10
	s_waitcnt_depctr 0xfff
	v_fma_f32 v12, -v10, v11, 1.0
	v_fmac_f32_e32 v11, v12, v11
	s_delay_alu instid0(VALU_DEP_1) | instskip(NEXT) | instid1(VALU_DEP_1)
	v_mul_f32_e32 v12, v13, v11
	v_fma_f32 v14, -v10, v12, v13
	s_delay_alu instid0(VALU_DEP_1) | instskip(NEXT) | instid1(VALU_DEP_1)
	v_fmac_f32_e32 v12, v14, v11
	v_fma_f32 v10, -v10, v12, v13
	s_delay_alu instid0(VALU_DEP_1) | instskip(NEXT) | instid1(VALU_DEP_1)
	v_div_fmas_f32 v10, v10, v11, v12
	v_div_fixup_f32 v3, v10, v8, v3
	v_mov_b32_e32 v10, 0x80
	s_delay_alu instid0(VALU_DEP_2) | instskip(SKIP_1) | instid1(VALU_DEP_2)
	v_minmax_f32 v11, v3, s5, 0xc3600000
	v_mov_b32_e32 v3, 0x80
	v_and_b32_e32 v12, 0x7fffffff, v11
	s_delay_alu instid0(VALU_DEP_1)
	v_cmpx_gt_u32_e32 0x43800000, v12
	s_cbranch_execz .LBB7_174
; %bb.169:                              ;   in Loop: Header=BB7_81 Depth=1
	v_cmp_lt_u32_e32 vcc_lo, 0x3bffffff, v12
	s_mov_b32 s11, 0
                                        ; implicit-def: $vgpr12
	s_and_saveexec_b32 s12, vcc_lo
	s_delay_alu instid0(SALU_CYCLE_1)
	s_xor_b32 s12, exec_lo, s12
	s_cbranch_execnz .LBB7_206
; %bb.170:                              ;   in Loop: Header=BB7_81 Depth=1
	s_or_saveexec_b32 s12, s12
                                        ; implicit-def: $sgpr13
	s_delay_alu instid0(SALU_CYCLE_1)
	s_xor_b32 exec_lo, exec_lo, s12
	s_cbranch_execnz .LBB7_207
.LBB7_171:                              ;   in Loop: Header=BB7_81 Depth=1
	s_or_b32 exec_lo, exec_lo, s12
	v_mov_b32_e32 v10, s13
	s_and_saveexec_b32 s12, s11
.LBB7_172:                              ;   in Loop: Header=BB7_81 Depth=1
	v_lshrrev_b32_e32 v10, 24, v11
	s_delay_alu instid0(VALU_DEP_1)
	v_and_or_b32 v10, 0x80, v10, v12
.LBB7_173:                              ;   in Loop: Header=BB7_81 Depth=1
	s_or_b32 exec_lo, exec_lo, s12
.LBB7_174:                              ;   in Loop: Header=BB7_81 Depth=1
	s_delay_alu instid0(SALU_CYCLE_1) | instskip(SKIP_3) | instid1(VALU_DEP_1)
	s_or_b32 exec_lo, exec_lo, s10
	v_lshrrev_b32_e32 v4, 16, v4
	v_fma_mixlo_f16 v9, v7, v9, 0
	s_mov_b32 s10, exec_lo
	v_mul_f16_e32 v4, v4, v9
	s_delay_alu instid0(VALU_DEP_1) | instskip(NEXT) | instid1(VALU_DEP_1)
	v_cvt_f32_f16_e32 v4, v4
	v_div_scale_f32 v9, null, v8, v8, v4
	s_delay_alu instid0(VALU_DEP_1) | instskip(SKIP_2) | instid1(VALU_DEP_1)
	v_rcp_f32_e32 v11, v9
	s_waitcnt_depctr 0xfff
	v_fma_f32 v12, -v9, v11, 1.0
	v_fmac_f32_e32 v11, v12, v11
	v_div_scale_f32 v12, vcc_lo, v4, v8, v4
	s_delay_alu instid0(VALU_DEP_1) | instskip(NEXT) | instid1(VALU_DEP_1)
	v_mul_f32_e32 v13, v12, v11
	v_fma_f32 v14, -v9, v13, v12
	s_delay_alu instid0(VALU_DEP_1) | instskip(NEXT) | instid1(VALU_DEP_1)
	v_fmac_f32_e32 v13, v14, v11
	v_fma_f32 v9, -v9, v13, v12
	s_delay_alu instid0(VALU_DEP_1) | instskip(NEXT) | instid1(VALU_DEP_1)
	v_div_fmas_f32 v9, v9, v11, v13
	v_div_fixup_f32 v4, v9, v8, v4
	s_delay_alu instid0(VALU_DEP_1) | instskip(NEXT) | instid1(VALU_DEP_1)
	v_minmax_f32 v4, v4, s5, 0xc3600000
	v_and_b32_e32 v9, 0x7fffffff, v4
	s_delay_alu instid0(VALU_DEP_1)
	v_cmpx_gt_u32_e32 0x43800000, v9
	s_cbranch_execz .LBB7_77
; %bb.175:                              ;   in Loop: Header=BB7_81 Depth=1
	v_cmp_lt_u32_e32 vcc_lo, 0x3bffffff, v9
	s_mov_b32 s11, 0
                                        ; implicit-def: $vgpr9
	s_and_saveexec_b32 s12, vcc_lo
	s_delay_alu instid0(SALU_CYCLE_1)
	s_xor_b32 s12, exec_lo, s12
	s_cbranch_execnz .LBB7_208
; %bb.176:                              ;   in Loop: Header=BB7_81 Depth=1
	s_or_saveexec_b32 s12, s12
                                        ; implicit-def: $sgpr13
	s_delay_alu instid0(SALU_CYCLE_1)
	s_xor_b32 exec_lo, exec_lo, s12
	s_cbranch_execnz .LBB7_209
.LBB7_177:                              ;   in Loop: Header=BB7_81 Depth=1
	s_or_b32 exec_lo, exec_lo, s12
	v_mov_b32_e32 v3, s13
	s_and_saveexec_b32 s12, s11
	s_cbranch_execz .LBB7_76
	s_branch .LBB7_210
.LBB7_178:                              ;   in Loop: Header=BB7_81 Depth=1
	v_bfe_u32 v5, v11, 20, 1
	s_mov_b32 s7, exec_lo
	s_delay_alu instid0(VALU_DEP_1) | instskip(NEXT) | instid1(VALU_DEP_1)
	v_add3_u32 v5, v11, v5, 0x487ffff
	v_lshrrev_b32_e32 v12, 20, v5
	s_or_saveexec_b32 s8, s8
                                        ; implicit-def: $sgpr10
	s_delay_alu instid0(SALU_CYCLE_1)
	s_xor_b32 exec_lo, exec_lo, s8
	s_cbranch_execz .LBB7_84
.LBB7_179:                              ;   in Loop: Header=BB7_81 Depth=1
	v_add_f32_e64 v5, 0x46000000, |v11|
	s_and_not1_b32 s7, s7, exec_lo
	s_mov_b32 s10, 0
	s_delay_alu instid0(VALU_DEP_1) | instskip(NEXT) | instid1(VALU_DEP_1)
	v_and_b32_e32 v12, 0xff, v5
	v_cmp_ne_u32_e32 vcc_lo, 0, v12
	s_and_b32 s11, vcc_lo, exec_lo
	s_delay_alu instid0(SALU_CYCLE_1)
	s_or_b32 s7, s7, s11
	s_or_b32 exec_lo, exec_lo, s8
	v_mov_b32_e32 v5, s10
	s_and_saveexec_b32 s8, s7
	s_cbranch_execnz .LBB7_85
	s_branch .LBB7_86
.LBB7_180:                              ;   in Loop: Header=BB7_81 Depth=1
	v_bfe_u32 v4, v2, 20, 1
	s_mov_b32 s7, exec_lo
	s_delay_alu instid0(VALU_DEP_1) | instskip(NEXT) | instid1(VALU_DEP_1)
	v_add3_u32 v4, v2, v4, 0x487ffff
	v_lshrrev_b32_e32 v10, 20, v4
	s_or_saveexec_b32 s8, s8
                                        ; implicit-def: $sgpr10
	s_delay_alu instid0(SALU_CYCLE_1)
	s_xor_b32 exec_lo, exec_lo, s8
	s_cbranch_execz .LBB7_90
.LBB7_181:                              ;   in Loop: Header=BB7_81 Depth=1
	v_add_f32_e64 v4, 0x46000000, |v2|
	s_and_not1_b32 s7, s7, exec_lo
	s_mov_b32 s10, 0
	s_delay_alu instid0(VALU_DEP_1) | instskip(NEXT) | instid1(VALU_DEP_1)
	v_and_b32_e32 v10, 0xff, v4
	v_cmp_ne_u32_e32 vcc_lo, 0, v10
	s_and_b32 s11, vcc_lo, exec_lo
	s_delay_alu instid0(SALU_CYCLE_1)
	s_or_b32 s7, s7, s11
	s_or_b32 exec_lo, exec_lo, s8
	v_mov_b32_e32 v4, s10
	s_and_saveexec_b32 s8, s7
	s_cbranch_execnz .LBB7_91
	s_branch .LBB7_92
.LBB7_182:                              ;   in Loop: Header=BB7_81 Depth=1
	v_bfe_u32 v9, v10, 20, 1
	s_mov_b32 s7, exec_lo
	s_delay_alu instid0(VALU_DEP_1) | instskip(NEXT) | instid1(VALU_DEP_1)
	v_add3_u32 v9, v10, v9, 0x487ffff
	v_lshrrev_b32_e32 v11, 20, v9
	s_or_saveexec_b32 s8, s8
                                        ; implicit-def: $sgpr10
	s_delay_alu instid0(SALU_CYCLE_1)
	s_xor_b32 exec_lo, exec_lo, s8
	s_cbranch_execz .LBB7_96
.LBB7_183:                              ;   in Loop: Header=BB7_81 Depth=1
	v_add_f32_e64 v9, 0x46000000, |v10|
	s_and_not1_b32 s7, s7, exec_lo
	s_mov_b32 s10, 0
	s_delay_alu instid0(VALU_DEP_1) | instskip(NEXT) | instid1(VALU_DEP_1)
	v_and_b32_e32 v11, 0xff, v9
	v_cmp_ne_u32_e32 vcc_lo, 0, v11
	s_and_b32 s11, vcc_lo, exec_lo
	s_delay_alu instid0(SALU_CYCLE_1)
	s_or_b32 s7, s7, s11
	s_or_b32 exec_lo, exec_lo, s8
	v_mov_b32_e32 v9, s10
	s_and_saveexec_b32 s8, s7
	s_cbranch_execnz .LBB7_97
	s_branch .LBB7_98
.LBB7_184:                              ;   in Loop: Header=BB7_81 Depth=1
	v_bfe_u32 v2, v3, 20, 1
	s_mov_b32 s7, exec_lo
	s_delay_alu instid0(VALU_DEP_1) | instskip(NEXT) | instid1(VALU_DEP_1)
	v_add3_u32 v2, v3, v2, 0x487ffff
	v_lshrrev_b32_e32 v6, 20, v2
	s_or_saveexec_b32 s8, s8
                                        ; implicit-def: $sgpr10
	s_delay_alu instid0(SALU_CYCLE_1)
	s_xor_b32 exec_lo, exec_lo, s8
	s_cbranch_execz .LBB7_102
.LBB7_185:                              ;   in Loop: Header=BB7_81 Depth=1
	v_add_f32_e64 v2, 0x46000000, |v3|
	s_and_not1_b32 s7, s7, exec_lo
	s_mov_b32 s10, 0
	s_delay_alu instid0(VALU_DEP_1) | instskip(NEXT) | instid1(VALU_DEP_1)
	v_and_b32_e32 v6, 0xff, v2
	v_cmp_ne_u32_e32 vcc_lo, 0, v6
	s_and_b32 s11, vcc_lo, exec_lo
	s_delay_alu instid0(SALU_CYCLE_1)
	s_or_b32 s7, s7, s11
	s_or_b32 exec_lo, exec_lo, s8
	v_mov_b32_e32 v2, s10
	s_and_saveexec_b32 s8, s7
	s_cbranch_execnz .LBB7_103
	s_branch .LBB7_104
.LBB7_186:                              ;   in Loop: Header=BB7_81 Depth=1
	v_bfe_u32 v9, v13, 20, 1
	s_mov_b32 s8, exec_lo
	s_delay_alu instid0(VALU_DEP_1) | instskip(NEXT) | instid1(VALU_DEP_1)
	v_add3_u32 v9, v13, v9, 0x487ffff
	v_lshrrev_b32_e32 v14, 20, v9
	s_or_saveexec_b32 s10, s10
                                        ; implicit-def: $sgpr11
	s_delay_alu instid0(SALU_CYCLE_1)
	s_xor_b32 exec_lo, exec_lo, s10
	s_cbranch_execz .LBB7_109
.LBB7_187:                              ;   in Loop: Header=BB7_81 Depth=1
	v_add_f32_e64 v9, 0x46000000, |v13|
	s_and_not1_b32 s8, s8, exec_lo
	s_mov_b32 s11, 0
	s_delay_alu instid0(VALU_DEP_1) | instskip(NEXT) | instid1(VALU_DEP_1)
	v_and_b32_e32 v14, 0xff, v9
	v_cmp_ne_u32_e32 vcc_lo, 0, v14
	s_and_b32 s12, vcc_lo, exec_lo
	s_delay_alu instid0(SALU_CYCLE_1)
	s_or_b32 s8, s8, s12
	s_or_b32 exec_lo, exec_lo, s10
	v_mov_b32_e32 v9, s11
	s_and_saveexec_b32 s10, s8
	s_cbranch_execnz .LBB7_110
	s_branch .LBB7_111
.LBB7_188:                              ;   in Loop: Header=BB7_81 Depth=1
	v_bfe_u32 v6, v4, 20, 1
	s_mov_b32 s8, exec_lo
	s_delay_alu instid0(VALU_DEP_1) | instskip(NEXT) | instid1(VALU_DEP_1)
	v_add3_u32 v6, v4, v6, 0x487ffff
	v_lshrrev_b32_e32 v12, 20, v6
	s_or_saveexec_b32 s10, s10
                                        ; implicit-def: $sgpr11
	s_delay_alu instid0(SALU_CYCLE_1)
	s_xor_b32 exec_lo, exec_lo, s10
	s_cbranch_execz .LBB7_115
.LBB7_189:                              ;   in Loop: Header=BB7_81 Depth=1
	v_add_f32_e64 v6, 0x46000000, |v4|
	s_and_not1_b32 s8, s8, exec_lo
	s_mov_b32 s11, 0
	s_delay_alu instid0(VALU_DEP_1) | instskip(NEXT) | instid1(VALU_DEP_1)
	v_and_b32_e32 v12, 0xff, v6
	v_cmp_ne_u32_e32 vcc_lo, 0, v12
	s_and_b32 s12, vcc_lo, exec_lo
	s_delay_alu instid0(SALU_CYCLE_1)
	s_or_b32 s8, s8, s12
	s_or_b32 exec_lo, exec_lo, s10
	v_mov_b32_e32 v6, s11
	s_and_saveexec_b32 s10, s8
	s_cbranch_execnz .LBB7_116
	s_branch .LBB7_117
.LBB7_190:                              ;   in Loop: Header=BB7_81 Depth=1
	v_bfe_u32 v11, v12, 20, 1
	s_mov_b32 s8, exec_lo
	s_delay_alu instid0(VALU_DEP_1) | instskip(NEXT) | instid1(VALU_DEP_1)
	v_add3_u32 v11, v12, v11, 0x487ffff
	v_lshrrev_b32_e32 v13, 20, v11
	s_or_saveexec_b32 s10, s10
                                        ; implicit-def: $sgpr11
	s_delay_alu instid0(SALU_CYCLE_1)
	s_xor_b32 exec_lo, exec_lo, s10
	s_cbranch_execz .LBB7_121
.LBB7_191:                              ;   in Loop: Header=BB7_81 Depth=1
	v_add_f32_e64 v11, 0x46000000, |v12|
	s_and_not1_b32 s8, s8, exec_lo
	s_mov_b32 s11, 0
	s_delay_alu instid0(VALU_DEP_1) | instskip(NEXT) | instid1(VALU_DEP_1)
	v_and_b32_e32 v13, 0xff, v11
	v_cmp_ne_u32_e32 vcc_lo, 0, v13
	s_and_b32 s12, vcc_lo, exec_lo
	s_delay_alu instid0(SALU_CYCLE_1)
	s_or_b32 s8, s8, s12
	s_or_b32 exec_lo, exec_lo, s10
	v_mov_b32_e32 v11, s11
	s_and_saveexec_b32 s10, s8
	s_cbranch_execnz .LBB7_122
	s_branch .LBB7_123
.LBB7_192:                              ;   in Loop: Header=BB7_81 Depth=1
	v_bfe_u32 v4, v5, 20, 1
	s_mov_b32 s8, exec_lo
	s_delay_alu instid0(VALU_DEP_1) | instskip(NEXT) | instid1(VALU_DEP_1)
	v_add3_u32 v4, v5, v4, 0x487ffff
	v_lshrrev_b32_e32 v10, 20, v4
	s_or_saveexec_b32 s10, s10
                                        ; implicit-def: $sgpr11
	s_delay_alu instid0(SALU_CYCLE_1)
	s_xor_b32 exec_lo, exec_lo, s10
	s_cbranch_execz .LBB7_127
.LBB7_193:                              ;   in Loop: Header=BB7_81 Depth=1
	v_add_f32_e64 v4, 0x46000000, |v5|
	s_and_not1_b32 s8, s8, exec_lo
	s_mov_b32 s11, 0
	s_delay_alu instid0(VALU_DEP_1) | instskip(NEXT) | instid1(VALU_DEP_1)
	v_and_b32_e32 v10, 0xff, v4
	v_cmp_ne_u32_e32 vcc_lo, 0, v10
	s_and_b32 s12, vcc_lo, exec_lo
	s_delay_alu instid0(SALU_CYCLE_1)
	s_or_b32 s8, s8, s12
	s_or_b32 exec_lo, exec_lo, s10
	v_mov_b32_e32 v4, s11
	s_and_saveexec_b32 s10, s8
	s_cbranch_execnz .LBB7_128
	s_branch .LBB7_129
.LBB7_194:                              ;   in Loop: Header=BB7_81 Depth=1
	v_bfe_u32 v10, v14, 20, 1
	s_mov_b32 s10, exec_lo
	s_delay_alu instid0(VALU_DEP_1) | instskip(NEXT) | instid1(VALU_DEP_1)
	v_add3_u32 v10, v14, v10, 0x487ffff
	v_lshrrev_b32_e32 v15, 20, v10
	s_or_saveexec_b32 s11, s11
                                        ; implicit-def: $sgpr12
	s_delay_alu instid0(SALU_CYCLE_1)
	s_xor_b32 exec_lo, exec_lo, s11
	s_cbranch_execz .LBB7_134
.LBB7_195:                              ;   in Loop: Header=BB7_81 Depth=1
	v_add_f32_e64 v10, 0x46000000, |v14|
	s_and_not1_b32 s10, s10, exec_lo
	s_mov_b32 s12, 0
	s_delay_alu instid0(VALU_DEP_1) | instskip(NEXT) | instid1(VALU_DEP_1)
	v_and_b32_e32 v15, 0xff, v10
	v_cmp_ne_u32_e32 vcc_lo, 0, v15
	s_and_b32 s13, vcc_lo, exec_lo
	s_delay_alu instid0(SALU_CYCLE_1)
	s_or_b32 s10, s10, s13
	s_or_b32 exec_lo, exec_lo, s11
	v_mov_b32_e32 v10, s12
	s_and_saveexec_b32 s11, s10
	s_cbranch_execnz .LBB7_135
	s_branch .LBB7_136
.LBB7_196:                              ;   in Loop: Header=BB7_81 Depth=1
	v_bfe_u32 v9, v5, 20, 1
	s_mov_b32 s10, exec_lo
	s_delay_alu instid0(VALU_DEP_1) | instskip(NEXT) | instid1(VALU_DEP_1)
	v_add3_u32 v9, v5, v9, 0x487ffff
	v_lshrrev_b32_e32 v13, 20, v9
	s_or_saveexec_b32 s11, s11
                                        ; implicit-def: $sgpr12
	s_delay_alu instid0(SALU_CYCLE_1)
	s_xor_b32 exec_lo, exec_lo, s11
	s_cbranch_execz .LBB7_140
.LBB7_197:                              ;   in Loop: Header=BB7_81 Depth=1
	v_add_f32_e64 v9, 0x46000000, |v5|
	s_and_not1_b32 s10, s10, exec_lo
	s_mov_b32 s12, 0
	s_delay_alu instid0(VALU_DEP_1) | instskip(NEXT) | instid1(VALU_DEP_1)
	v_and_b32_e32 v13, 0xff, v9
	v_cmp_ne_u32_e32 vcc_lo, 0, v13
	s_and_b32 s13, vcc_lo, exec_lo
	s_delay_alu instid0(SALU_CYCLE_1)
	s_or_b32 s10, s10, s13
	s_or_b32 exec_lo, exec_lo, s11
	v_mov_b32_e32 v9, s12
	s_and_saveexec_b32 s11, s10
	s_cbranch_execnz .LBB7_141
	s_branch .LBB7_142
.LBB7_198:                              ;   in Loop: Header=BB7_81 Depth=1
	v_bfe_u32 v12, v13, 20, 1
	s_mov_b32 s10, exec_lo
	s_delay_alu instid0(VALU_DEP_1) | instskip(NEXT) | instid1(VALU_DEP_1)
	v_add3_u32 v12, v13, v12, 0x487ffff
	v_lshrrev_b32_e32 v14, 20, v12
	s_or_saveexec_b32 s11, s11
                                        ; implicit-def: $sgpr12
	s_delay_alu instid0(SALU_CYCLE_1)
	s_xor_b32 exec_lo, exec_lo, s11
	s_cbranch_execz .LBB7_146
.LBB7_199:                              ;   in Loop: Header=BB7_81 Depth=1
	v_add_f32_e64 v12, 0x46000000, |v13|
	s_and_not1_b32 s10, s10, exec_lo
	s_mov_b32 s12, 0
	s_delay_alu instid0(VALU_DEP_1) | instskip(NEXT) | instid1(VALU_DEP_1)
	v_and_b32_e32 v14, 0xff, v12
	v_cmp_ne_u32_e32 vcc_lo, 0, v14
	s_and_b32 s13, vcc_lo, exec_lo
	s_delay_alu instid0(SALU_CYCLE_1)
	s_or_b32 s10, s10, s13
	s_or_b32 exec_lo, exec_lo, s11
	v_mov_b32_e32 v12, s12
	s_and_saveexec_b32 s11, s10
	s_cbranch_execnz .LBB7_147
	s_branch .LBB7_148
.LBB7_200:                              ;   in Loop: Header=BB7_81 Depth=1
	v_bfe_u32 v5, v6, 20, 1
	s_mov_b32 s10, exec_lo
	s_delay_alu instid0(VALU_DEP_1) | instskip(NEXT) | instid1(VALU_DEP_1)
	v_add3_u32 v5, v6, v5, 0x487ffff
	v_lshrrev_b32_e32 v11, 20, v5
	s_or_saveexec_b32 s11, s11
                                        ; implicit-def: $sgpr12
	s_delay_alu instid0(SALU_CYCLE_1)
	s_xor_b32 exec_lo, exec_lo, s11
	s_cbranch_execz .LBB7_152
.LBB7_201:                              ;   in Loop: Header=BB7_81 Depth=1
	v_add_f32_e64 v5, 0x46000000, |v6|
	s_and_not1_b32 s10, s10, exec_lo
	s_mov_b32 s12, 0
	s_delay_alu instid0(VALU_DEP_1) | instskip(NEXT) | instid1(VALU_DEP_1)
	v_and_b32_e32 v11, 0xff, v5
	v_cmp_ne_u32_e32 vcc_lo, 0, v11
	s_and_b32 s13, vcc_lo, exec_lo
	s_delay_alu instid0(SALU_CYCLE_1)
	s_or_b32 s10, s10, s13
	s_or_b32 exec_lo, exec_lo, s11
	v_mov_b32_e32 v5, s12
	s_and_saveexec_b32 s11, s10
	s_cbranch_execnz .LBB7_153
	s_branch .LBB7_154
.LBB7_202:                              ;   in Loop: Header=BB7_81 Depth=1
	v_bfe_u32 v5, v12, 20, 1
	s_mov_b32 s11, exec_lo
	s_delay_alu instid0(VALU_DEP_1) | instskip(NEXT) | instid1(VALU_DEP_1)
	v_add3_u32 v5, v12, v5, 0x487ffff
	v_lshrrev_b32_e32 v13, 20, v5
	s_or_saveexec_b32 s12, s12
                                        ; implicit-def: $sgpr13
	s_delay_alu instid0(SALU_CYCLE_1)
	s_xor_b32 exec_lo, exec_lo, s12
	s_cbranch_execz .LBB7_159
.LBB7_203:                              ;   in Loop: Header=BB7_81 Depth=1
	v_add_f32_e64 v5, 0x46000000, |v12|
	s_and_not1_b32 s11, s11, exec_lo
	s_mov_b32 s13, 0
	s_delay_alu instid0(VALU_DEP_1) | instskip(NEXT) | instid1(VALU_DEP_1)
	v_and_b32_e32 v13, 0xff, v5
	v_cmp_ne_u32_e32 vcc_lo, 0, v13
	s_and_b32 s14, vcc_lo, exec_lo
	s_delay_alu instid0(SALU_CYCLE_1)
	s_or_b32 s11, s11, s14
	s_or_b32 exec_lo, exec_lo, s12
	v_mov_b32_e32 v5, s13
	s_and_saveexec_b32 s12, s11
	s_cbranch_execnz .LBB7_160
	s_branch .LBB7_161
.LBB7_204:                              ;   in Loop: Header=BB7_81 Depth=1
	v_bfe_u32 v6, v3, 20, 1
	s_mov_b32 s11, exec_lo
	s_delay_alu instid0(VALU_DEP_1) | instskip(NEXT) | instid1(VALU_DEP_1)
	v_add3_u32 v6, v3, v6, 0x487ffff
	v_lshrrev_b32_e32 v11, 20, v6
	s_or_saveexec_b32 s12, s12
                                        ; implicit-def: $sgpr13
	s_delay_alu instid0(SALU_CYCLE_1)
	s_xor_b32 exec_lo, exec_lo, s12
	s_cbranch_execz .LBB7_165
.LBB7_205:                              ;   in Loop: Header=BB7_81 Depth=1
	v_add_f32_e64 v6, 0x46000000, |v3|
	s_and_not1_b32 s11, s11, exec_lo
	s_mov_b32 s13, 0
	s_delay_alu instid0(VALU_DEP_1) | instskip(NEXT) | instid1(VALU_DEP_1)
	v_and_b32_e32 v11, 0xff, v6
	v_cmp_ne_u32_e32 vcc_lo, 0, v11
	s_and_b32 s14, vcc_lo, exec_lo
	s_delay_alu instid0(SALU_CYCLE_1)
	s_or_b32 s11, s11, s14
	s_or_b32 exec_lo, exec_lo, s12
	v_mov_b32_e32 v6, s13
	s_and_saveexec_b32 s12, s11
	s_cbranch_execnz .LBB7_166
	s_branch .LBB7_167
.LBB7_206:                              ;   in Loop: Header=BB7_81 Depth=1
	v_bfe_u32 v10, v11, 20, 1
	s_mov_b32 s11, exec_lo
	s_delay_alu instid0(VALU_DEP_1) | instskip(NEXT) | instid1(VALU_DEP_1)
	v_add3_u32 v10, v11, v10, 0x487ffff
	v_lshrrev_b32_e32 v12, 20, v10
	s_or_saveexec_b32 s12, s12
                                        ; implicit-def: $sgpr13
	s_delay_alu instid0(SALU_CYCLE_1)
	s_xor_b32 exec_lo, exec_lo, s12
	s_cbranch_execz .LBB7_171
.LBB7_207:                              ;   in Loop: Header=BB7_81 Depth=1
	v_add_f32_e64 v10, 0x46000000, |v11|
	s_and_not1_b32 s11, s11, exec_lo
	s_mov_b32 s13, 0
	s_delay_alu instid0(VALU_DEP_1) | instskip(NEXT) | instid1(VALU_DEP_1)
	v_and_b32_e32 v12, 0xff, v10
	v_cmp_ne_u32_e32 vcc_lo, 0, v12
	s_and_b32 s14, vcc_lo, exec_lo
	s_delay_alu instid0(SALU_CYCLE_1)
	s_or_b32 s11, s11, s14
	s_or_b32 exec_lo, exec_lo, s12
	v_mov_b32_e32 v10, s13
	s_and_saveexec_b32 s12, s11
	s_cbranch_execnz .LBB7_172
	s_branch .LBB7_173
.LBB7_208:                              ;   in Loop: Header=BB7_81 Depth=1
	v_bfe_u32 v3, v4, 20, 1
	s_mov_b32 s11, exec_lo
	s_delay_alu instid0(VALU_DEP_1) | instskip(NEXT) | instid1(VALU_DEP_1)
	v_add3_u32 v3, v4, v3, 0x487ffff
	v_lshrrev_b32_e32 v9, 20, v3
	s_or_saveexec_b32 s12, s12
                                        ; implicit-def: $sgpr13
	s_delay_alu instid0(SALU_CYCLE_1)
	s_xor_b32 exec_lo, exec_lo, s12
	s_cbranch_execz .LBB7_177
.LBB7_209:                              ;   in Loop: Header=BB7_81 Depth=1
	v_add_f32_e64 v3, 0x46000000, |v4|
	s_and_not1_b32 s11, s11, exec_lo
	s_mov_b32 s13, 0
	s_delay_alu instid0(VALU_DEP_1) | instskip(NEXT) | instid1(VALU_DEP_1)
	v_and_b32_e32 v9, 0xff, v3
	v_cmp_ne_u32_e32 vcc_lo, 0, v9
	s_and_b32 s14, vcc_lo, exec_lo
	s_delay_alu instid0(SALU_CYCLE_1)
	s_or_b32 s11, s11, s14
	s_or_b32 exec_lo, exec_lo, s12
	v_mov_b32_e32 v3, s13
	s_and_saveexec_b32 s12, s11
	s_cbranch_execz .LBB7_76
.LBB7_210:                              ;   in Loop: Header=BB7_81 Depth=1
	v_lshrrev_b32_e32 v3, 24, v4
	s_delay_alu instid0(VALU_DEP_1)
	v_and_or_b32 v3, 0x80, v3, v9
	s_branch .LBB7_76
.LBB7_211:
	s_nop 0
	s_sendmsg sendmsg(MSG_DEALLOC_VGPRS)
	s_endpgm
	.section	.rodata,"a",@progbits
	.p2align	6, 0x0
	.amdhsa_kernel _ZN4vllm39rms_norm_dynamic_per_token_quant_kernelIN3c104HalfENS1_15Float8_e4m3fnuzELb1EEEvPT0_PfPKT_S9_PKffiiPS7_
		.amdhsa_group_segment_fixed_size 528
		.amdhsa_private_segment_fixed_size 0
		.amdhsa_kernarg_size 320
		.amdhsa_user_sgpr_count 15
		.amdhsa_user_sgpr_dispatch_ptr 0
		.amdhsa_user_sgpr_queue_ptr 0
		.amdhsa_user_sgpr_kernarg_segment_ptr 1
		.amdhsa_user_sgpr_dispatch_id 0
		.amdhsa_user_sgpr_private_segment_size 0
		.amdhsa_wavefront_size32 1
		.amdhsa_uses_dynamic_stack 0
		.amdhsa_enable_private_segment 0
		.amdhsa_system_sgpr_workgroup_id_x 1
		.amdhsa_system_sgpr_workgroup_id_y 0
		.amdhsa_system_sgpr_workgroup_id_z 0
		.amdhsa_system_sgpr_workgroup_info 0
		.amdhsa_system_vgpr_workitem_id 0
		.amdhsa_next_free_vgpr 27
		.amdhsa_next_free_sgpr 38
		.amdhsa_reserve_vcc 1
		.amdhsa_float_round_mode_32 0
		.amdhsa_float_round_mode_16_64 0
		.amdhsa_float_denorm_mode_32 3
		.amdhsa_float_denorm_mode_16_64 3
		.amdhsa_dx10_clamp 1
		.amdhsa_ieee_mode 1
		.amdhsa_fp16_overflow 0
		.amdhsa_workgroup_processor_mode 1
		.amdhsa_memory_ordered 1
		.amdhsa_forward_progress 0
		.amdhsa_shared_vgpr_count 0
		.amdhsa_exception_fp_ieee_invalid_op 0
		.amdhsa_exception_fp_denorm_src 0
		.amdhsa_exception_fp_ieee_div_zero 0
		.amdhsa_exception_fp_ieee_overflow 0
		.amdhsa_exception_fp_ieee_underflow 0
		.amdhsa_exception_fp_ieee_inexact 0
		.amdhsa_exception_int_div_zero 0
	.end_amdhsa_kernel
	.section	.text._ZN4vllm39rms_norm_dynamic_per_token_quant_kernelIN3c104HalfENS1_15Float8_e4m3fnuzELb1EEEvPT0_PfPKT_S9_PKffiiPS7_,"axG",@progbits,_ZN4vllm39rms_norm_dynamic_per_token_quant_kernelIN3c104HalfENS1_15Float8_e4m3fnuzELb1EEEvPT0_PfPKT_S9_PKffiiPS7_,comdat
.Lfunc_end7:
	.size	_ZN4vllm39rms_norm_dynamic_per_token_quant_kernelIN3c104HalfENS1_15Float8_e4m3fnuzELb1EEEvPT0_PfPKT_S9_PKffiiPS7_, .Lfunc_end7-_ZN4vllm39rms_norm_dynamic_per_token_quant_kernelIN3c104HalfENS1_15Float8_e4m3fnuzELb1EEEvPT0_PfPKT_S9_PKffiiPS7_
                                        ; -- End function
	.section	.AMDGPU.csdata,"",@progbits
; Kernel info:
; codeLenInByte = 14156
; NumSgprs: 40
; NumVgprs: 27
; ScratchSize: 0
; MemoryBound: 0
; FloatMode: 240
; IeeeMode: 1
; LDSByteSize: 528 bytes/workgroup (compile time only)
; SGPRBlocks: 4
; VGPRBlocks: 3
; NumSGPRsForWavesPerEU: 40
; NumVGPRsForWavesPerEU: 27
; Occupancy: 16
; WaveLimiterHint : 0
; COMPUTE_PGM_RSRC2:SCRATCH_EN: 0
; COMPUTE_PGM_RSRC2:USER_SGPR: 15
; COMPUTE_PGM_RSRC2:TRAP_HANDLER: 0
; COMPUTE_PGM_RSRC2:TGID_X_EN: 1
; COMPUTE_PGM_RSRC2:TGID_Y_EN: 0
; COMPUTE_PGM_RSRC2:TGID_Z_EN: 0
; COMPUTE_PGM_RSRC2:TIDIG_COMP_CNT: 0
	.section	.text._ZN4vllm39rms_norm_dynamic_per_token_quant_kernelIN3c104HalfEaLb1EEEvPT0_PfPKT_S8_PKffiiPS6_,"axG",@progbits,_ZN4vllm39rms_norm_dynamic_per_token_quant_kernelIN3c104HalfEaLb1EEEvPT0_PfPKT_S8_PKffiiPS6_,comdat
	.protected	_ZN4vllm39rms_norm_dynamic_per_token_quant_kernelIN3c104HalfEaLb1EEEvPT0_PfPKT_S8_PKffiiPS6_ ; -- Begin function _ZN4vllm39rms_norm_dynamic_per_token_quant_kernelIN3c104HalfEaLb1EEEvPT0_PfPKT_S8_PKffiiPS6_
	.globl	_ZN4vllm39rms_norm_dynamic_per_token_quant_kernelIN3c104HalfEaLb1EEEvPT0_PfPKT_S8_PKffiiPS6_
	.p2align	8
	.type	_ZN4vllm39rms_norm_dynamic_per_token_quant_kernelIN3c104HalfEaLb1EEEvPT0_PfPKT_S8_PKffiiPS6_,@function
_ZN4vllm39rms_norm_dynamic_per_token_quant_kernelIN3c104HalfEaLb1EEEvPT0_PfPKT_S8_PKffiiPS6_: ; @_ZN4vllm39rms_norm_dynamic_per_token_quant_kernelIN3c104HalfEaLb1EEEvPT0_PfPKT_S8_PKffiiPS6_
; %bb.0:
	s_mov_b32 s24, s15
	s_clause 0x3
	s_load_b128 s[20:23], s[0:1], 0x28
	s_load_b64 s[26:27], s[0:1], 0x20
	s_load_b256 s[12:19], s[0:1], 0x0
	s_load_b64 s[28:29], s[0:1], 0x38
	s_waitcnt lgkmcnt(0)
	s_or_b32 s2, s22, s21
	s_delay_alu instid0(SALU_CYCLE_1) | instskip(NEXT) | instid1(SALU_CYCLE_1)
	s_and_b32 s2, s2, 3
	s_cmp_lg_u32 s2, 0
	s_cbranch_scc0 .LBB8_31
; %bb.1:
	v_cmp_gt_u32_e64 s2, s21, v0
	v_cmp_le_u32_e64 s3, s21, v0
                                        ; implicit-def: $sgpr7
                                        ; implicit-def: $sgpr4_sgpr5
	s_delay_alu instid0(VALU_DEP_1) | instskip(NEXT) | instid1(SALU_CYCLE_1)
	s_and_saveexec_b32 s6, s3
	s_xor_b32 s6, exec_lo, s6
; %bb.2:
	s_add_u32 s4, s0, 64
	s_addc_u32 s5, s1, 0
	s_mov_b32 s7, 0
; %bb.3:
	s_or_saveexec_b32 s6, s6
	v_dual_mov_b32 v1, s4 :: v_dual_mov_b32 v4, s24
	v_dual_mov_b32 v3, s7 :: v_dual_mov_b32 v2, s5
	s_xor_b32 exec_lo, exec_lo, s6
	s_cbranch_execz .LBB8_7
; %bb.4:
	s_load_b32 s23, s[0:1], 0x4c
	s_ashr_i32 s5, s22, 31
	s_ashr_i32 s4, s21, 31
	s_mul_hi_u32 s8, s22, s24
	s_mul_i32 s5, s5, s24
	s_mul_i32 s9, s4, s24
	s_add_i32 s5, s8, s5
	s_mul_i32 s4, s22, s24
	s_mul_hi_u32 s7, s21, s24
	s_lshl_b64 s[4:5], s[4:5], 1
	s_add_i32 s11, s7, s9
	s_mul_i32 s10, s21, s24
	s_add_u32 s7, s16, s4
	s_addc_u32 s8, s17, s5
	s_lshl_b64 s[4:5], s[10:11], 1
	v_dual_mov_b32 v2, 0 :: v_dual_mov_b32 v3, 0
	s_add_u32 s9, s28, s4
	v_mov_b32_e32 v1, v0
	s_addc_u32 s10, s29, s5
	s_add_u32 s4, s0, 64
	s_addc_u32 s5, s1, 0
	s_waitcnt lgkmcnt(0)
	s_and_b32 s23, s23, 0xffff
	s_mov_b32 s11, 0
	.p2align	6
.LBB8_5:                                ; =>This Inner Loop Header: Depth=1
	v_lshlrev_b64 v[4:5], 1, v[1:2]
	s_delay_alu instid0(VALU_DEP_1) | instskip(NEXT) | instid1(VALU_DEP_2)
	v_add_co_u32 v6, vcc_lo, s7, v4
	v_add_co_ci_u32_e32 v7, vcc_lo, s8, v5, vcc_lo
	v_add_co_u32 v4, vcc_lo, s9, v4
	v_add_co_ci_u32_e32 v5, vcc_lo, s10, v5, vcc_lo
	global_load_u16 v6, v[6:7], off
	global_load_u16 v4, v[4:5], off
	s_waitcnt vmcnt(1)
	v_cvt_f32_f16_e32 v5, v6
	s_waitcnt vmcnt(0)
	v_cvt_f32_f16_e32 v4, v4
	s_delay_alu instid0(VALU_DEP_1) | instskip(NEXT) | instid1(VALU_DEP_1)
	v_dual_add_f32 v4, v5, v4 :: v_dual_add_nc_u32 v1, s23, v1
	v_cmp_le_u32_e32 vcc_lo, s21, v1
	s_delay_alu instid0(VALU_DEP_2) | instskip(SKIP_1) | instid1(SALU_CYCLE_1)
	v_fmac_f32_e32 v3, v4, v4
	s_or_b32 s11, vcc_lo, s11
	s_and_not1_b32 exec_lo, exec_lo, s11
	s_cbranch_execnz .LBB8_5
; %bb.6:
	s_or_b32 exec_lo, exec_lo, s11
	v_dual_mov_b32 v1, s4 :: v_dual_mov_b32 v2, s5
	v_mov_b32_e32 v4, s24
.LBB8_7:
	s_or_b32 exec_lo, exec_lo, s6
	global_load_b32 v5, v[1:2], off
	v_and_b32_e32 v14, 0x3e0, v0
	s_waitcnt vmcnt(0)
	v_cmp_lt_u32_e32 vcc_lo, v4, v5
	v_cndmask_b32_e64 v4, 18, 12, vcc_lo
	s_delay_alu instid0(VALU_DEP_1) | instskip(SKIP_3) | instid1(VALU_DEP_1)
	v_add_co_u32 v1, vcc_lo, v1, v4
	v_add_co_ci_u32_e32 v2, vcc_lo, 0, v2, vcc_lo
	global_load_u16 v1, v[1:2], off
	v_mbcnt_lo_u32_b32 v2, -1, 0
	v_cmp_ne_u32_e32 vcc_lo, 31, v2
	v_add_nc_u32_e32 v5, 1, v2
	v_cmp_eq_u32_e64 s5, 0, v2
	v_add_co_ci_u32_e32 v4, vcc_lo, 0, v2, vcc_lo
	v_cmp_gt_u32_e32 vcc_lo, 30, v2
	s_delay_alu instid0(VALU_DEP_2) | instskip(SKIP_4) | instid1(VALU_DEP_1)
	v_lshlrev_b32_e32 v4, 2, v4
	v_cndmask_b32_e64 v7, 0, 1, vcc_lo
	ds_bpermute_b32 v6, v4, v3
	s_waitcnt lgkmcnt(0)
	v_dual_add_f32 v8, v3, v6 :: v_dual_lshlrev_b32 v7, 1, v7
	v_add_lshl_u32 v6, v7, v2, 2
	s_waitcnt vmcnt(0)
	v_sub_nc_u32_e64 v15, v1, v14 clamp
	s_delay_alu instid0(VALU_DEP_1) | instskip(SKIP_3) | instid1(VALU_DEP_1)
	v_cmp_lt_u32_e32 vcc_lo, v5, v15
	v_cndmask_b32_e32 v3, v3, v8, vcc_lo
	v_cmp_gt_u32_e32 vcc_lo, 28, v2
	v_cndmask_b32_e64 v8, 0, 1, vcc_lo
	v_lshlrev_b32_e32 v9, 2, v8
	v_add_nc_u32_e32 v8, 2, v2
	ds_bpermute_b32 v7, v6, v3
	v_cmp_lt_u32_e32 vcc_lo, v8, v15
	s_waitcnt lgkmcnt(0)
	v_add_f32_e32 v10, v3, v7
	v_add_lshl_u32 v7, v9, v2, 2
	s_delay_alu instid0(VALU_DEP_2) | instskip(SKIP_4) | instid1(VALU_DEP_1)
	v_cndmask_b32_e32 v3, v3, v10, vcc_lo
	v_cmp_gt_u32_e32 vcc_lo, 24, v2
	ds_bpermute_b32 v9, v7, v3
	v_cndmask_b32_e64 v10, 0, 1, vcc_lo
	s_waitcnt lgkmcnt(0)
	v_dual_add_f32 v12, v3, v9 :: v_dual_lshlrev_b32 v11, 3, v10
	v_add_nc_u32_e32 v10, 4, v2
	s_delay_alu instid0(VALU_DEP_2) | instskip(NEXT) | instid1(VALU_DEP_2)
	v_add_lshl_u32 v9, v11, v2, 2
	v_cmp_lt_u32_e32 vcc_lo, v10, v15
	s_delay_alu instid0(VALU_DEP_4) | instskip(SKIP_4) | instid1(VALU_DEP_1)
	v_cndmask_b32_e32 v3, v3, v12, vcc_lo
	v_cmp_gt_u32_e32 vcc_lo, 16, v2
	ds_bpermute_b32 v11, v9, v3
	v_cndmask_b32_e64 v12, 0, 1, vcc_lo
	s_waitcnt lgkmcnt(0)
	v_dual_add_f32 v16, v3, v11 :: v_dual_lshlrev_b32 v13, 4, v12
	v_add_nc_u32_e32 v12, 8, v2
	s_delay_alu instid0(VALU_DEP_2) | instskip(NEXT) | instid1(VALU_DEP_2)
	v_add_lshl_u32 v11, v13, v2, 2
	v_cmp_lt_u32_e32 vcc_lo, v12, v15
	s_delay_alu instid0(VALU_DEP_4) | instskip(SKIP_3) | instid1(VALU_DEP_1)
	v_cndmask_b32_e32 v3, v3, v16, vcc_lo
	ds_bpermute_b32 v16, v11, v3
	s_waitcnt lgkmcnt(0)
	v_dual_add_f32 v16, v3, v16 :: v_dual_add_nc_u32 v13, 16, v2
	v_cmp_lt_u32_e32 vcc_lo, v13, v15
	s_delay_alu instid0(VALU_DEP_2)
	v_cndmask_b32_e32 v3, v3, v16, vcc_lo
	s_and_saveexec_b32 s4, s5
	s_cbranch_execz .LBB8_9
; %bb.8:
	v_lshrrev_b32_e32 v15, 3, v0
	s_delay_alu instid0(VALU_DEP_1)
	v_and_b32_e32 v15, 0x7c, v15
	ds_store_b32 v15, v3 offset:256
.LBB8_9:
	s_or_b32 exec_lo, exec_lo, s4
	v_cmp_gt_u32_e64 s6, 32, v0
	v_lshlrev_b32_e32 v15, 2, v2
	s_waitcnt lgkmcnt(0)
	s_barrier
	buffer_gl0_inv
	s_and_saveexec_b32 s4, s6
	s_cbranch_execz .LBB8_11
; %bb.10:
	ds_load_b32 v2, v15 offset:256
	s_waitcnt lgkmcnt(0)
	ds_bpermute_b32 v3, v4, v2
	s_waitcnt lgkmcnt(0)
	v_add_f32_e32 v3, v2, v3
	v_add_nc_u32_e32 v1, 31, v1
	s_delay_alu instid0(VALU_DEP_1) | instskip(NEXT) | instid1(VALU_DEP_1)
	v_lshrrev_b32_e32 v1, 5, v1
	v_cmp_lt_u32_e32 vcc_lo, v5, v1
	s_delay_alu instid0(VALU_DEP_4) | instskip(SKIP_4) | instid1(VALU_DEP_1)
	v_cndmask_b32_e32 v2, v2, v3, vcc_lo
	v_cmp_lt_u32_e32 vcc_lo, v8, v1
	ds_bpermute_b32 v3, v6, v2
	s_waitcnt lgkmcnt(0)
	v_add_f32_e32 v3, v2, v3
	v_cndmask_b32_e32 v2, v2, v3, vcc_lo
	v_cmp_lt_u32_e32 vcc_lo, v10, v1
	ds_bpermute_b32 v3, v7, v2
	s_waitcnt lgkmcnt(0)
	v_add_f32_e32 v3, v2, v3
	s_delay_alu instid0(VALU_DEP_1) | instskip(SKIP_4) | instid1(VALU_DEP_1)
	v_cndmask_b32_e32 v2, v2, v3, vcc_lo
	v_cmp_lt_u32_e32 vcc_lo, v12, v1
	ds_bpermute_b32 v3, v9, v2
	s_waitcnt lgkmcnt(0)
	v_add_f32_e32 v3, v2, v3
	v_cndmask_b32_e32 v2, v2, v3, vcc_lo
	v_cmp_lt_u32_e32 vcc_lo, v13, v1
	ds_bpermute_b32 v3, v11, v2
	s_waitcnt lgkmcnt(0)
	v_add_f32_e32 v3, v2, v3
	s_delay_alu instid0(VALU_DEP_1)
	v_cndmask_b32_e32 v3, v2, v3, vcc_lo
.LBB8_11:
	s_or_b32 exec_lo, exec_lo, s4
	v_cmp_eq_u32_e64 s4, 0, v0
	s_mov_b32 s25, 0
	s_delay_alu instid0(VALU_DEP_1)
	s_and_saveexec_b32 s7, s4
	s_cbranch_execz .LBB8_13
; %bb.12:
	v_cvt_f32_i32_e32 v1, s21
	s_delay_alu instid0(VALU_DEP_1) | instskip(SKIP_1) | instid1(VALU_DEP_2)
	v_div_scale_f32 v2, null, v1, v1, v3
	v_div_scale_f32 v18, vcc_lo, v3, v1, v3
	v_rcp_f32_e32 v16, v2
	s_waitcnt_depctr 0xfff
	v_fma_f32 v17, -v2, v16, 1.0
	s_delay_alu instid0(VALU_DEP_1) | instskip(NEXT) | instid1(VALU_DEP_1)
	v_fmac_f32_e32 v16, v17, v16
	v_mul_f32_e32 v17, v18, v16
	s_delay_alu instid0(VALU_DEP_1) | instskip(NEXT) | instid1(VALU_DEP_1)
	v_fma_f32 v19, -v2, v17, v18
	v_fmac_f32_e32 v17, v19, v16
	s_delay_alu instid0(VALU_DEP_1) | instskip(NEXT) | instid1(VALU_DEP_1)
	v_fma_f32 v2, -v2, v17, v18
	v_div_fmas_f32 v2, v2, v16, v17
	s_delay_alu instid0(VALU_DEP_1) | instskip(NEXT) | instid1(VALU_DEP_1)
	v_div_fixup_f32 v1, v2, v1, v3
	v_add_f32_e32 v1, s20, v1
	s_delay_alu instid0(VALU_DEP_1) | instskip(SKIP_1) | instid1(VALU_DEP_2)
	v_mul_f32_e32 v2, 0x4b800000, v1
	v_cmp_gt_f32_e32 vcc_lo, 0x800000, v1
	v_cndmask_b32_e32 v1, v1, v2, vcc_lo
	s_delay_alu instid0(VALU_DEP_1) | instskip(SKIP_2) | instid1(VALU_DEP_1)
	v_rsq_f32_e32 v1, v1
	s_waitcnt_depctr 0xfff
	v_mul_f32_e32 v2, 0x45800000, v1
	v_dual_cndmask_b32 v1, v1, v2 :: v_dual_mov_b32 v2, 0
	ds_store_b32 v2, v1 offset:520
.LBB8_13:
	s_or_b32 exec_lo, exec_lo, s7
	v_mov_b32_e32 v1, 0
	s_waitcnt lgkmcnt(0)
	s_barrier
	buffer_gl0_inv
                                        ; implicit-def: $sgpr7
                                        ; implicit-def: $sgpr8_sgpr9
	ds_load_b32 v3, v1 offset:520
	s_waitcnt lgkmcnt(0)
	s_barrier
	buffer_gl0_inv
	s_and_saveexec_b32 s10, s3
	s_delay_alu instid0(SALU_CYCLE_1)
	s_xor_b32 s3, exec_lo, s10
; %bb.14:
	s_add_u32 s8, s0, 64
	s_addc_u32 s9, s1, 0
	s_mov_b32 s7, 0
; %bb.15:
	s_or_saveexec_b32 s3, s3
	v_dual_mov_b32 v16, s7 :: v_dual_mov_b32 v1, s8
	v_mov_b32_e32 v2, s9
	s_mul_hi_u32 s11, s21, s24
	s_mul_i32 s30, s21, s24
	s_mul_hi_u32 s23, s22, s24
	s_mul_i32 s34, s22, s24
	s_xor_b32 exec_lo, exec_lo, s3
	s_cbranch_execz .LBB8_19
; %bb.16:
	s_load_b32 s36, s[0:1], 0x4c
	s_ashr_i32 s8, s22, 31
	s_ashr_i32 s7, s21, 31
	s_mul_i32 s8, s8, s24
	s_mul_i32 s7, s7, s24
	s_add_i32 s35, s23, s8
	s_add_i32 s31, s11, s7
	s_lshl_b64 s[8:9], s[34:35], 1
	v_dual_mov_b32 v2, 0 :: v_dual_mov_b32 v1, v0
	s_add_u32 s7, s16, s8
	s_addc_u32 s10, s17, s9
	s_lshl_b64 s[8:9], s[30:31], 1
	v_mov_b32_e32 v16, 0
	s_add_u32 s31, s28, s8
	s_addc_u32 s33, s29, s9
	s_add_u32 s8, s0, 64
	s_addc_u32 s9, s1, 0
	s_mov_b32 s35, 0
	s_waitcnt lgkmcnt(0)
	s_and_b32 s36, s36, 0xffff
	.p2align	6
.LBB8_17:                               ; =>This Inner Loop Header: Depth=1
	v_lshlrev_b64 v[17:18], 1, v[1:2]
	s_delay_alu instid0(VALU_DEP_2) | instskip(NEXT) | instid1(VALU_DEP_2)
	v_dual_max_f32 v16, v16, v16 :: v_dual_add_nc_u32 v1, s36, v1
	v_add_co_u32 v19, vcc_lo, s7, v17
	s_delay_alu instid0(VALU_DEP_3)
	v_add_co_ci_u32_e32 v20, vcc_lo, s10, v18, vcc_lo
	v_add_co_u32 v21, vcc_lo, s31, v17
	v_add_co_ci_u32_e32 v22, vcc_lo, s33, v18, vcc_lo
	global_load_u16 v19, v[19:20], off
	global_load_u16 v20, v[21:22], off
	v_add_co_u32 v17, vcc_lo, s18, v17
	v_add_co_ci_u32_e32 v18, vcc_lo, s19, v18, vcc_lo
	v_cmp_le_u32_e32 vcc_lo, s21, v1
	global_load_u16 v17, v[17:18], off
	s_or_b32 s35, vcc_lo, s35
	s_waitcnt vmcnt(2)
	v_cvt_f32_f16_e32 v18, v19
	s_waitcnt vmcnt(1)
	v_cvt_f32_f16_e32 v19, v20
	s_delay_alu instid0(VALU_DEP_1) | instskip(NEXT) | instid1(VALU_DEP_1)
	v_add_f32_e32 v18, v18, v19
	v_fma_mixlo_f16 v18, v3, v18, 0
	s_waitcnt vmcnt(0)
	s_delay_alu instid0(VALU_DEP_1) | instskip(NEXT) | instid1(VALU_DEP_1)
	v_mul_f16_e32 v17, v17, v18
	v_cvt_f32_f16_e64 v17, |v17|
	s_delay_alu instid0(VALU_DEP_1)
	v_max_f32_e32 v16, v16, v17
	s_and_not1_b32 exec_lo, exec_lo, s35
	s_cbranch_execnz .LBB8_17
; %bb.18:
	s_or_b32 exec_lo, exec_lo, s35
	v_dual_mov_b32 v1, s8 :: v_dual_mov_b32 v2, s9
.LBB8_19:
	s_or_b32 exec_lo, exec_lo, s3
	global_load_b32 v17, v[1:2], off
	s_waitcnt vmcnt(0)
	v_cmp_lt_u32_e32 vcc_lo, s24, v17
	v_cndmask_b32_e64 v17, 18, 12, vcc_lo
	s_delay_alu instid0(VALU_DEP_1)
	v_add_co_u32 v1, vcc_lo, v1, v17
	v_add_co_ci_u32_e32 v2, vcc_lo, 0, v2, vcc_lo
	global_load_u16 v1, v[1:2], off
	ds_bpermute_b32 v2, v4, v16
	s_waitcnt lgkmcnt(0)
	v_cmp_lt_f32_e32 vcc_lo, v16, v2
	v_cndmask_b32_e32 v2, v16, v2, vcc_lo
	s_waitcnt vmcnt(0)
	v_sub_nc_u32_e64 v14, v1, v14 clamp
	s_delay_alu instid0(VALU_DEP_1)
	v_cmp_lt_u32_e32 vcc_lo, v5, v14
	v_cmp_lt_u32_e64 s9, v13, v14
	v_cndmask_b32_e32 v2, v16, v2, vcc_lo
	ds_bpermute_b32 v17, v6, v2
	s_waitcnt lgkmcnt(0)
	v_cmp_lt_f32_e64 s3, v2, v17
	s_delay_alu instid0(VALU_DEP_1) | instskip(SKIP_1) | instid1(VALU_DEP_1)
	v_cndmask_b32_e64 v17, v2, v17, s3
	v_cmp_lt_u32_e64 s3, v8, v14
	v_cndmask_b32_e64 v2, v2, v17, s3
	s_or_b32 s3, vcc_lo, s3
	ds_bpermute_b32 v17, v7, v2
	s_waitcnt lgkmcnt(0)
	v_cmp_lt_f32_e64 s7, v2, v17
	s_delay_alu instid0(VALU_DEP_1) | instskip(SKIP_1) | instid1(VALU_DEP_1)
	v_cndmask_b32_e64 v17, v2, v17, s7
	v_cmp_lt_u32_e64 s7, v10, v14
	v_cndmask_b32_e64 v2, v2, v17, s7
	s_or_b32 s3, s7, s3
	ds_bpermute_b32 v17, v9, v2
	s_waitcnt lgkmcnt(0)
	v_cmp_lt_f32_e64 s8, v2, v17
	s_delay_alu instid0(VALU_DEP_1) | instskip(SKIP_1) | instid1(VALU_DEP_1)
	v_cndmask_b32_e64 v17, v2, v17, s8
	v_cmp_lt_u32_e64 s8, v12, v14
	v_cndmask_b32_e64 v2, v2, v17, s8
	s_or_b32 s3, s8, s3
	ds_bpermute_b32 v17, v11, v2
	s_waitcnt lgkmcnt(0)
	v_cmp_lt_f32_e64 s10, v2, v17
	s_delay_alu instid0(VALU_DEP_1) | instskip(SKIP_2) | instid1(VALU_DEP_1)
	s_and_b32 vcc_lo, s9, s10
	v_cndmask_b32_e32 v2, v2, v17, vcc_lo
	s_or_b32 vcc_lo, s9, s3
	v_cndmask_b32_e32 v2, v16, v2, vcc_lo
	s_and_saveexec_b32 s3, s5
	s_cbranch_execz .LBB8_21
; %bb.20:
	v_lshrrev_b32_e32 v14, 3, v0
	s_delay_alu instid0(VALU_DEP_1)
	v_and_b32_e32 v14, 0x7c, v14
	ds_store_b32 v14, v2 offset:384
.LBB8_21:
	s_or_b32 exec_lo, exec_lo, s3
	s_waitcnt lgkmcnt(0)
	s_barrier
	buffer_gl0_inv
	s_and_saveexec_b32 s9, s6
	s_cbranch_execz .LBB8_23
; %bb.22:
	ds_load_b32 v2, v15 offset:384
	s_waitcnt lgkmcnt(0)
	ds_bpermute_b32 v4, v4, v2
	s_waitcnt lgkmcnt(0)
	v_cmp_lt_f32_e32 vcc_lo, v2, v4
	v_dual_cndmask_b32 v4, v2, v4 :: v_dual_add_nc_u32 v1, 31, v1
	s_delay_alu instid0(VALU_DEP_1) | instskip(NEXT) | instid1(VALU_DEP_1)
	v_lshrrev_b32_e32 v1, 5, v1
	v_cmp_lt_u32_e32 vcc_lo, v5, v1
	v_cmp_lt_u32_e64 s7, v13, v1
	s_delay_alu instid0(VALU_DEP_4) | instskip(SKIP_3) | instid1(VALU_DEP_1)
	v_cndmask_b32_e32 v4, v2, v4, vcc_lo
	ds_bpermute_b32 v5, v6, v4
	s_waitcnt lgkmcnt(0)
	v_cmp_lt_f32_e64 s3, v4, v5
	v_cndmask_b32_e64 v5, v4, v5, s3
	v_cmp_lt_u32_e64 s3, v8, v1
	s_delay_alu instid0(VALU_DEP_1) | instskip(SKIP_4) | instid1(VALU_DEP_1)
	v_cndmask_b32_e64 v4, v4, v5, s3
	s_or_b32 s3, vcc_lo, s3
	ds_bpermute_b32 v5, v7, v4
	s_waitcnt lgkmcnt(0)
	v_cmp_lt_f32_e64 s5, v4, v5
	v_cndmask_b32_e64 v5, v4, v5, s5
	v_cmp_lt_u32_e64 s5, v10, v1
	s_delay_alu instid0(VALU_DEP_1) | instskip(SKIP_4) | instid1(VALU_DEP_1)
	v_cndmask_b32_e64 v4, v4, v5, s5
	s_or_b32 s3, s5, s3
	ds_bpermute_b32 v5, v9, v4
	s_waitcnt lgkmcnt(0)
	v_cmp_lt_f32_e64 s6, v4, v5
	v_cndmask_b32_e64 v5, v4, v5, s6
	v_cmp_lt_u32_e64 s6, v12, v1
	s_delay_alu instid0(VALU_DEP_1) | instskip(SKIP_4) | instid1(VALU_DEP_1)
	v_cndmask_b32_e64 v4, v4, v5, s6
	s_or_b32 s3, s6, s3
	ds_bpermute_b32 v5, v11, v4
	s_waitcnt lgkmcnt(0)
	v_cmp_lt_f32_e64 s8, v4, v5
	s_and_b32 vcc_lo, s7, s8
	v_cndmask_b32_e32 v1, v4, v5, vcc_lo
	s_or_b32 vcc_lo, s7, s3
	s_delay_alu instid0(VALU_DEP_1)
	v_cndmask_b32_e32 v2, v2, v1, vcc_lo
.LBB8_23:
	s_or_b32 exec_lo, exec_lo, s9
	s_and_saveexec_b32 s3, s4
	s_cbranch_execz .LBB8_27
; %bb.24:
	s_cmp_eq_u64 s[26:27], 0
	s_cbranch_scc1 .LBB8_26
; %bb.25:
	s_load_b32 s4, s[26:27], 0x0
	v_max_f32_e32 v1, v2, v2
	s_waitcnt lgkmcnt(0)
	v_max_f32_e64 v2, s4, s4
	s_delay_alu instid0(VALU_DEP_1)
	v_min_f32_e32 v2, v1, v2
.LBB8_26:
	s_delay_alu instid0(VALU_DEP_1) | instskip(SKIP_2) | instid1(VALU_DEP_2)
	v_div_scale_f32 v1, null, 0x42fe0000, 0x42fe0000, v2
	v_div_scale_f32 v6, vcc_lo, v2, 0x42fe0000, v2
	s_lshl_b64 s[4:5], s[24:25], 2
	v_rcp_f32_e32 v4, v1
	s_add_u32 s4, s14, s4
	s_addc_u32 s5, s15, s5
	s_waitcnt_depctr 0xfff
	v_fma_f32 v5, -v1, v4, 1.0
	s_delay_alu instid0(VALU_DEP_1) | instskip(NEXT) | instid1(VALU_DEP_1)
	v_fmac_f32_e32 v4, v5, v4
	v_mul_f32_e32 v5, v6, v4
	s_delay_alu instid0(VALU_DEP_1) | instskip(NEXT) | instid1(VALU_DEP_1)
	v_fma_f32 v7, -v1, v5, v6
	v_fmac_f32_e32 v5, v7, v4
	s_delay_alu instid0(VALU_DEP_1) | instskip(NEXT) | instid1(VALU_DEP_1)
	v_fma_f32 v1, -v1, v5, v6
	v_div_fmas_f32 v1, v1, v4, v5
	s_delay_alu instid0(VALU_DEP_1) | instskip(NEXT) | instid1(VALU_DEP_1)
	v_div_fixup_f32 v1, v1, 0x42fe0000, v2
	v_dual_mov_b32 v2, 0 :: v_dual_max_f32 v1, 0x34000000, v1
	ds_store_b32 v2, v1 offset:524
	global_store_b32 v2, v1, s[4:5]
.LBB8_27:
	s_or_b32 exec_lo, exec_lo, s3
	s_waitcnt lgkmcnt(0)
	s_waitcnt_vscnt null, 0x0
	s_barrier
	buffer_gl0_inv
	s_and_saveexec_b32 s3, s2
	s_cbranch_execz .LBB8_30
; %bb.28:
	v_mov_b32_e32 v2, 0
	s_load_b32 s2, s[0:1], 0x4c
	s_ashr_i32 s4, s22, 31
	s_ashr_i32 s5, s21, 31
	s_mul_i32 s4, s4, s24
	ds_load_b32 v1, v2 offset:524
	s_add_i32 s35, s23, s4
	s_mul_i32 s5, s5, s24
	s_lshl_b64 s[6:7], s[34:35], 1
	s_add_i32 s4, s11, s5
	s_add_u32 s5, s16, s6
	s_addc_u32 s6, s17, s7
	s_mov_b32 s8, 0
	s_waitcnt lgkmcnt(0)
	s_and_b32 s7, s2, 0xffff
	v_div_scale_f32 v4, null, v1, v1, 1.0
	v_div_scale_f32 v7, vcc_lo, 1.0, v1, 1.0
	s_delay_alu instid0(VALU_DEP_2) | instskip(SKIP_2) | instid1(VALU_DEP_1)
	v_rcp_f32_e32 v5, v4
	s_waitcnt_depctr 0xfff
	v_fma_f32 v6, -v4, v5, 1.0
	v_fmac_f32_e32 v5, v6, v5
	s_delay_alu instid0(VALU_DEP_1) | instskip(NEXT) | instid1(VALU_DEP_1)
	v_mul_f32_e32 v6, v7, v5
	v_fma_f32 v8, -v4, v6, v7
	s_delay_alu instid0(VALU_DEP_1) | instskip(NEXT) | instid1(VALU_DEP_1)
	v_fmac_f32_e32 v6, v8, v5
	v_fma_f32 v4, -v4, v6, v7
	s_delay_alu instid0(VALU_DEP_1) | instskip(NEXT) | instid1(VALU_DEP_1)
	v_div_fmas_f32 v4, v4, v5, v6
	v_div_fixup_f32 v4, v4, v1, 1.0
	v_mov_b32_e32 v1, v0
.LBB8_29:                               ; =>This Inner Loop Header: Depth=1
	s_delay_alu instid0(VALU_DEP_1) | instskip(NEXT) | instid1(VALU_DEP_1)
	v_add_co_u32 v5, s2, s30, v1
	v_add_co_ci_u32_e64 v6, null, s4, 0, s2
	v_lshlrev_b64 v[7:8], 1, v[1:2]
	v_add_nc_u32_e32 v1, s7, v1
	s_delay_alu instid0(VALU_DEP_3) | instskip(NEXT) | instid1(VALU_DEP_3)
	v_lshlrev_b64 v[9:10], 1, v[5:6]
	v_add_co_u32 v11, vcc_lo, s5, v7
	s_delay_alu instid0(VALU_DEP_4) | instskip(NEXT) | instid1(VALU_DEP_3)
	v_add_co_ci_u32_e32 v12, vcc_lo, s6, v8, vcc_lo
	v_add_co_u32 v9, vcc_lo, s28, v9
	s_delay_alu instid0(VALU_DEP_4)
	v_add_co_ci_u32_e32 v10, vcc_lo, s29, v10, vcc_lo
	global_load_u16 v11, v[11:12], off
	global_load_u16 v12, v[9:10], off
	v_add_co_u32 v7, vcc_lo, s18, v7
	v_add_co_ci_u32_e32 v8, vcc_lo, s19, v8, vcc_lo
	global_load_u16 v7, v[7:8], off
	s_waitcnt vmcnt(2)
	v_cvt_f32_f16_e32 v8, v11
	s_waitcnt vmcnt(1)
	v_cvt_f32_f16_e32 v11, v12
	s_delay_alu instid0(VALU_DEP_1) | instskip(NEXT) | instid1(VALU_DEP_1)
	v_add_f32_e32 v8, v8, v11
	v_fma_mixlo_f16 v11, v3, v8, 0
	v_cvt_f16_f32_e32 v8, v8
	s_waitcnt vmcnt(0)
	s_delay_alu instid0(VALU_DEP_2) | instskip(NEXT) | instid1(VALU_DEP_1)
	v_mul_f16_e32 v7, v7, v11
	v_cvt_f32_f16_e32 v7, v7
	s_delay_alu instid0(VALU_DEP_1) | instskip(NEXT) | instid1(VALU_DEP_1)
	v_mul_f32_e32 v7, v4, v7
	v_rndne_f32_e32 v7, v7
	s_delay_alu instid0(VALU_DEP_1) | instskip(SKIP_4) | instid1(VALU_DEP_3)
	v_cmp_nlt_f32_e32 vcc_lo, 0x42fe0000, v7
	v_cmp_ngt_f32_e64 s2, 0xc3000000, v7
	v_cndmask_b32_e32 v11, 0x42fe0000, v7, vcc_lo
	v_add_co_u32 v5, vcc_lo, s12, v5
	v_add_co_ci_u32_e32 v6, vcc_lo, s13, v6, vcc_lo
	v_cndmask_b32_e64 v7, 0xc3000000, v11, s2
	v_cmp_le_u32_e32 vcc_lo, s21, v1
	s_delay_alu instid0(VALU_DEP_2)
	v_cvt_i32_f32_e32 v7, v7
	s_or_b32 s8, vcc_lo, s8
	global_store_b16 v[9:10], v8, off
	global_store_b8 v[5:6], v7, off
	s_and_not1_b32 exec_lo, exec_lo, s8
	s_cbranch_execnz .LBB8_29
.LBB8_30:
	s_or_b32 exec_lo, exec_lo, s3
	s_branch .LBB8_75
.LBB8_31:
	s_cbranch_execz .LBB8_75
; %bb.32:
	s_ashr_i32 s2, s22, 31
	s_mul_hi_u32 s3, s22, s24
	s_mul_i32 s2, s2, s24
	s_ashr_i32 s4, s21, 31
	s_add_i32 s5, s3, s2
	s_load_b32 s3, s[0:1], 0x40
	s_mul_i32 s6, s4, s24
	s_mul_i32 s4, s22, s24
	s_mul_hi_u32 s2, s21, s24
	s_lshl_b64 s[4:5], s[4:5], 1
	s_add_i32 s11, s2, s6
	s_mul_i32 s10, s21, s24
	s_add_u32 s9, s16, s4
	s_addc_u32 s16, s17, s5
	s_lshl_b64 s[4:5], s[10:11], 1
	v_mov_b32_e32 v6, 0
	s_add_u32 s17, s28, s4
	s_addc_u32 s22, s29, s5
	s_ashr_i32 s23, s21, 2
	s_add_u32 s0, s0, 64
	v_cmp_gt_u32_e64 s2, s23, v0
	s_mov_b32 s25, 0
	s_addc_u32 s1, s1, 0
	s_delay_alu instid0(VALU_DEP_1)
	s_and_saveexec_b32 s4, s2
	s_cbranch_execz .LBB8_42
; %bb.33:
	s_waitcnt lgkmcnt(0)
	s_cmp_lt_u32 s24, s3
	v_mov_b32_e32 v2, 0
	s_cselect_b32 s5, 12, 18
	v_mov_b32_e32 v1, v0
	s_add_u32 s6, s0, s5
	s_addc_u32 s7, s1, 0
	s_mov_b32 s5, s25
	global_load_u16 v7, v2, s[6:7]
                                        ; implicit-def: $sgpr6
	s_waitcnt vmcnt(0)
	v_lshlrev_b32_e32 v9, 1, v7
	v_mul_lo_u32 v8, v7, 3
	v_add_nc_u32_e32 v10, v7, v7
	v_mov_b32_e32 v6, v2
	s_branch .LBB8_37
.LBB8_34:                               ;   in Loop: Header=BB8_37 Depth=1
	s_or_b32 exec_lo, exec_lo, s28
	s_delay_alu instid0(SALU_CYCLE_1)
	s_or_not1_b32 s28, s29, exec_lo
.LBB8_35:                               ;   in Loop: Header=BB8_37 Depth=1
	s_or_b32 exec_lo, exec_lo, s8
	s_delay_alu instid0(SALU_CYCLE_1) | instskip(SKIP_1) | instid1(SALU_CYCLE_1)
	s_and_not1_b32 s6, s6, exec_lo
	s_and_b32 s8, s28, exec_lo
	s_or_b32 s6, s6, s8
.LBB8_36:                               ;   in Loop: Header=BB8_37 Depth=1
	s_or_b32 exec_lo, exec_lo, s7
	s_delay_alu instid0(SALU_CYCLE_1) | instskip(NEXT) | instid1(SALU_CYCLE_1)
	s_and_b32 s7, exec_lo, s6
	s_or_b32 s5, s7, s5
	s_delay_alu instid0(SALU_CYCLE_1)
	s_and_not1_b32 exec_lo, exec_lo, s5
	s_cbranch_execz .LBB8_41
.LBB8_37:                               ; =>This Inner Loop Header: Depth=1
	v_lshlrev_b64 v[3:4], 3, v[1:2]
	s_or_b32 s6, s6, exec_lo
	s_mov_b32 s7, exec_lo
	s_delay_alu instid0(VALU_DEP_1) | instskip(NEXT) | instid1(VALU_DEP_2)
	v_add_co_u32 v11, vcc_lo, s9, v3
	v_add_co_ci_u32_e32 v12, vcc_lo, s16, v4, vcc_lo
	v_add_co_u32 v3, vcc_lo, s17, v3
	v_add_co_ci_u32_e32 v4, vcc_lo, s22, v4, vcc_lo
	global_load_b64 v[11:12], v[11:12], off
	global_load_b64 v[3:4], v[3:4], off
	s_waitcnt vmcnt(1)
	v_lshrrev_b32_e32 v5, 16, v11
	s_waitcnt vmcnt(0)
	v_lshrrev_b32_e32 v13, 16, v3
	v_cvt_f32_f16_e32 v11, v11
	v_cvt_f32_f16_e32 v3, v3
	v_lshrrev_b32_e32 v14, 16, v12
	v_cvt_f32_f16_e32 v5, v5
	v_cvt_f32_f16_e32 v13, v13
	s_delay_alu instid0(VALU_DEP_1) | instskip(SKIP_4) | instid1(VALU_DEP_4)
	v_add_f32_e32 v5, v5, v13
	v_add_f32_e32 v3, v11, v3
	v_cvt_f32_f16_e32 v11, v12
	v_lshrrev_b32_e32 v12, 16, v4
	v_cvt_f32_f16_e32 v4, v4
	v_fmac_f32_e32 v6, v3, v3
	v_cvt_f32_f16_e32 v3, v14
	s_delay_alu instid0(VALU_DEP_3) | instskip(SKIP_1) | instid1(VALU_DEP_1)
	v_add_f32_e32 v4, v11, v4
	v_cvt_f32_f16_e32 v11, v12
	v_dual_fmac_f32 v6, v5, v5 :: v_dual_add_f32 v5, v3, v11
	s_delay_alu instid0(VALU_DEP_1) | instskip(NEXT) | instid1(VALU_DEP_1)
	v_dual_fmac_f32 v6, v4, v4 :: v_dual_add_nc_u32 v3, v1, v7
	v_fmac_f32_e32 v6, v5, v5
	s_delay_alu instid0(VALU_DEP_2)
	v_cmpx_gt_u32_e64 s23, v3
	s_cbranch_execz .LBB8_36
; %bb.38:                               ;   in Loop: Header=BB8_37 Depth=1
	v_mov_b32_e32 v4, v2
	s_mov_b32 s28, -1
	s_mov_b32 s8, exec_lo
	s_delay_alu instid0(VALU_DEP_1) | instskip(NEXT) | instid1(VALU_DEP_1)
	v_lshlrev_b64 v[4:5], 3, v[3:4]
	v_add_co_u32 v11, vcc_lo, s9, v4
	s_delay_alu instid0(VALU_DEP_2)
	v_add_co_ci_u32_e32 v12, vcc_lo, s16, v5, vcc_lo
	v_add_co_u32 v4, vcc_lo, s17, v4
	v_add_co_ci_u32_e32 v5, vcc_lo, s22, v5, vcc_lo
	global_load_b64 v[11:12], v[11:12], off
	global_load_b64 v[4:5], v[4:5], off
	s_waitcnt vmcnt(1)
	v_lshrrev_b32_e32 v13, 16, v11
	v_cvt_f32_f16_e32 v11, v11
	s_waitcnt vmcnt(0)
	v_lshrrev_b32_e32 v14, 16, v4
	v_cvt_f32_f16_e32 v4, v4
	v_lshrrev_b32_e32 v15, 16, v12
	v_cvt_f32_f16_e32 v13, v13
	s_delay_alu instid0(VALU_DEP_4) | instskip(NEXT) | instid1(VALU_DEP_4)
	v_cvt_f32_f16_e32 v14, v14
	v_add_f32_e32 v4, v11, v4
	v_cvt_f32_f16_e32 v11, v12
	v_lshrrev_b32_e32 v12, 16, v5
	v_cvt_f32_f16_e32 v5, v5
	s_delay_alu instid0(VALU_DEP_4) | instskip(SKIP_1) | instid1(VALU_DEP_3)
	v_dual_add_f32 v13, v13, v14 :: v_dual_fmac_f32 v6, v4, v4
	v_cvt_f32_f16_e32 v4, v15
	v_add_f32_e32 v5, v11, v5
	v_cvt_f32_f16_e32 v11, v12
	s_delay_alu instid0(VALU_DEP_1) | instskip(NEXT) | instid1(VALU_DEP_1)
	v_dual_fmac_f32 v6, v13, v13 :: v_dual_add_f32 v11, v4, v11
	v_fmac_f32_e32 v6, v5, v5
	v_add_nc_u32_e32 v4, v9, v1
	s_delay_alu instid0(VALU_DEP_2) | instskip(NEXT) | instid1(VALU_DEP_2)
	v_fmac_f32_e32 v6, v11, v11
	v_cmpx_gt_u32_e64 s23, v4
	s_cbranch_execz .LBB8_35
; %bb.39:                               ;   in Loop: Header=BB8_37 Depth=1
	v_mov_b32_e32 v5, v2
	v_add_nc_u32_e32 v1, v8, v1
	s_mov_b32 s29, -1
	s_mov_b32 s28, exec_lo
	s_delay_alu instid0(VALU_DEP_2) | instskip(NEXT) | instid1(VALU_DEP_1)
	v_lshlrev_b64 v[4:5], 3, v[4:5]
	v_add_co_u32 v11, vcc_lo, s9, v4
	s_delay_alu instid0(VALU_DEP_2)
	v_add_co_ci_u32_e32 v12, vcc_lo, s16, v5, vcc_lo
	v_add_co_u32 v4, vcc_lo, s17, v4
	v_add_co_ci_u32_e32 v5, vcc_lo, s22, v5, vcc_lo
	global_load_b64 v[11:12], v[11:12], off
	global_load_b64 v[4:5], v[4:5], off
	s_waitcnt vmcnt(1)
	v_lshrrev_b32_e32 v13, 16, v11
	v_cvt_f32_f16_e32 v11, v11
	s_waitcnt vmcnt(0)
	v_lshrrev_b32_e32 v14, 16, v4
	v_cvt_f32_f16_e32 v4, v4
	v_lshrrev_b32_e32 v15, 16, v12
	v_cvt_f32_f16_e32 v13, v13
	s_delay_alu instid0(VALU_DEP_4) | instskip(NEXT) | instid1(VALU_DEP_4)
	v_cvt_f32_f16_e32 v14, v14
	v_add_f32_e32 v4, v11, v4
	v_cvt_f32_f16_e32 v11, v12
	v_lshrrev_b32_e32 v12, 16, v5
	v_cvt_f32_f16_e32 v5, v5
	s_delay_alu instid0(VALU_DEP_4) | instskip(SKIP_1) | instid1(VALU_DEP_3)
	v_dual_add_f32 v13, v13, v14 :: v_dual_fmac_f32 v6, v4, v4
	v_cvt_f32_f16_e32 v4, v15
	v_add_f32_e32 v5, v11, v5
	v_cvt_f32_f16_e32 v11, v12
	s_delay_alu instid0(VALU_DEP_4) | instskip(NEXT) | instid1(VALU_DEP_2)
	v_fmac_f32_e32 v6, v13, v13
	v_add_f32_e32 v4, v4, v11
	s_delay_alu instid0(VALU_DEP_2) | instskip(NEXT) | instid1(VALU_DEP_1)
	v_fmac_f32_e32 v6, v5, v5
	v_fmac_f32_e32 v6, v4, v4
	v_cmpx_gt_u32_e64 s23, v1
	s_xor_b32 s28, exec_lo, s28
	s_cbranch_execz .LBB8_34
; %bb.40:                               ;   in Loop: Header=BB8_37 Depth=1
	v_lshlrev_b64 v[4:5], 3, v[1:2]
	s_delay_alu instid0(VALU_DEP_1) | instskip(NEXT) | instid1(VALU_DEP_2)
	v_add_co_u32 v11, vcc_lo, s9, v4
	v_add_co_ci_u32_e32 v12, vcc_lo, s16, v5, vcc_lo
	v_add_co_u32 v4, vcc_lo, s17, v4
	v_add_co_ci_u32_e32 v5, vcc_lo, s22, v5, vcc_lo
	global_load_b64 v[11:12], v[11:12], off
	global_load_b64 v[4:5], v[4:5], off
	s_waitcnt vmcnt(1)
	v_lshrrev_b32_e32 v1, 16, v11
	v_cvt_f32_f16_e32 v11, v11
	s_waitcnt vmcnt(0)
	v_lshrrev_b32_e32 v13, 16, v4
	v_cvt_f32_f16_e32 v4, v4
	v_lshrrev_b32_e32 v14, 16, v12
	v_cvt_f32_f16_e32 v1, v1
	s_delay_alu instid0(VALU_DEP_4) | instskip(NEXT) | instid1(VALU_DEP_4)
	v_cvt_f32_f16_e32 v13, v13
	v_add_f32_e32 v4, v11, v4
	v_cvt_f32_f16_e32 v11, v12
	v_lshrrev_b32_e32 v12, 16, v5
	v_cvt_f32_f16_e32 v5, v5
	s_delay_alu instid0(VALU_DEP_4) | instskip(SKIP_1) | instid1(VALU_DEP_3)
	v_dual_add_f32 v1, v1, v13 :: v_dual_fmac_f32 v6, v4, v4
	v_cvt_f32_f16_e32 v4, v14
	v_add_f32_e32 v5, v11, v5
	v_cvt_f32_f16_e32 v11, v12
	s_delay_alu instid0(VALU_DEP_4) | instskip(SKIP_1) | instid1(VALU_DEP_2)
	v_fmac_f32_e32 v6, v1, v1
	v_add3_u32 v1, v10, v7, v3
	v_dual_add_f32 v3, v4, v11 :: v_dual_fmac_f32 v6, v5, v5
	s_delay_alu instid0(VALU_DEP_2) | instskip(NEXT) | instid1(VALU_DEP_2)
	v_cmp_le_u32_e32 vcc_lo, s23, v1
	v_fmac_f32_e32 v6, v3, v3
	s_or_not1_b32 s29, vcc_lo, exec_lo
	s_branch .LBB8_34
.LBB8_41:
	s_or_b32 exec_lo, exec_lo, s5
.LBB8_42:
	s_delay_alu instid0(SALU_CYCLE_1)
	s_or_b32 exec_lo, exec_lo, s4
	v_mbcnt_lo_u32_b32 v7, -1, 0
	s_waitcnt lgkmcnt(0)
	s_cmp_lt_u32 s24, s3
	v_and_b32_e32 v4, 0x3e0, v0
	s_cselect_b32 s3, 12, 18
	s_delay_alu instid0(SALU_CYCLE_1)
	s_add_u32 s0, s0, s3
	v_cmp_ne_u32_e32 vcc_lo, 31, v7
	s_addc_u32 s1, s1, 0
	v_add_nc_u32_e32 v12, 2, v7
	v_add_nc_u32_e32 v14, 4, v7
	;; [unrolled: 1-line block ×3, first 2 shown]
	v_add_co_ci_u32_e32 v2, vcc_lo, 0, v7, vcc_lo
	v_mov_b32_e32 v1, 0
	v_cmp_gt_u32_e32 vcc_lo, 30, v7
	v_add_nc_u32_e32 v17, 16, v7
	s_delay_alu instid0(VALU_DEP_4)
	v_lshlrev_b32_e32 v8, 2, v2
	v_cmp_eq_u32_e64 s6, 0, v7
	global_load_u16 v1, v1, s[0:1]
	v_cndmask_b32_e64 v3, 0, 1, vcc_lo
	v_cmp_gt_u32_e32 vcc_lo, 28, v7
	ds_bpermute_b32 v2, v8, v6
	v_add_nc_u32_e32 v9, 1, v7
	v_lshlrev_b32_e32 v3, 1, v3
	v_cndmask_b32_e64 v5, 0, 1, vcc_lo
	v_cmp_gt_u32_e32 vcc_lo, 24, v7
	s_delay_alu instid0(VALU_DEP_3) | instskip(NEXT) | instid1(VALU_DEP_3)
	v_add_lshl_u32 v10, v3, v7, 2
	v_lshlrev_b32_e32 v5, 2, v5
	s_delay_alu instid0(VALU_DEP_1) | instskip(SKIP_3) | instid1(VALU_DEP_2)
	v_add_lshl_u32 v11, v5, v7, 2
	v_cndmask_b32_e64 v5, 0, 1, vcc_lo
	v_cmp_gt_u32_e32 vcc_lo, 16, v7
	s_waitcnt lgkmcnt(0)
	v_dual_add_f32 v2, v6, v2 :: v_dual_lshlrev_b32 v5, 3, v5
	s_delay_alu instid0(VALU_DEP_1) | instskip(SKIP_1) | instid1(VALU_DEP_1)
	v_add_lshl_u32 v13, v5, v7, 2
	v_cndmask_b32_e64 v5, 0, 1, vcc_lo
	v_lshlrev_b32_e32 v5, 4, v5
	s_delay_alu instid0(VALU_DEP_1) | instskip(SKIP_3) | instid1(VALU_DEP_2)
	v_add_lshl_u32 v15, v5, v7, 2
	s_waitcnt vmcnt(0)
	v_sub_nc_u32_e64 v4, v1, v4 clamp
	v_readfirstlane_b32 s28, v1
	v_cmp_lt_u32_e64 s0, v9, v4
	v_cmp_lt_u32_e64 s1, v12, v4
	;; [unrolled: 1-line block ×5, first 2 shown]
	v_cndmask_b32_e64 v2, v6, v2, s0
	ds_bpermute_b32 v3, v10, v2
	s_waitcnt lgkmcnt(0)
	v_add_f32_e32 v3, v2, v3
	s_delay_alu instid0(VALU_DEP_1) | instskip(SKIP_3) | instid1(VALU_DEP_1)
	v_cndmask_b32_e64 v2, v2, v3, s1
	ds_bpermute_b32 v3, v11, v2
	s_waitcnt lgkmcnt(0)
	v_add_f32_e32 v3, v2, v3
	v_cndmask_b32_e64 v2, v2, v3, s3
	ds_bpermute_b32 v3, v13, v2
	s_waitcnt lgkmcnt(0)
	v_add_f32_e32 v3, v2, v3
	s_delay_alu instid0(VALU_DEP_1) | instskip(SKIP_3) | instid1(VALU_DEP_1)
	v_cndmask_b32_e64 v2, v2, v3, s5
	ds_bpermute_b32 v3, v15, v2
	s_waitcnt lgkmcnt(0)
	v_add_f32_e32 v3, v2, v3
	v_cndmask_b32_e64 v1, v2, v3, s8
	s_and_saveexec_b32 s4, s6
	s_cbranch_execz .LBB8_44
; %bb.43:
	v_lshrrev_b32_e32 v2, 3, v0
	s_delay_alu instid0(VALU_DEP_1)
	v_and_b32_e32 v2, 0x7c, v2
	ds_store_b32 v2, v1
.LBB8_44:
	s_or_b32 exec_lo, exec_lo, s4
	v_cmp_gt_u32_e64 s7, 32, v0
	s_waitcnt lgkmcnt(0)
	s_waitcnt_vscnt null, 0x0
	s_barrier
	buffer_gl0_inv
	s_and_saveexec_b32 s4, s7
	s_cbranch_execz .LBB8_46
; %bb.45:
	v_lshlrev_b32_e32 v1, 2, v7
	s_add_i32 s29, s28, 31
	s_delay_alu instid0(SALU_CYCLE_1) | instskip(NEXT) | instid1(SALU_CYCLE_1)
	s_lshr_b32 s29, s29, 5
	v_cmp_gt_u32_e32 vcc_lo, s29, v9
	ds_load_b32 v1, v1
	s_waitcnt lgkmcnt(0)
	ds_bpermute_b32 v2, v8, v1
	s_waitcnt lgkmcnt(0)
	v_add_f32_e32 v2, v1, v2
	s_delay_alu instid0(VALU_DEP_1) | instskip(SKIP_4) | instid1(VALU_DEP_1)
	v_cndmask_b32_e32 v1, v1, v2, vcc_lo
	v_cmp_gt_u32_e32 vcc_lo, s29, v12
	ds_bpermute_b32 v2, v10, v1
	s_waitcnt lgkmcnt(0)
	v_add_f32_e32 v2, v1, v2
	v_cndmask_b32_e32 v1, v1, v2, vcc_lo
	v_cmp_gt_u32_e32 vcc_lo, s29, v14
	ds_bpermute_b32 v2, v11, v1
	s_waitcnt lgkmcnt(0)
	v_add_f32_e32 v2, v1, v2
	s_delay_alu instid0(VALU_DEP_1) | instskip(SKIP_4) | instid1(VALU_DEP_1)
	v_cndmask_b32_e32 v1, v1, v2, vcc_lo
	v_cmp_gt_u32_e32 vcc_lo, s29, v16
	ds_bpermute_b32 v2, v13, v1
	s_waitcnt lgkmcnt(0)
	v_add_f32_e32 v2, v1, v2
	v_cndmask_b32_e32 v1, v1, v2, vcc_lo
	v_cmp_gt_u32_e32 vcc_lo, s29, v17
	ds_bpermute_b32 v2, v15, v1
	s_waitcnt lgkmcnt(0)
	v_add_f32_e32 v2, v1, v2
	s_delay_alu instid0(VALU_DEP_1)
	v_cndmask_b32_e32 v1, v1, v2, vcc_lo
.LBB8_46:
	s_or_b32 exec_lo, exec_lo, s4
	v_cmp_eq_u32_e64 s4, 0, v0
	s_delay_alu instid0(VALU_DEP_1)
	s_and_saveexec_b32 s29, s4
	s_cbranch_execz .LBB8_48
; %bb.47:
	v_cvt_f32_i32_e32 v2, s21
	s_delay_alu instid0(VALU_DEP_1) | instskip(SKIP_1) | instid1(VALU_DEP_2)
	v_div_scale_f32 v3, null, v2, v2, v1
	v_div_scale_f32 v6, vcc_lo, v1, v2, v1
	v_rcp_f32_e32 v4, v3
	s_waitcnt_depctr 0xfff
	v_fma_f32 v5, -v3, v4, 1.0
	s_delay_alu instid0(VALU_DEP_1) | instskip(NEXT) | instid1(VALU_DEP_1)
	v_fmac_f32_e32 v4, v5, v4
	v_mul_f32_e32 v5, v6, v4
	s_delay_alu instid0(VALU_DEP_1) | instskip(NEXT) | instid1(VALU_DEP_1)
	v_fma_f32 v18, -v3, v5, v6
	v_fmac_f32_e32 v5, v18, v4
	s_delay_alu instid0(VALU_DEP_1) | instskip(NEXT) | instid1(VALU_DEP_1)
	v_fma_f32 v3, -v3, v5, v6
	v_div_fmas_f32 v3, v3, v4, v5
	s_delay_alu instid0(VALU_DEP_1) | instskip(NEXT) | instid1(VALU_DEP_1)
	v_div_fixup_f32 v1, v3, v2, v1
	v_add_f32_e32 v1, s20, v1
	s_delay_alu instid0(VALU_DEP_1) | instskip(SKIP_1) | instid1(VALU_DEP_2)
	v_mul_f32_e32 v2, 0x4b800000, v1
	v_cmp_gt_f32_e32 vcc_lo, 0x800000, v1
	v_cndmask_b32_e32 v1, v1, v2, vcc_lo
	s_delay_alu instid0(VALU_DEP_1) | instskip(SKIP_2) | instid1(VALU_DEP_1)
	v_rsq_f32_e32 v1, v1
	s_waitcnt_depctr 0xfff
	v_mul_f32_e32 v2, 0x45800000, v1
	v_dual_cndmask_b32 v1, v1, v2 :: v_dual_mov_b32 v2, 0
	ds_store_b32 v2, v1 offset:512
.LBB8_48:
	s_or_b32 exec_lo, exec_lo, s29
	v_mov_b32_e32 v18, 0
	s_waitcnt lgkmcnt(0)
	s_barrier
	buffer_gl0_inv
	ds_load_b32 v6, v18 offset:512
	s_and_saveexec_b32 s20, s2
	s_cbranch_execz .LBB8_58
; %bb.49:
	v_dual_mov_b32 v2, 0 :: v_dual_mov_b32 v1, v0
	s_mul_i32 s21, s28, 3
	s_lshl_b32 s30, s28, 1
	s_mov_b32 s29, 0
	s_delay_alu instid0(VALU_DEP_1)
	v_mov_b32_e32 v18, v2
	s_add_i32 s31, s28, s28
                                        ; implicit-def: $sgpr33
	s_branch .LBB8_53
.LBB8_50:                               ;   in Loop: Header=BB8_53 Depth=1
	s_or_b32 exec_lo, exec_lo, s36
	s_delay_alu instid0(SALU_CYCLE_1)
	s_or_not1_b32 s36, s37, exec_lo
.LBB8_51:                               ;   in Loop: Header=BB8_53 Depth=1
	s_or_b32 exec_lo, exec_lo, s35
	s_delay_alu instid0(SALU_CYCLE_1) | instskip(SKIP_1) | instid1(SALU_CYCLE_1)
	s_and_not1_b32 s33, s33, exec_lo
	s_and_b32 s35, s36, exec_lo
	s_or_b32 s33, s33, s35
.LBB8_52:                               ;   in Loop: Header=BB8_53 Depth=1
	s_or_b32 exec_lo, exec_lo, s34
	s_delay_alu instid0(SALU_CYCLE_1) | instskip(NEXT) | instid1(SALU_CYCLE_1)
	s_and_b32 s34, exec_lo, s33
	s_or_b32 s29, s34, s29
	s_delay_alu instid0(SALU_CYCLE_1)
	s_and_not1_b32 exec_lo, exec_lo, s29
	s_cbranch_execz .LBB8_57
.LBB8_53:                               ; =>This Inner Loop Header: Depth=1
	v_lshlrev_b64 v[3:4], 3, v[1:2]
	s_or_b32 s33, s33, exec_lo
	s_mov_b32 s34, exec_lo
	s_delay_alu instid0(VALU_DEP_1) | instskip(NEXT) | instid1(VALU_DEP_2)
	v_add_co_u32 v19, vcc_lo, s9, v3
	v_add_co_ci_u32_e32 v20, vcc_lo, s16, v4, vcc_lo
	v_add_co_u32 v21, vcc_lo, s17, v3
	v_add_co_ci_u32_e32 v22, vcc_lo, s22, v4, vcc_lo
	v_add_co_u32 v3, vcc_lo, s18, v3
	global_load_b64 v[19:20], v[19:20], off
	global_load_b64 v[21:22], v[21:22], off
	v_add_co_ci_u32_e32 v4, vcc_lo, s19, v4, vcc_lo
	global_load_b64 v[3:4], v[3:4], off
	s_waitcnt vmcnt(2)
	v_lshrrev_b32_e32 v5, 16, v19
	s_waitcnt vmcnt(1)
	v_lshrrev_b32_e32 v24, 16, v21
	v_lshrrev_b32_e32 v23, 16, v20
	v_cvt_f32_f16_e32 v19, v19
	v_lshrrev_b32_e32 v25, 16, v22
	v_cvt_f32_f16_e32 v21, v21
	v_cvt_f32_f16_e32 v5, v5
	;; [unrolled: 1-line block ×6, first 2 shown]
	v_add_f32_e32 v19, v19, v21
	v_cvt_f32_f16_e32 v21, v25
	s_delay_alu instid0(VALU_DEP_4)
	v_dual_add_f32 v5, v5, v24 :: v_dual_add_f32 v20, v20, v22
	s_waitcnt vmcnt(0)
	v_lshrrev_b32_e32 v24, 16, v3
	s_waitcnt lgkmcnt(0)
	v_fma_mixlo_f16 v19, v6, v19, 0
	v_add_f32_e32 v21, v23, v21
	v_fma_mixlo_f16 v5, v6, v5, 0
	v_lshrrev_b32_e32 v22, 16, v4
	v_fma_mixlo_f16 v20, v6, v20, 0
	v_mul_f16_e32 v3, v3, v19
	v_fma_mixlo_f16 v19, v6, v21, 0
	v_mul_f16_e32 v5, v24, v5
	s_delay_alu instid0(VALU_DEP_4) | instskip(NEXT) | instid1(VALU_DEP_4)
	v_mul_f16_e32 v4, v4, v20
	v_cvt_f32_f16_e64 v3, |v3|
	s_delay_alu instid0(VALU_DEP_4) | instskip(NEXT) | instid1(VALU_DEP_4)
	v_mul_f16_e32 v19, v22, v19
	v_cvt_f32_f16_e64 v5, |v5|
	s_delay_alu instid0(VALU_DEP_4) | instskip(NEXT) | instid1(VALU_DEP_3)
	v_cvt_f32_f16_e64 v4, |v4|
	v_cvt_f32_f16_e64 v19, |v19|
	s_delay_alu instid0(VALU_DEP_3) | instskip(SKIP_1) | instid1(VALU_DEP_2)
	v_max3_f32 v5, v18, v3, v5
	v_add_nc_u32_e32 v3, s28, v1
	v_max3_f32 v18, v5, v4, v19
	s_delay_alu instid0(VALU_DEP_2)
	v_cmpx_gt_u32_e64 s23, v3
	s_cbranch_execz .LBB8_52
; %bb.54:                               ;   in Loop: Header=BB8_53 Depth=1
	v_mov_b32_e32 v4, v2
	s_mov_b32 s36, -1
	s_mov_b32 s35, exec_lo
	s_delay_alu instid0(VALU_DEP_1) | instskip(NEXT) | instid1(VALU_DEP_1)
	v_lshlrev_b64 v[4:5], 3, v[3:4]
	v_add_co_u32 v19, vcc_lo, s9, v4
	s_delay_alu instid0(VALU_DEP_2)
	v_add_co_ci_u32_e32 v20, vcc_lo, s16, v5, vcc_lo
	v_add_co_u32 v21, vcc_lo, s17, v4
	v_add_co_ci_u32_e32 v22, vcc_lo, s22, v5, vcc_lo
	v_add_co_u32 v4, vcc_lo, s18, v4
	global_load_b64 v[19:20], v[19:20], off
	global_load_b64 v[21:22], v[21:22], off
	v_add_co_ci_u32_e32 v5, vcc_lo, s19, v5, vcc_lo
	global_load_b64 v[4:5], v[4:5], off
	s_waitcnt vmcnt(2)
	v_lshrrev_b32_e32 v23, 16, v19
	s_waitcnt vmcnt(1)
	v_lshrrev_b32_e32 v25, 16, v21
	v_lshrrev_b32_e32 v24, 16, v20
	v_cvt_f32_f16_e32 v19, v19
	v_lshrrev_b32_e32 v26, 16, v22
	v_cvt_f32_f16_e32 v21, v21
	v_cvt_f32_f16_e32 v23, v23
	v_cvt_f32_f16_e32 v25, v25
	v_cvt_f32_f16_e32 v20, v20
	v_cvt_f32_f16_e32 v22, v22
	v_add_f32_e32 v19, v19, v21
	v_cvt_f32_f16_e32 v24, v24
	v_cvt_f32_f16_e32 v21, v26
	s_delay_alu instid0(VALU_DEP_4)
	v_dual_add_f32 v23, v23, v25 :: v_dual_add_f32 v20, v20, v22
	s_waitcnt vmcnt(0)
	v_lshrrev_b32_e32 v25, 16, v4
	v_fma_mixlo_f16 v19, v6, v19, 0
	v_add_f32_e32 v21, v24, v21
	v_fma_mixlo_f16 v22, v6, v23, 0
	v_lshrrev_b32_e32 v23, 16, v5
	v_fma_mixlo_f16 v20, v6, v20, 0
	v_mul_f16_e32 v4, v4, v19
	v_fma_mixlo_f16 v19, v6, v21, 0
	v_mul_f16_e32 v21, v25, v22
	s_delay_alu instid0(VALU_DEP_4) | instskip(NEXT) | instid1(VALU_DEP_4)
	v_mul_f16_e32 v5, v5, v20
	v_cvt_f32_f16_e64 v4, |v4|
	s_delay_alu instid0(VALU_DEP_4) | instskip(NEXT) | instid1(VALU_DEP_4)
	v_mul_f16_e32 v19, v23, v19
	v_cvt_f32_f16_e64 v20, |v21|
	s_delay_alu instid0(VALU_DEP_4) | instskip(NEXT) | instid1(VALU_DEP_3)
	v_cvt_f32_f16_e64 v5, |v5|
	v_cvt_f32_f16_e64 v19, |v19|
	s_delay_alu instid0(VALU_DEP_3) | instskip(SKIP_1) | instid1(VALU_DEP_2)
	v_max3_f32 v18, v18, v4, v20
	v_add_nc_u32_e32 v4, s30, v1
	v_max3_f32 v18, v18, v5, v19
	s_delay_alu instid0(VALU_DEP_2)
	v_cmpx_gt_u32_e64 s23, v4
	s_cbranch_execz .LBB8_51
; %bb.55:                               ;   in Loop: Header=BB8_53 Depth=1
	v_mov_b32_e32 v5, v2
	v_add_nc_u32_e32 v1, s21, v1
	s_mov_b32 s37, -1
	s_mov_b32 s36, exec_lo
	s_delay_alu instid0(VALU_DEP_2) | instskip(NEXT) | instid1(VALU_DEP_1)
	v_lshlrev_b64 v[4:5], 3, v[4:5]
	v_add_co_u32 v19, vcc_lo, s9, v4
	s_delay_alu instid0(VALU_DEP_2)
	v_add_co_ci_u32_e32 v20, vcc_lo, s16, v5, vcc_lo
	v_add_co_u32 v21, vcc_lo, s17, v4
	v_add_co_ci_u32_e32 v22, vcc_lo, s22, v5, vcc_lo
	v_add_co_u32 v4, vcc_lo, s18, v4
	global_load_b64 v[19:20], v[19:20], off
	global_load_b64 v[21:22], v[21:22], off
	v_add_co_ci_u32_e32 v5, vcc_lo, s19, v5, vcc_lo
	global_load_b64 v[4:5], v[4:5], off
	s_waitcnt vmcnt(2)
	v_lshrrev_b32_e32 v23, 16, v19
	s_waitcnt vmcnt(1)
	v_lshrrev_b32_e32 v25, 16, v21
	v_lshrrev_b32_e32 v24, 16, v20
	v_cvt_f32_f16_e32 v19, v19
	v_lshrrev_b32_e32 v26, 16, v22
	v_cvt_f32_f16_e32 v21, v21
	v_cvt_f32_f16_e32 v23, v23
	;; [unrolled: 1-line block ×6, first 2 shown]
	v_add_f32_e32 v19, v19, v21
	v_cvt_f32_f16_e32 v21, v26
	s_delay_alu instid0(VALU_DEP_4)
	v_dual_add_f32 v23, v23, v25 :: v_dual_add_f32 v20, v20, v22
	s_waitcnt vmcnt(0)
	v_lshrrev_b32_e32 v25, 16, v4
	v_fma_mixlo_f16 v19, v6, v19, 0
	v_add_f32_e32 v21, v24, v21
	v_fma_mixlo_f16 v22, v6, v23, 0
	v_lshrrev_b32_e32 v23, 16, v5
	v_fma_mixlo_f16 v20, v6, v20, 0
	v_mul_f16_e32 v4, v4, v19
	v_fma_mixlo_f16 v19, v6, v21, 0
	v_mul_f16_e32 v21, v25, v22
	s_delay_alu instid0(VALU_DEP_4) | instskip(NEXT) | instid1(VALU_DEP_4)
	v_mul_f16_e32 v5, v5, v20
	v_cvt_f32_f16_e64 v4, |v4|
	s_delay_alu instid0(VALU_DEP_4) | instskip(NEXT) | instid1(VALU_DEP_4)
	v_mul_f16_e32 v19, v23, v19
	v_cvt_f32_f16_e64 v20, |v21|
	s_delay_alu instid0(VALU_DEP_4) | instskip(NEXT) | instid1(VALU_DEP_3)
	v_cvt_f32_f16_e64 v5, |v5|
	v_cvt_f32_f16_e64 v19, |v19|
	s_delay_alu instid0(VALU_DEP_3) | instskip(NEXT) | instid1(VALU_DEP_1)
	v_max3_f32 v4, v18, v4, v20
	v_max3_f32 v18, v4, v5, v19
	v_cmpx_gt_u32_e64 s23, v1
	s_xor_b32 s36, exec_lo, s36
	s_cbranch_execz .LBB8_50
; %bb.56:                               ;   in Loop: Header=BB8_53 Depth=1
	v_lshlrev_b64 v[4:5], 3, v[1:2]
	s_delay_alu instid0(VALU_DEP_1) | instskip(NEXT) | instid1(VALU_DEP_2)
	v_add_co_u32 v19, vcc_lo, s9, v4
	v_add_co_ci_u32_e32 v20, vcc_lo, s16, v5, vcc_lo
	v_add_co_u32 v21, vcc_lo, s17, v4
	v_add_co_ci_u32_e32 v22, vcc_lo, s22, v5, vcc_lo
	v_add_co_u32 v4, vcc_lo, s18, v4
	global_load_b64 v[19:20], v[19:20], off
	global_load_b64 v[21:22], v[21:22], off
	v_add_co_ci_u32_e32 v5, vcc_lo, s19, v5, vcc_lo
	global_load_b64 v[4:5], v[4:5], off
	s_waitcnt vmcnt(2)
	v_lshrrev_b32_e32 v1, 16, v19
	s_waitcnt vmcnt(1)
	v_lshrrev_b32_e32 v24, 16, v21
	v_lshrrev_b32_e32 v23, 16, v20
	v_cvt_f32_f16_e32 v19, v19
	v_cvt_f32_f16_e32 v21, v21
	;; [unrolled: 1-line block ×4, first 2 shown]
	v_lshrrev_b32_e32 v25, 16, v22
	v_cvt_f32_f16_e32 v20, v20
	v_cvt_f32_f16_e32 v22, v22
	;; [unrolled: 1-line block ×3, first 2 shown]
	v_add_f32_e32 v19, v19, v21
	v_add_f32_e32 v1, v1, v24
	v_cvt_f32_f16_e32 v21, v25
	v_add_f32_e32 v20, v20, v22
	s_waitcnt vmcnt(0)
	v_lshrrev_b32_e32 v24, 16, v4
	v_fma_mixlo_f16 v19, v6, v19, 0
	v_fma_mixlo_f16 v1, v6, v1, 0
	v_add_f32_e32 v21, v23, v21
	v_lshrrev_b32_e32 v22, 16, v5
	v_fma_mixlo_f16 v20, v6, v20, 0
	v_mul_f16_e32 v4, v4, v19
	v_mul_f16_e32 v1, v24, v1
	v_fma_mixlo_f16 v19, v6, v21, 0
	s_delay_alu instid0(VALU_DEP_4) | instskip(NEXT) | instid1(VALU_DEP_4)
	v_mul_f16_e32 v5, v5, v20
	v_cvt_f32_f16_e64 v4, |v4|
	s_delay_alu instid0(VALU_DEP_4) | instskip(NEXT) | instid1(VALU_DEP_4)
	v_cvt_f32_f16_e64 v20, |v1|
	v_mul_f16_e32 v19, v22, v19
	v_add3_u32 v1, s31, s28, v3
	v_cvt_f32_f16_e64 v3, |v5|
	s_delay_alu instid0(VALU_DEP_4) | instskip(NEXT) | instid1(VALU_DEP_4)
	v_max3_f32 v4, v18, v4, v20
	v_cvt_f32_f16_e64 v5, |v19|
	s_delay_alu instid0(VALU_DEP_4) | instskip(NEXT) | instid1(VALU_DEP_2)
	v_cmp_le_u32_e32 vcc_lo, s23, v1
	v_max3_f32 v18, v4, v3, v5
	s_or_not1_b32 s37, vcc_lo, exec_lo
	s_branch .LBB8_50
.LBB8_57:
	s_or_b32 exec_lo, exec_lo, s29
.LBB8_58:
	s_delay_alu instid0(SALU_CYCLE_1) | instskip(SKIP_4) | instid1(VALU_DEP_1)
	s_or_b32 exec_lo, exec_lo, s20
	ds_bpermute_b32 v1, v8, v18
	s_waitcnt lgkmcnt(0)
	v_cmp_lt_f32_e32 vcc_lo, v18, v1
	v_cndmask_b32_e32 v1, v18, v1, vcc_lo
	v_cndmask_b32_e64 v1, v18, v1, s0
	s_or_b32 s0, s0, s1
	s_delay_alu instid0(SALU_CYCLE_1) | instskip(NEXT) | instid1(SALU_CYCLE_1)
	s_or_b32 s0, s3, s0
	s_or_b32 s0, s5, s0
	ds_bpermute_b32 v2, v10, v1
	s_waitcnt lgkmcnt(0)
	v_cmp_lt_f32_e32 vcc_lo, v1, v2
	v_cndmask_b32_e32 v2, v1, v2, vcc_lo
	s_delay_alu instid0(VALU_DEP_1) | instskip(SKIP_4) | instid1(VALU_DEP_1)
	v_cndmask_b32_e64 v1, v1, v2, s1
	ds_bpermute_b32 v2, v11, v1
	s_waitcnt lgkmcnt(0)
	v_cmp_lt_f32_e32 vcc_lo, v1, v2
	v_cndmask_b32_e32 v2, v1, v2, vcc_lo
	v_cndmask_b32_e64 v1, v1, v2, s3
	ds_bpermute_b32 v2, v13, v1
	s_waitcnt lgkmcnt(0)
	v_cmp_lt_f32_e32 vcc_lo, v1, v2
	v_cndmask_b32_e32 v2, v1, v2, vcc_lo
	s_delay_alu instid0(VALU_DEP_1)
	v_cndmask_b32_e64 v1, v1, v2, s5
	ds_bpermute_b32 v2, v15, v1
	s_waitcnt lgkmcnt(0)
	v_cmp_lt_f32_e32 vcc_lo, v1, v2
	s_and_b32 vcc_lo, s8, vcc_lo
	v_cndmask_b32_e32 v1, v1, v2, vcc_lo
	s_or_b32 vcc_lo, s8, s0
	s_delay_alu instid0(VALU_DEP_1)
	v_cndmask_b32_e32 v1, v18, v1, vcc_lo
	s_and_saveexec_b32 s0, s6
	s_cbranch_execz .LBB8_60
; %bb.59:
	v_lshrrev_b32_e32 v2, 3, v0
	s_delay_alu instid0(VALU_DEP_1)
	v_and_b32_e32 v2, 0x7c, v2
	ds_store_b32 v2, v1 offset:128
.LBB8_60:
	s_or_b32 exec_lo, exec_lo, s0
	s_waitcnt lgkmcnt(0)
	s_barrier
	buffer_gl0_inv
	s_and_saveexec_b32 s8, s7
	s_cbranch_execz .LBB8_62
; %bb.61:
	v_lshlrev_b32_e32 v1, 2, v7
	s_add_i32 s0, s28, 31
	s_delay_alu instid0(SALU_CYCLE_1)
	s_lshr_b32 s5, s0, 5
	ds_load_b32 v1, v1 offset:128
	s_waitcnt lgkmcnt(0)
	ds_bpermute_b32 v2, v8, v1
	s_waitcnt lgkmcnt(0)
	v_cmp_lt_f32_e32 vcc_lo, v1, v2
	v_cndmask_b32_e32 v2, v1, v2, vcc_lo
	v_cmp_gt_u32_e32 vcc_lo, s5, v9
	s_delay_alu instid0(VALU_DEP_2) | instskip(SKIP_3) | instid1(VALU_DEP_1)
	v_cndmask_b32_e32 v2, v1, v2, vcc_lo
	ds_bpermute_b32 v3, v10, v2
	s_waitcnt lgkmcnt(0)
	v_cmp_lt_f32_e64 s0, v2, v3
	v_cndmask_b32_e64 v3, v2, v3, s0
	v_cmp_gt_u32_e64 s0, s5, v12
	s_delay_alu instid0(VALU_DEP_1) | instskip(SKIP_4) | instid1(VALU_DEP_1)
	v_cndmask_b32_e64 v2, v2, v3, s0
	s_or_b32 s0, vcc_lo, s0
	ds_bpermute_b32 v3, v11, v2
	s_waitcnt lgkmcnt(0)
	v_cmp_lt_f32_e64 s1, v2, v3
	v_cndmask_b32_e64 v3, v2, v3, s1
	v_cmp_gt_u32_e64 s1, s5, v14
	s_delay_alu instid0(VALU_DEP_1) | instskip(SKIP_4) | instid1(VALU_DEP_1)
	v_cndmask_b32_e64 v2, v2, v3, s1
	s_or_b32 s0, s1, s0
	ds_bpermute_b32 v3, v13, v2
	s_waitcnt lgkmcnt(0)
	v_cmp_lt_f32_e64 s3, v2, v3
	v_cndmask_b32_e64 v3, v2, v3, s3
	v_cmp_gt_u32_e64 s3, s5, v16
	v_cmp_gt_u32_e64 s5, s5, v17
	s_delay_alu instid0(VALU_DEP_2) | instskip(SKIP_4) | instid1(VALU_DEP_1)
	v_cndmask_b32_e64 v2, v2, v3, s3
	s_or_b32 s0, s3, s0
	ds_bpermute_b32 v3, v15, v2
	s_waitcnt lgkmcnt(0)
	v_cmp_lt_f32_e64 s6, v2, v3
	s_and_b32 vcc_lo, s5, s6
	v_cndmask_b32_e32 v2, v2, v3, vcc_lo
	s_or_b32 vcc_lo, s5, s0
	s_delay_alu instid0(VALU_DEP_1)
	v_cndmask_b32_e32 v1, v1, v2, vcc_lo
.LBB8_62:
	s_or_b32 exec_lo, exec_lo, s8
	s_and_saveexec_b32 s0, s4
	s_cbranch_execz .LBB8_66
; %bb.63:
	s_cmp_eq_u64 s[26:27], 0
	s_cbranch_scc1 .LBB8_65
; %bb.64:
	s_load_b32 s1, s[26:27], 0x0
	v_max_f32_e32 v1, v1, v1
	s_waitcnt lgkmcnt(0)
	v_max_f32_e64 v2, s1, s1
	s_delay_alu instid0(VALU_DEP_1)
	v_min_f32_e32 v1, v1, v2
.LBB8_65:
	s_delay_alu instid0(VALU_DEP_1) | instskip(SKIP_2) | instid1(VALU_DEP_2)
	v_div_scale_f32 v2, null, 0x42fe0000, 0x42fe0000, v1
	v_div_scale_f32 v5, vcc_lo, v1, 0x42fe0000, v1
	s_lshl_b64 s[4:5], s[24:25], 2
	v_rcp_f32_e32 v3, v2
	s_add_u32 s4, s14, s4
	s_addc_u32 s5, s15, s5
	s_waitcnt_depctr 0xfff
	v_fma_f32 v4, -v2, v3, 1.0
	s_delay_alu instid0(VALU_DEP_1) | instskip(NEXT) | instid1(VALU_DEP_1)
	v_fmac_f32_e32 v3, v4, v3
	v_mul_f32_e32 v4, v5, v3
	s_delay_alu instid0(VALU_DEP_1) | instskip(NEXT) | instid1(VALU_DEP_1)
	v_fma_f32 v7, -v2, v4, v5
	v_fmac_f32_e32 v4, v7, v3
	s_delay_alu instid0(VALU_DEP_1) | instskip(NEXT) | instid1(VALU_DEP_1)
	v_fma_f32 v2, -v2, v4, v5
	v_div_fmas_f32 v2, v2, v3, v4
	s_delay_alu instid0(VALU_DEP_1) | instskip(NEXT) | instid1(VALU_DEP_1)
	v_div_fixup_f32 v1, v2, 0x42fe0000, v1
	v_dual_mov_b32 v2, 0 :: v_dual_max_f32 v1, 0x34000000, v1
	ds_store_b32 v2, v1 offset:516
	global_store_b32 v2, v1, s[4:5]
.LBB8_66:
	s_or_b32 exec_lo, exec_lo, s0
	s_waitcnt lgkmcnt(0)
	s_waitcnt_vscnt null, 0x0
	s_barrier
	buffer_gl0_inv
	s_and_saveexec_b32 s0, s2
	s_cbranch_execz .LBB8_75
; %bb.67:
	v_mov_b32_e32 v1, 0
	s_add_u32 s0, s12, s10
	s_addc_u32 s1, s13, s11
	s_mul_i32 s2, s28, 3
	s_lshl_b32 s3, s28, 1
	ds_load_b32 v2, v1 offset:516
	s_mov_b32 s4, 0
	s_add_i32 s5, s28, s28
                                        ; implicit-def: $sgpr6
	s_waitcnt lgkmcnt(0)
	v_div_scale_f32 v3, null, v2, v2, 1.0
	v_div_scale_f32 v7, vcc_lo, 1.0, v2, 1.0
	s_delay_alu instid0(VALU_DEP_2) | instskip(SKIP_2) | instid1(VALU_DEP_1)
	v_rcp_f32_e32 v4, v3
	s_waitcnt_depctr 0xfff
	v_fma_f32 v5, -v3, v4, 1.0
	v_fmac_f32_e32 v4, v5, v4
	s_delay_alu instid0(VALU_DEP_1) | instskip(NEXT) | instid1(VALU_DEP_1)
	v_mul_f32_e32 v5, v7, v4
	v_fma_f32 v8, -v3, v5, v7
	s_delay_alu instid0(VALU_DEP_1) | instskip(NEXT) | instid1(VALU_DEP_1)
	v_fmac_f32_e32 v5, v8, v4
	v_fma_f32 v3, -v3, v5, v7
	s_delay_alu instid0(VALU_DEP_1) | instskip(NEXT) | instid1(VALU_DEP_1)
	v_div_fmas_f32 v3, v3, v4, v5
	v_div_fixup_f32 v5, v3, v2, 1.0
	s_branch .LBB8_71
.LBB8_68:                               ;   in Loop: Header=BB8_71 Depth=1
	s_or_b32 exec_lo, exec_lo, s10
	s_delay_alu instid0(SALU_CYCLE_1)
	s_or_not1_b32 s10, s11, exec_lo
.LBB8_69:                               ;   in Loop: Header=BB8_71 Depth=1
	s_or_b32 exec_lo, exec_lo, s8
	s_delay_alu instid0(SALU_CYCLE_1) | instskip(SKIP_1) | instid1(SALU_CYCLE_1)
	s_and_not1_b32 s6, s6, exec_lo
	s_and_b32 s8, s10, exec_lo
	s_or_b32 s6, s6, s8
.LBB8_70:                               ;   in Loop: Header=BB8_71 Depth=1
	s_or_b32 exec_lo, exec_lo, s7
	s_delay_alu instid0(SALU_CYCLE_1) | instskip(NEXT) | instid1(SALU_CYCLE_1)
	s_and_b32 s7, exec_lo, s6
	s_or_b32 s4, s7, s4
	s_delay_alu instid0(SALU_CYCLE_1)
	s_and_not1_b32 exec_lo, exec_lo, s4
	s_cbranch_execz .LBB8_75
.LBB8_71:                               ; =>This Inner Loop Header: Depth=1
	v_lshlrev_b64 v[2:3], 3, v[0:1]
	v_lshlrev_b64 v[13:14], 2, v[0:1]
	s_or_b32 s6, s6, exec_lo
	s_mov_b32 s7, exec_lo
	s_delay_alu instid0(VALU_DEP_2) | instskip(NEXT) | instid1(VALU_DEP_3)
	v_add_co_u32 v7, vcc_lo, s9, v2
	v_add_co_ci_u32_e32 v8, vcc_lo, s16, v3, vcc_lo
	v_add_co_u32 v9, vcc_lo, s17, v2
	v_add_co_ci_u32_e32 v10, vcc_lo, s22, v3, vcc_lo
	v_add_co_u32 v2, vcc_lo, s18, v2
	global_load_b64 v[7:8], v[7:8], off
	global_load_b64 v[11:12], v[9:10], off
	v_add_co_ci_u32_e32 v3, vcc_lo, s19, v3, vcc_lo
	global_load_b64 v[2:3], v[2:3], off
	s_waitcnt vmcnt(2)
	v_cvt_f32_f16_e32 v4, v7
	v_lshrrev_b32_e32 v7, 16, v7
	s_waitcnt vmcnt(1)
	v_cvt_f32_f16_e32 v15, v11
	v_lshrrev_b32_e32 v11, 16, v11
	v_cvt_f32_f16_e32 v16, v8
	v_lshrrev_b32_e32 v8, 16, v8
	;; [unrolled: 2-line block ×3, first 2 shown]
	v_cvt_f32_f16_e32 v7, v7
	v_cvt_f32_f16_e32 v11, v11
	v_add_f32_e32 v4, v4, v15
	v_cvt_f32_f16_e32 v8, v8
	v_cvt_f32_f16_e32 v12, v12
	v_add_f32_e32 v15, v16, v17
	v_add_f32_e32 v7, v7, v11
	v_fma_mixlo_f16 v11, v6, v4, 0
	s_waitcnt vmcnt(0)
	v_lshrrev_b32_e32 v16, 16, v2
	v_add_f32_e32 v8, v8, v12
	v_fma_mixlo_f16 v12, v6, v7, 0
	v_mul_f16_e32 v2, v2, v11
	v_lshrrev_b32_e32 v11, 16, v3
	v_cvt_f16_f32_e32 v7, v7
	s_delay_alu instid0(VALU_DEP_4) | instskip(NEXT) | instid1(VALU_DEP_4)
	v_mul_f16_e32 v12, v16, v12
	v_cvt_f32_f16_e32 v2, v2
	v_cvt_f16_f32_e32 v16, v4
	s_delay_alu instid0(VALU_DEP_2) | instskip(SKIP_1) | instid1(VALU_DEP_2)
	v_mul_f32_e32 v2, v5, v2
	v_fma_mixlo_f16 v17, v6, v15, 0
	v_rndne_f32_e32 v2, v2
	s_delay_alu instid0(VALU_DEP_2) | instskip(SKIP_2) | instid1(VALU_DEP_4)
	v_mul_f16_e32 v3, v3, v17
	v_fma_mixlo_f16 v17, v6, v8, 0
	v_cvt_f16_f32_e32 v8, v8
	v_cmp_nlt_f32_e32 vcc_lo, 0x42fe0000, v2
	s_delay_alu instid0(VALU_DEP_4) | instskip(NEXT) | instid1(VALU_DEP_4)
	v_cvt_f32_f16_e32 v3, v3
	v_mul_f16_e32 v4, v11, v17
	v_cvt_f32_f16_e32 v11, v12
	v_cvt_f16_f32_e32 v12, v15
	v_cndmask_b32_e32 v15, 0x42fe0000, v2, vcc_lo
	v_mul_f32_e32 v3, v5, v3
	v_cvt_f32_f16_e32 v4, v4
	v_mul_f32_e32 v11, v5, v11
	s_delay_alu instid0(VALU_DEP_3) | instskip(NEXT) | instid1(VALU_DEP_2)
	v_rndne_f32_e32 v3, v3
	v_rndne_f32_e32 v11, v11
	s_delay_alu instid0(VALU_DEP_2) | instskip(SKIP_1) | instid1(VALU_DEP_3)
	v_cmp_nlt_f32_e32 vcc_lo, 0x42fe0000, v3
	v_dual_mul_f32 v4, v5, v4 :: v_dual_cndmask_b32 v17, 0x42fe0000, v3
	v_cmp_nlt_f32_e32 vcc_lo, 0x42fe0000, v11
	s_delay_alu instid0(VALU_DEP_2) | instskip(SKIP_3) | instid1(VALU_DEP_4)
	v_rndne_f32_e32 v4, v4
	v_cndmask_b32_e32 v18, 0x42fe0000, v11, vcc_lo
	v_cmp_ngt_f32_e32 vcc_lo, 0xc3000000, v3
	v_cndmask_b32_e32 v3, 0xc3000000, v17, vcc_lo
	v_cmp_nlt_f32_e32 vcc_lo, 0x42fe0000, v4
	s_delay_alu instid0(VALU_DEP_2) | instskip(SKIP_2) | instid1(VALU_DEP_3)
	v_cvt_i32_f32_e32 v3, v3
	v_cndmask_b32_e32 v17, 0x42fe0000, v4, vcc_lo
	v_cmp_ngt_f32_e32 vcc_lo, 0xc3000000, v11
	v_and_b32_e32 v3, 0xff, v3
	v_cndmask_b32_e32 v11, 0xc3000000, v18, vcc_lo
	v_cmp_ngt_f32_e32 vcc_lo, 0xc3000000, v2
	s_delay_alu instid0(VALU_DEP_2) | instskip(SKIP_2) | instid1(VALU_DEP_3)
	v_cvt_i32_f32_e32 v11, v11
	v_cndmask_b32_e32 v2, 0xc3000000, v15, vcc_lo
	v_cmp_ngt_f32_e32 vcc_lo, 0xc3000000, v4
	v_and_b32_e32 v11, 0xff, v11
	s_delay_alu instid0(VALU_DEP_3) | instskip(SKIP_2) | instid1(VALU_DEP_4)
	v_cvt_i32_f32_e32 v2, v2
	v_dual_cndmask_b32 v4, 0xc3000000, v17 :: v_dual_lshlrev_b32 v17, 16, v3
	v_pack_b32_f16 v3, v16, v7
	v_lshlrev_b32_e32 v11, 8, v11
	v_add_co_u32 v7, vcc_lo, s0, v13
	s_delay_alu instid0(VALU_DEP_4)
	v_cvt_i32_f32_e32 v15, v4
	v_pack_b32_f16 v4, v12, v8
	v_and_b32_e32 v12, 0xff, v2
	v_add_nc_u32_e32 v2, s28, v0
	v_add_co_ci_u32_e32 v8, vcc_lo, s1, v14, vcc_lo
	v_lshl_or_b32 v15, v15, 24, v17
	global_store_b64 v[9:10], v[3:4], off
	v_or3_b32 v11, v15, v11, v12
	global_store_b32 v[7:8], v11, off
	v_cmpx_gt_u32_e64 s23, v2
	s_cbranch_execz .LBB8_70
; %bb.72:                               ;   in Loop: Header=BB8_71 Depth=1
	v_mov_b32_e32 v3, v1
	s_mov_b32 s10, -1
	s_mov_b32 s8, exec_lo
	s_delay_alu instid0(VALU_DEP_1) | instskip(SKIP_1) | instid1(VALU_DEP_2)
	v_lshlrev_b64 v[7:8], 3, v[2:3]
	v_lshlrev_b64 v[15:16], 2, v[2:3]
	v_add_co_u32 v9, vcc_lo, s9, v7
	s_delay_alu instid0(VALU_DEP_3)
	v_add_co_ci_u32_e32 v10, vcc_lo, s16, v8, vcc_lo
	v_add_co_u32 v11, vcc_lo, s17, v7
	v_add_co_ci_u32_e32 v12, vcc_lo, s22, v8, vcc_lo
	v_add_co_u32 v7, vcc_lo, s18, v7
	global_load_b64 v[9:10], v[9:10], off
	global_load_b64 v[13:14], v[11:12], off
	v_add_co_ci_u32_e32 v8, vcc_lo, s19, v8, vcc_lo
	global_load_b64 v[7:8], v[7:8], off
	s_waitcnt vmcnt(2)
	v_cvt_f32_f16_e32 v3, v9
	v_lshrrev_b32_e32 v4, 16, v9
	s_waitcnt vmcnt(1)
	v_cvt_f32_f16_e32 v9, v13
	v_lshrrev_b32_e32 v13, 16, v13
	v_cvt_f32_f16_e32 v17, v10
	v_lshrrev_b32_e32 v10, 16, v10
	v_cvt_f32_f16_e32 v18, v14
	v_cvt_f32_f16_e32 v4, v4
	;; [unrolled: 1-line block ×3, first 2 shown]
	v_add_f32_e32 v3, v3, v9
	v_cvt_f32_f16_e32 v9, v10
	v_add_f32_e32 v10, v17, v18
	s_waitcnt vmcnt(0)
	v_lshrrev_b32_e32 v17, 16, v7
	v_add_f32_e32 v4, v4, v13
	v_fma_mixlo_f16 v13, v6, v3, 0
	v_lshrrev_b32_e32 v14, 16, v14
	v_fma_mixlo_f16 v18, v6, v10, 0
	v_cvt_f16_f32_e32 v3, v3
	v_cvt_f16_f32_e32 v10, v10
	v_mul_f16_e32 v7, v7, v13
	v_lshrrev_b32_e32 v13, 16, v8
	v_mul_f16_e32 v8, v8, v18
	v_cvt_f32_f16_e32 v14, v14
	s_delay_alu instid0(VALU_DEP_4) | instskip(NEXT) | instid1(VALU_DEP_3)
	v_cvt_f32_f16_e32 v7, v7
	v_cvt_f32_f16_e32 v8, v8
	s_delay_alu instid0(VALU_DEP_2) | instskip(NEXT) | instid1(VALU_DEP_1)
	v_mul_f32_e32 v7, v5, v7
	v_rndne_f32_e32 v7, v7
	s_delay_alu instid0(VALU_DEP_1) | instskip(NEXT) | instid1(VALU_DEP_4)
	v_cmp_nlt_f32_e32 vcc_lo, 0x42fe0000, v7
	v_mul_f32_e32 v8, v5, v8
	s_delay_alu instid0(VALU_DEP_1) | instskip(SKIP_3) | instid1(VALU_DEP_3)
	v_rndne_f32_e32 v8, v8
	v_add_f32_e32 v9, v9, v14
	v_fma_mixlo_f16 v14, v6, v4, 0
	v_cvt_f16_f32_e32 v4, v4
	v_fma_mixlo_f16 v18, v6, v9, 0
	s_delay_alu instid0(VALU_DEP_3) | instskip(SKIP_2) | instid1(VALU_DEP_4)
	v_mul_f16_e32 v14, v17, v14
	v_cndmask_b32_e32 v17, 0x42fe0000, v7, vcc_lo
	v_cmp_nlt_f32_e32 vcc_lo, 0x42fe0000, v8
	v_mul_f16_e32 v13, v13, v18
	s_delay_alu instid0(VALU_DEP_4) | instskip(SKIP_2) | instid1(VALU_DEP_4)
	v_cvt_f32_f16_e32 v14, v14
	v_cndmask_b32_e32 v18, 0x42fe0000, v8, vcc_lo
	v_cvt_f16_f32_e32 v9, v9
	v_cvt_f32_f16_e32 v13, v13
	s_delay_alu instid0(VALU_DEP_4) | instskip(NEXT) | instid1(VALU_DEP_1)
	v_mul_f32_e32 v14, v5, v14
	v_rndne_f32_e32 v14, v14
	s_delay_alu instid0(VALU_DEP_1) | instskip(SKIP_3) | instid1(VALU_DEP_2)
	v_cmp_nlt_f32_e32 vcc_lo, 0x42fe0000, v14
	v_cndmask_b32_e32 v19, 0x42fe0000, v14, vcc_lo
	v_mul_f32_e32 v13, v5, v13
	v_cmp_ngt_f32_e32 vcc_lo, 0xc3000000, v8
	v_rndne_f32_e32 v13, v13
	v_cndmask_b32_e32 v8, 0xc3000000, v18, vcc_lo
	s_delay_alu instid0(VALU_DEP_2) | instskip(NEXT) | instid1(VALU_DEP_2)
	v_cmp_nlt_f32_e32 vcc_lo, 0x42fe0000, v13
	v_cvt_i32_f32_e32 v8, v8
	v_cndmask_b32_e32 v18, 0x42fe0000, v13, vcc_lo
	v_cmp_ngt_f32_e32 vcc_lo, 0xc3000000, v14
	s_delay_alu instid0(VALU_DEP_3) | instskip(SKIP_2) | instid1(VALU_DEP_2)
	v_and_b32_e32 v8, 0xff, v8
	v_cndmask_b32_e32 v14, 0xc3000000, v19, vcc_lo
	v_cmp_ngt_f32_e32 vcc_lo, 0xc3000000, v7
	v_cvt_i32_f32_e32 v14, v14
	v_cndmask_b32_e32 v7, 0xc3000000, v17, vcc_lo
	v_cmp_ngt_f32_e32 vcc_lo, 0xc3000000, v13
	s_delay_alu instid0(VALU_DEP_3) | instskip(NEXT) | instid1(VALU_DEP_3)
	v_and_b32_e32 v14, 0xff, v14
	v_cvt_i32_f32_e32 v17, v7
	v_dual_cndmask_b32 v13, 0xc3000000, v18 :: v_dual_lshlrev_b32 v18, 16, v8
	v_pack_b32_f16 v7, v3, v4
	s_delay_alu instid0(VALU_DEP_4) | instskip(NEXT) | instid1(VALU_DEP_4)
	v_lshlrev_b32_e32 v14, 8, v14
	v_and_b32_e32 v4, 0xff, v17
	s_delay_alu instid0(VALU_DEP_4) | instskip(SKIP_3) | instid1(VALU_DEP_4)
	v_cvt_i32_f32_e32 v13, v13
	v_pack_b32_f16 v8, v10, v9
	v_add_co_u32 v9, vcc_lo, s0, v15
	v_add_nc_u32_e32 v3, s3, v0
	v_lshl_or_b32 v13, v13, 24, v18
	v_add_co_ci_u32_e32 v10, vcc_lo, s1, v16, vcc_lo
	global_store_b64 v[11:12], v[7:8], off
	v_or3_b32 v4, v13, v14, v4
	global_store_b32 v[9:10], v4, off
	v_cmpx_gt_u32_e64 s23, v3
	s_cbranch_execz .LBB8_69
; %bb.73:                               ;   in Loop: Header=BB8_71 Depth=1
	v_mov_b32_e32 v4, v1
	v_add_nc_u32_e32 v0, s2, v0
	s_mov_b32 s11, -1
	s_mov_b32 s10, exec_lo
	s_delay_alu instid0(VALU_DEP_2) | instskip(NEXT) | instid1(VALU_DEP_1)
	v_lshlrev_b64 v[7:8], 3, v[3:4]
	v_add_co_u32 v9, vcc_lo, s9, v7
	s_delay_alu instid0(VALU_DEP_2)
	v_add_co_ci_u32_e32 v10, vcc_lo, s16, v8, vcc_lo
	v_add_co_u32 v11, vcc_lo, s17, v7
	v_add_co_ci_u32_e32 v12, vcc_lo, s22, v8, vcc_lo
	v_add_co_u32 v7, vcc_lo, s18, v7
	global_load_b64 v[9:10], v[9:10], off
	global_load_b64 v[13:14], v[11:12], off
	v_add_co_ci_u32_e32 v8, vcc_lo, s19, v8, vcc_lo
	global_load_b64 v[7:8], v[7:8], off
	s_waitcnt vmcnt(2)
	v_cvt_f32_f16_e32 v15, v9
	v_lshrrev_b32_e32 v9, 16, v9
	s_waitcnt vmcnt(1)
	v_cvt_f32_f16_e32 v16, v13
	v_lshrrev_b32_e32 v13, 16, v13
	v_cvt_f32_f16_e32 v17, v10
	v_lshrrev_b32_e32 v10, 16, v10
	v_cvt_f32_f16_e32 v18, v14
	v_add_f32_e32 v15, v15, v16
	v_lshrrev_b32_e32 v14, 16, v14
	v_cvt_f32_f16_e32 v9, v9
	v_cvt_f32_f16_e32 v13, v13
	;; [unrolled: 1-line block ×3, first 2 shown]
	v_add_f32_e32 v16, v17, v18
	v_cvt_f32_f16_e32 v14, v14
	s_waitcnt vmcnt(0)
	v_lshrrev_b32_e32 v17, 16, v7
	v_add_f32_e32 v9, v9, v13
	v_fma_mixlo_f16 v13, v6, v15, 0
	v_cvt_f16_f32_e32 v15, v15
	v_add_f32_e32 v10, v10, v14
	v_lshlrev_b64 v[3:4], 2, v[3:4]
	v_fma_mixlo_f16 v14, v6, v9, 0
	v_mul_f16_e32 v7, v7, v13
	v_lshrrev_b32_e32 v13, 16, v8
	v_cvt_f16_f32_e32 v9, v9
	s_delay_alu instid0(VALU_DEP_4) | instskip(NEXT) | instid1(VALU_DEP_4)
	v_mul_f16_e32 v14, v17, v14
	v_cvt_f32_f16_e32 v7, v7
	s_delay_alu instid0(VALU_DEP_2) | instskip(NEXT) | instid1(VALU_DEP_2)
	v_cvt_f32_f16_e32 v14, v14
	v_mul_f32_e32 v7, v5, v7
	s_delay_alu instid0(VALU_DEP_1) | instskip(NEXT) | instid1(VALU_DEP_1)
	v_rndne_f32_e32 v7, v7
	v_cmp_nlt_f32_e32 vcc_lo, 0x42fe0000, v7
	v_cndmask_b32_e32 v17, 0x42fe0000, v7, vcc_lo
	v_fma_mixlo_f16 v18, v6, v16, 0
	v_mul_f32_e32 v14, v5, v14
	v_cvt_f16_f32_e32 v16, v16
	s_delay_alu instid0(VALU_DEP_3) | instskip(NEXT) | instid1(VALU_DEP_3)
	v_mul_f16_e32 v8, v8, v18
	v_rndne_f32_e32 v14, v14
	v_fma_mixlo_f16 v18, v6, v10, 0
	v_cvt_f16_f32_e32 v10, v10
	s_delay_alu instid0(VALU_DEP_4) | instskip(NEXT) | instid1(VALU_DEP_3)
	v_cvt_f32_f16_e32 v8, v8
	v_mul_f16_e32 v13, v13, v18
	s_delay_alu instid0(VALU_DEP_2) | instskip(NEXT) | instid1(VALU_DEP_2)
	v_mul_f32_e32 v8, v5, v8
	v_cvt_f32_f16_e32 v13, v13
	s_delay_alu instid0(VALU_DEP_2) | instskip(NEXT) | instid1(VALU_DEP_1)
	v_rndne_f32_e32 v8, v8
	v_cmp_nlt_f32_e32 vcc_lo, 0x42fe0000, v8
	v_cndmask_b32_e32 v18, 0x42fe0000, v8, vcc_lo
	v_cmp_nlt_f32_e32 vcc_lo, 0x42fe0000, v14
	v_cndmask_b32_e32 v19, 0x42fe0000, v14, vcc_lo
	v_cmp_ngt_f32_e32 vcc_lo, 0xc3000000, v8
	s_delay_alu instid0(VALU_DEP_4) | instskip(NEXT) | instid1(VALU_DEP_1)
	v_dual_mul_f32 v13, v5, v13 :: v_dual_cndmask_b32 v8, 0xc3000000, v18
	v_rndne_f32_e32 v13, v13
	s_delay_alu instid0(VALU_DEP_2) | instskip(NEXT) | instid1(VALU_DEP_2)
	v_cvt_i32_f32_e32 v8, v8
	v_cmp_nlt_f32_e32 vcc_lo, 0x42fe0000, v13
	s_delay_alu instid0(VALU_DEP_2) | instskip(SKIP_4) | instid1(VALU_DEP_2)
	v_and_b32_e32 v8, 0xff, v8
	v_cndmask_b32_e32 v18, 0x42fe0000, v13, vcc_lo
	v_cmp_ngt_f32_e32 vcc_lo, 0xc3000000, v14
	v_cndmask_b32_e32 v14, 0xc3000000, v19, vcc_lo
	v_cmp_ngt_f32_e32 vcc_lo, 0xc3000000, v7
	v_cvt_i32_f32_e32 v14, v14
	v_cndmask_b32_e32 v7, 0xc3000000, v17, vcc_lo
	v_cmp_ngt_f32_e32 vcc_lo, 0xc3000000, v13
	s_delay_alu instid0(VALU_DEP_3) | instskip(NEXT) | instid1(VALU_DEP_3)
	v_and_b32_e32 v14, 0xff, v14
	v_cvt_i32_f32_e32 v17, v7
	v_dual_cndmask_b32 v13, 0xc3000000, v18 :: v_dual_lshlrev_b32 v18, 16, v8
	v_pack_b32_f16 v8, v16, v10
	v_pack_b32_f16 v7, v15, v9
	s_delay_alu instid0(VALU_DEP_4) | instskip(NEXT) | instid1(VALU_DEP_4)
	v_and_b32_e32 v9, 0xff, v17
	v_cvt_i32_f32_e32 v13, v13
	v_add_co_u32 v3, vcc_lo, s0, v3
	v_add_co_ci_u32_e32 v4, vcc_lo, s1, v4, vcc_lo
	s_delay_alu instid0(VALU_DEP_3)
	v_lshl_or_b32 v10, v13, 24, v18
	v_lshlrev_b32_e32 v13, 8, v14
	global_store_b64 v[11:12], v[7:8], off
	v_or3_b32 v9, v10, v13, v9
	global_store_b32 v[3:4], v9, off
	v_cmpx_gt_u32_e64 s23, v0
	s_cbranch_execz .LBB8_68
; %bb.74:                               ;   in Loop: Header=BB8_71 Depth=1
	v_lshlrev_b64 v[3:4], 3, v[0:1]
	v_lshlrev_b64 v[13:14], 2, v[0:1]
	v_add3_u32 v0, s5, s28, v2
	s_delay_alu instid0(VALU_DEP_3) | instskip(NEXT) | instid1(VALU_DEP_4)
	v_add_co_u32 v7, vcc_lo, s9, v3
	v_add_co_ci_u32_e32 v8, vcc_lo, s16, v4, vcc_lo
	v_add_co_u32 v9, vcc_lo, s17, v3
	v_add_co_ci_u32_e32 v10, vcc_lo, s22, v4, vcc_lo
	v_add_co_u32 v3, vcc_lo, s18, v3
	global_load_b64 v[7:8], v[7:8], off
	global_load_b64 v[11:12], v[9:10], off
	v_add_co_ci_u32_e32 v4, vcc_lo, s19, v4, vcc_lo
	global_load_b64 v[3:4], v[3:4], off
	s_waitcnt vmcnt(2)
	v_cvt_f32_f16_e32 v2, v7
	v_lshrrev_b32_e32 v7, 16, v7
	s_waitcnt vmcnt(1)
	v_cvt_f32_f16_e32 v15, v11
	v_lshrrev_b32_e32 v11, 16, v11
	v_cvt_f32_f16_e32 v16, v8
	v_lshrrev_b32_e32 v8, 16, v8
	;; [unrolled: 2-line block ×3, first 2 shown]
	v_cvt_f32_f16_e32 v7, v7
	v_cvt_f32_f16_e32 v11, v11
	s_delay_alu instid0(VALU_DEP_4) | instskip(SKIP_2) | instid1(VALU_DEP_4)
	v_dual_add_f32 v2, v2, v15 :: v_dual_add_f32 v15, v16, v17
	v_cvt_f32_f16_e32 v8, v8
	v_cvt_f32_f16_e32 v12, v12
	v_add_f32_e32 v7, v7, v11
	s_delay_alu instid0(VALU_DEP_4)
	v_fma_mixlo_f16 v11, v6, v2, 0
	s_waitcnt vmcnt(0)
	v_lshrrev_b32_e32 v16, 16, v3
	v_fma_mixlo_f16 v17, v6, v15, 0
	v_add_f32_e32 v8, v8, v12
	v_fma_mixlo_f16 v12, v6, v7, 0
	v_mul_f16_e32 v3, v3, v11
	v_lshrrev_b32_e32 v11, 16, v4
	v_mul_f16_e32 v4, v4, v17
	v_fma_mixlo_f16 v17, v6, v8, 0
	v_mul_f16_e32 v12, v16, v12
	v_cvt_f32_f16_e32 v3, v3
	v_cvt_f16_f32_e32 v2, v2
	v_cvt_f32_f16_e32 v4, v4
	v_mul_f16_e32 v11, v11, v17
	v_cvt_f32_f16_e32 v12, v12
	v_cvt_f16_f32_e32 v15, v15
	v_cvt_f16_f32_e32 v7, v7
	;; [unrolled: 1-line block ×3, first 2 shown]
	v_cvt_f32_f16_e32 v11, v11
	v_mul_f32_e32 v12, v5, v12
	s_delay_alu instid0(VALU_DEP_4) | instskip(NEXT) | instid1(VALU_DEP_3)
	v_pack_b32_f16 v2, v2, v7
	v_mul_f32_e32 v11, v5, v11
	s_delay_alu instid0(VALU_DEP_3) | instskip(SKIP_1) | instid1(VALU_DEP_3)
	v_rndne_f32_e32 v12, v12
	v_mul_f32_e32 v3, v5, v3
	v_rndne_f32_e32 v11, v11
	v_mul_f32_e32 v4, v5, v4
	s_delay_alu instid0(VALU_DEP_3) | instskip(NEXT) | instid1(VALU_DEP_2)
	v_rndne_f32_e32 v3, v3
	v_rndne_f32_e32 v4, v4
	s_delay_alu instid0(VALU_DEP_2) | instskip(SKIP_1) | instid1(VALU_DEP_3)
	v_cmp_nlt_f32_e32 vcc_lo, 0x42fe0000, v3
	v_cndmask_b32_e32 v16, 0x42fe0000, v3, vcc_lo
	v_cmp_nlt_f32_e32 vcc_lo, 0x42fe0000, v4
	v_cndmask_b32_e32 v17, 0x42fe0000, v4, vcc_lo
	v_cmp_nlt_f32_e32 vcc_lo, 0x42fe0000, v12
	v_cndmask_b32_e32 v18, 0x42fe0000, v12, vcc_lo
	v_cmp_ngt_f32_e32 vcc_lo, 0xc3000000, v4
	s_delay_alu instid0(VALU_DEP_4) | instskip(SKIP_1) | instid1(VALU_DEP_2)
	v_cndmask_b32_e32 v4, 0xc3000000, v17, vcc_lo
	v_cmp_nlt_f32_e32 vcc_lo, 0x42fe0000, v11
	v_cvt_i32_f32_e32 v4, v4
	v_cndmask_b32_e32 v17, 0x42fe0000, v11, vcc_lo
	v_cmp_ngt_f32_e32 vcc_lo, 0xc3000000, v12
	s_delay_alu instid0(VALU_DEP_3) | instskip(SKIP_2) | instid1(VALU_DEP_3)
	v_and_b32_e32 v4, 0xff, v4
	v_cndmask_b32_e32 v12, 0xc3000000, v18, vcc_lo
	v_cmp_ngt_f32_e32 vcc_lo, 0xc3000000, v3
	v_lshlrev_b32_e32 v4, 16, v4
	s_delay_alu instid0(VALU_DEP_3) | instskip(SKIP_2) | instid1(VALU_DEP_3)
	v_cvt_i32_f32_e32 v12, v12
	v_cndmask_b32_e32 v3, 0xc3000000, v16, vcc_lo
	v_cmp_ngt_f32_e32 vcc_lo, 0xc3000000, v11
	v_and_b32_e32 v12, 0xff, v12
	s_delay_alu instid0(VALU_DEP_3) | instskip(SKIP_3) | instid1(VALU_DEP_4)
	v_cvt_i32_f32_e32 v16, v3
	v_cndmask_b32_e32 v11, 0xc3000000, v17, vcc_lo
	v_pack_b32_f16 v3, v15, v8
	v_add_co_u32 v7, vcc_lo, s0, v13
	v_and_b32_e32 v15, 0xff, v16
	s_delay_alu instid0(VALU_DEP_4)
	v_cvt_i32_f32_e32 v11, v11
	v_add_co_ci_u32_e32 v8, vcc_lo, s1, v14, vcc_lo
	v_cmp_le_u32_e32 vcc_lo, s23, v0
	global_store_b64 v[9:10], v[2:3], off
	v_lshl_or_b32 v4, v11, 24, v4
	v_lshlrev_b32_e32 v11, 8, v12
	s_or_not1_b32 s11, vcc_lo, exec_lo
	s_delay_alu instid0(VALU_DEP_1)
	v_or3_b32 v4, v4, v11, v15
	global_store_b32 v[7:8], v4, off
	s_branch .LBB8_68
.LBB8_75:
	s_nop 0
	s_sendmsg sendmsg(MSG_DEALLOC_VGPRS)
	s_endpgm
	.section	.rodata,"a",@progbits
	.p2align	6, 0x0
	.amdhsa_kernel _ZN4vllm39rms_norm_dynamic_per_token_quant_kernelIN3c104HalfEaLb1EEEvPT0_PfPKT_S8_PKffiiPS6_
		.amdhsa_group_segment_fixed_size 528
		.amdhsa_private_segment_fixed_size 0
		.amdhsa_kernarg_size 320
		.amdhsa_user_sgpr_count 15
		.amdhsa_user_sgpr_dispatch_ptr 0
		.amdhsa_user_sgpr_queue_ptr 0
		.amdhsa_user_sgpr_kernarg_segment_ptr 1
		.amdhsa_user_sgpr_dispatch_id 0
		.amdhsa_user_sgpr_private_segment_size 0
		.amdhsa_wavefront_size32 1
		.amdhsa_uses_dynamic_stack 0
		.amdhsa_enable_private_segment 0
		.amdhsa_system_sgpr_workgroup_id_x 1
		.amdhsa_system_sgpr_workgroup_id_y 0
		.amdhsa_system_sgpr_workgroup_id_z 0
		.amdhsa_system_sgpr_workgroup_info 0
		.amdhsa_system_vgpr_workitem_id 0
		.amdhsa_next_free_vgpr 27
		.amdhsa_next_free_sgpr 38
		.amdhsa_reserve_vcc 1
		.amdhsa_float_round_mode_32 0
		.amdhsa_float_round_mode_16_64 0
		.amdhsa_float_denorm_mode_32 3
		.amdhsa_float_denorm_mode_16_64 3
		.amdhsa_dx10_clamp 1
		.amdhsa_ieee_mode 1
		.amdhsa_fp16_overflow 0
		.amdhsa_workgroup_processor_mode 1
		.amdhsa_memory_ordered 1
		.amdhsa_forward_progress 0
		.amdhsa_shared_vgpr_count 0
		.amdhsa_exception_fp_ieee_invalid_op 0
		.amdhsa_exception_fp_denorm_src 0
		.amdhsa_exception_fp_ieee_div_zero 0
		.amdhsa_exception_fp_ieee_overflow 0
		.amdhsa_exception_fp_ieee_underflow 0
		.amdhsa_exception_fp_ieee_inexact 0
		.amdhsa_exception_int_div_zero 0
	.end_amdhsa_kernel
	.section	.text._ZN4vllm39rms_norm_dynamic_per_token_quant_kernelIN3c104HalfEaLb1EEEvPT0_PfPKT_S8_PKffiiPS6_,"axG",@progbits,_ZN4vllm39rms_norm_dynamic_per_token_quant_kernelIN3c104HalfEaLb1EEEvPT0_PfPKT_S8_PKffiiPS6_,comdat
.Lfunc_end8:
	.size	_ZN4vllm39rms_norm_dynamic_per_token_quant_kernelIN3c104HalfEaLb1EEEvPT0_PfPKT_S8_PKffiiPS6_, .Lfunc_end8-_ZN4vllm39rms_norm_dynamic_per_token_quant_kernelIN3c104HalfEaLb1EEEvPT0_PfPKT_S8_PKffiiPS6_
                                        ; -- End function
	.section	.AMDGPU.csdata,"",@progbits
; Kernel info:
; codeLenInByte = 9272
; NumSgprs: 40
; NumVgprs: 27
; ScratchSize: 0
; MemoryBound: 0
; FloatMode: 240
; IeeeMode: 1
; LDSByteSize: 528 bytes/workgroup (compile time only)
; SGPRBlocks: 4
; VGPRBlocks: 3
; NumSGPRsForWavesPerEU: 40
; NumVGPRsForWavesPerEU: 27
; Occupancy: 16
; WaveLimiterHint : 0
; COMPUTE_PGM_RSRC2:SCRATCH_EN: 0
; COMPUTE_PGM_RSRC2:USER_SGPR: 15
; COMPUTE_PGM_RSRC2:TRAP_HANDLER: 0
; COMPUTE_PGM_RSRC2:TGID_X_EN: 1
; COMPUTE_PGM_RSRC2:TGID_Y_EN: 0
; COMPUTE_PGM_RSRC2:TGID_Z_EN: 0
; COMPUTE_PGM_RSRC2:TIDIG_COMP_CNT: 0
	.section	.text._ZN4vllm39rms_norm_dynamic_per_token_quant_kernelIN3c104HalfENS1_13Float8_e4m3fnELb0EEEvPT0_PfPKT_S9_PKffiiPS7_,"axG",@progbits,_ZN4vllm39rms_norm_dynamic_per_token_quant_kernelIN3c104HalfENS1_13Float8_e4m3fnELb0EEEvPT0_PfPKT_S9_PKffiiPS7_,comdat
	.protected	_ZN4vllm39rms_norm_dynamic_per_token_quant_kernelIN3c104HalfENS1_13Float8_e4m3fnELb0EEEvPT0_PfPKT_S9_PKffiiPS7_ ; -- Begin function _ZN4vllm39rms_norm_dynamic_per_token_quant_kernelIN3c104HalfENS1_13Float8_e4m3fnELb0EEEvPT0_PfPKT_S9_PKffiiPS7_
	.globl	_ZN4vllm39rms_norm_dynamic_per_token_quant_kernelIN3c104HalfENS1_13Float8_e4m3fnELb0EEEvPT0_PfPKT_S9_PKffiiPS7_
	.p2align	8
	.type	_ZN4vllm39rms_norm_dynamic_per_token_quant_kernelIN3c104HalfENS1_13Float8_e4m3fnELb0EEEvPT0_PfPKT_S9_PKffiiPS7_,@function
_ZN4vllm39rms_norm_dynamic_per_token_quant_kernelIN3c104HalfENS1_13Float8_e4m3fnELb0EEEvPT0_PfPKT_S9_PKffiiPS7_: ; @_ZN4vllm39rms_norm_dynamic_per_token_quant_kernelIN3c104HalfENS1_13Float8_e4m3fnELb0EEEvPT0_PfPKT_S9_PKffiiPS7_
; %bb.0:
	s_mov_b32 s24, s15
	s_clause 0x2
	s_load_b128 s[20:23], s[0:1], 0x28
	s_load_b64 s[26:27], s[0:1], 0x20
	s_load_b256 s[12:19], s[0:1], 0x0
	s_waitcnt lgkmcnt(0)
	s_or_b32 s2, s22, s21
	s_delay_alu instid0(SALU_CYCLE_1) | instskip(NEXT) | instid1(SALU_CYCLE_1)
	s_and_b32 s2, s2, 3
	s_cmp_lg_u32 s2, 0
	s_cbranch_scc0 .LBB9_37
; %bb.1:
	v_cmp_gt_u32_e64 s2, s21, v0
	v_cmp_le_u32_e64 s3, s21, v0
                                        ; implicit-def: $sgpr7
                                        ; implicit-def: $sgpr4_sgpr5
	s_delay_alu instid0(VALU_DEP_1) | instskip(NEXT) | instid1(SALU_CYCLE_1)
	s_and_saveexec_b32 s6, s3
	s_xor_b32 s6, exec_lo, s6
; %bb.2:
	s_add_u32 s4, s0, 64
	s_addc_u32 s5, s1, 0
	s_mov_b32 s7, 0
; %bb.3:
	s_or_saveexec_b32 s6, s6
	v_dual_mov_b32 v1, s4 :: v_dual_mov_b32 v4, s24
	v_dual_mov_b32 v3, s7 :: v_dual_mov_b32 v2, s5
	s_xor_b32 exec_lo, exec_lo, s6
	s_cbranch_execz .LBB9_7
; %bb.4:
	s_load_b32 s9, s[0:1], 0x4c
	s_ashr_i32 s5, s22, 31
	s_mul_hi_u32 s7, s22, s24
	s_mul_i32 s5, s5, s24
	s_mul_i32 s4, s22, s24
	s_add_i32 s5, s7, s5
	v_dual_mov_b32 v2, 0 :: v_dual_mov_b32 v3, 0
	s_lshl_b64 s[4:5], s[4:5], 1
	v_mov_b32_e32 v1, v0
	s_add_u32 s7, s16, s4
	s_addc_u32 s8, s17, s5
	s_add_u32 s4, s0, 64
	s_addc_u32 s5, s1, 0
	s_waitcnt lgkmcnt(0)
	s_and_b32 s10, s9, 0xffff
	s_mov_b32 s9, 0
.LBB9_5:                                ; =>This Inner Loop Header: Depth=1
	v_lshlrev_b64 v[4:5], 1, v[1:2]
	v_add_nc_u32_e32 v1, s10, v1
	s_delay_alu instid0(VALU_DEP_2) | instskip(NEXT) | instid1(VALU_DEP_3)
	v_add_co_u32 v4, vcc_lo, s7, v4
	v_add_co_ci_u32_e32 v5, vcc_lo, s8, v5, vcc_lo
	s_delay_alu instid0(VALU_DEP_3)
	v_cmp_le_u32_e32 vcc_lo, s21, v1
	global_load_u16 v4, v[4:5], off
	s_or_b32 s9, vcc_lo, s9
	s_waitcnt vmcnt(0)
	v_fma_mix_f32 v3, v4, v4, v3 op_sel_hi:[1,1,0]
	s_and_not1_b32 exec_lo, exec_lo, s9
	s_cbranch_execnz .LBB9_5
; %bb.6:
	s_or_b32 exec_lo, exec_lo, s9
	v_dual_mov_b32 v1, s4 :: v_dual_mov_b32 v2, s5
	v_mov_b32_e32 v4, s24
.LBB9_7:
	s_or_b32 exec_lo, exec_lo, s6
	global_load_b32 v5, v[1:2], off
	v_and_b32_e32 v14, 0x3e0, v0
	s_waitcnt vmcnt(0)
	v_cmp_lt_u32_e32 vcc_lo, v4, v5
	v_cndmask_b32_e64 v4, 18, 12, vcc_lo
	s_delay_alu instid0(VALU_DEP_1) | instskip(SKIP_3) | instid1(VALU_DEP_1)
	v_add_co_u32 v1, vcc_lo, v1, v4
	v_add_co_ci_u32_e32 v2, vcc_lo, 0, v2, vcc_lo
	global_load_u16 v1, v[1:2], off
	v_mbcnt_lo_u32_b32 v2, -1, 0
	v_cmp_ne_u32_e32 vcc_lo, 31, v2
	v_add_nc_u32_e32 v5, 1, v2
	v_cmp_eq_u32_e64 s5, 0, v2
	v_add_co_ci_u32_e32 v4, vcc_lo, 0, v2, vcc_lo
	v_cmp_gt_u32_e32 vcc_lo, 30, v2
	s_delay_alu instid0(VALU_DEP_2) | instskip(SKIP_4) | instid1(VALU_DEP_1)
	v_lshlrev_b32_e32 v4, 2, v4
	v_cndmask_b32_e64 v7, 0, 1, vcc_lo
	ds_bpermute_b32 v6, v4, v3
	s_waitcnt lgkmcnt(0)
	v_dual_add_f32 v8, v3, v6 :: v_dual_lshlrev_b32 v7, 1, v7
	v_add_lshl_u32 v6, v7, v2, 2
	s_waitcnt vmcnt(0)
	v_sub_nc_u32_e64 v15, v1, v14 clamp
	s_delay_alu instid0(VALU_DEP_1) | instskip(SKIP_3) | instid1(VALU_DEP_1)
	v_cmp_lt_u32_e32 vcc_lo, v5, v15
	v_cndmask_b32_e32 v3, v3, v8, vcc_lo
	v_cmp_gt_u32_e32 vcc_lo, 28, v2
	v_cndmask_b32_e64 v8, 0, 1, vcc_lo
	v_lshlrev_b32_e32 v9, 2, v8
	v_add_nc_u32_e32 v8, 2, v2
	ds_bpermute_b32 v7, v6, v3
	v_cmp_lt_u32_e32 vcc_lo, v8, v15
	s_waitcnt lgkmcnt(0)
	v_add_f32_e32 v10, v3, v7
	v_add_lshl_u32 v7, v9, v2, 2
	s_delay_alu instid0(VALU_DEP_2) | instskip(SKIP_4) | instid1(VALU_DEP_1)
	v_cndmask_b32_e32 v3, v3, v10, vcc_lo
	v_cmp_gt_u32_e32 vcc_lo, 24, v2
	ds_bpermute_b32 v9, v7, v3
	v_cndmask_b32_e64 v10, 0, 1, vcc_lo
	s_waitcnt lgkmcnt(0)
	v_dual_add_f32 v12, v3, v9 :: v_dual_lshlrev_b32 v11, 3, v10
	v_add_nc_u32_e32 v10, 4, v2
	s_delay_alu instid0(VALU_DEP_2) | instskip(NEXT) | instid1(VALU_DEP_2)
	v_add_lshl_u32 v9, v11, v2, 2
	v_cmp_lt_u32_e32 vcc_lo, v10, v15
	s_delay_alu instid0(VALU_DEP_4) | instskip(SKIP_4) | instid1(VALU_DEP_1)
	v_cndmask_b32_e32 v3, v3, v12, vcc_lo
	v_cmp_gt_u32_e32 vcc_lo, 16, v2
	ds_bpermute_b32 v11, v9, v3
	v_cndmask_b32_e64 v12, 0, 1, vcc_lo
	s_waitcnt lgkmcnt(0)
	v_dual_add_f32 v16, v3, v11 :: v_dual_lshlrev_b32 v13, 4, v12
	v_add_nc_u32_e32 v12, 8, v2
	s_delay_alu instid0(VALU_DEP_2) | instskip(NEXT) | instid1(VALU_DEP_2)
	v_add_lshl_u32 v11, v13, v2, 2
	v_cmp_lt_u32_e32 vcc_lo, v12, v15
	s_delay_alu instid0(VALU_DEP_4) | instskip(SKIP_3) | instid1(VALU_DEP_1)
	v_cndmask_b32_e32 v3, v3, v16, vcc_lo
	ds_bpermute_b32 v16, v11, v3
	s_waitcnt lgkmcnt(0)
	v_dual_add_f32 v16, v3, v16 :: v_dual_add_nc_u32 v13, 16, v2
	v_cmp_lt_u32_e32 vcc_lo, v13, v15
	s_delay_alu instid0(VALU_DEP_2)
	v_cndmask_b32_e32 v3, v3, v16, vcc_lo
	s_and_saveexec_b32 s4, s5
	s_cbranch_execz .LBB9_9
; %bb.8:
	v_lshrrev_b32_e32 v15, 3, v0
	s_delay_alu instid0(VALU_DEP_1)
	v_and_b32_e32 v15, 0x7c, v15
	ds_store_b32 v15, v3 offset:256
.LBB9_9:
	s_or_b32 exec_lo, exec_lo, s4
	v_cmp_gt_u32_e64 s6, 32, v0
	v_lshlrev_b32_e32 v15, 2, v2
	s_waitcnt lgkmcnt(0)
	s_barrier
	buffer_gl0_inv
	s_and_saveexec_b32 s4, s6
	s_cbranch_execz .LBB9_11
; %bb.10:
	ds_load_b32 v2, v15 offset:256
	s_waitcnt lgkmcnt(0)
	ds_bpermute_b32 v3, v4, v2
	s_waitcnt lgkmcnt(0)
	v_add_f32_e32 v3, v2, v3
	v_add_nc_u32_e32 v1, 31, v1
	s_delay_alu instid0(VALU_DEP_1) | instskip(NEXT) | instid1(VALU_DEP_1)
	v_lshrrev_b32_e32 v1, 5, v1
	v_cmp_lt_u32_e32 vcc_lo, v5, v1
	s_delay_alu instid0(VALU_DEP_4) | instskip(SKIP_4) | instid1(VALU_DEP_1)
	v_cndmask_b32_e32 v2, v2, v3, vcc_lo
	v_cmp_lt_u32_e32 vcc_lo, v8, v1
	ds_bpermute_b32 v3, v6, v2
	s_waitcnt lgkmcnt(0)
	v_add_f32_e32 v3, v2, v3
	v_cndmask_b32_e32 v2, v2, v3, vcc_lo
	v_cmp_lt_u32_e32 vcc_lo, v10, v1
	ds_bpermute_b32 v3, v7, v2
	s_waitcnt lgkmcnt(0)
	v_add_f32_e32 v3, v2, v3
	s_delay_alu instid0(VALU_DEP_1) | instskip(SKIP_4) | instid1(VALU_DEP_1)
	v_cndmask_b32_e32 v2, v2, v3, vcc_lo
	v_cmp_lt_u32_e32 vcc_lo, v12, v1
	ds_bpermute_b32 v3, v9, v2
	s_waitcnt lgkmcnt(0)
	v_add_f32_e32 v3, v2, v3
	v_cndmask_b32_e32 v2, v2, v3, vcc_lo
	v_cmp_lt_u32_e32 vcc_lo, v13, v1
	ds_bpermute_b32 v3, v11, v2
	s_waitcnt lgkmcnt(0)
	v_add_f32_e32 v3, v2, v3
	s_delay_alu instid0(VALU_DEP_1)
	v_cndmask_b32_e32 v3, v2, v3, vcc_lo
.LBB9_11:
	s_or_b32 exec_lo, exec_lo, s4
	v_cmp_eq_u32_e64 s4, 0, v0
	s_mov_b32 s25, 0
	s_delay_alu instid0(VALU_DEP_1)
	s_and_saveexec_b32 s7, s4
	s_cbranch_execz .LBB9_13
; %bb.12:
	v_cvt_f32_i32_e32 v1, s21
	s_delay_alu instid0(VALU_DEP_1) | instskip(SKIP_1) | instid1(VALU_DEP_2)
	v_div_scale_f32 v2, null, v1, v1, v3
	v_div_scale_f32 v18, vcc_lo, v3, v1, v3
	v_rcp_f32_e32 v16, v2
	s_waitcnt_depctr 0xfff
	v_fma_f32 v17, -v2, v16, 1.0
	s_delay_alu instid0(VALU_DEP_1) | instskip(NEXT) | instid1(VALU_DEP_1)
	v_fmac_f32_e32 v16, v17, v16
	v_mul_f32_e32 v17, v18, v16
	s_delay_alu instid0(VALU_DEP_1) | instskip(NEXT) | instid1(VALU_DEP_1)
	v_fma_f32 v19, -v2, v17, v18
	v_fmac_f32_e32 v17, v19, v16
	s_delay_alu instid0(VALU_DEP_1) | instskip(NEXT) | instid1(VALU_DEP_1)
	v_fma_f32 v2, -v2, v17, v18
	v_div_fmas_f32 v2, v2, v16, v17
	s_delay_alu instid0(VALU_DEP_1) | instskip(NEXT) | instid1(VALU_DEP_1)
	v_div_fixup_f32 v1, v2, v1, v3
	v_add_f32_e32 v1, s20, v1
	s_delay_alu instid0(VALU_DEP_1) | instskip(SKIP_1) | instid1(VALU_DEP_2)
	v_mul_f32_e32 v2, 0x4b800000, v1
	v_cmp_gt_f32_e32 vcc_lo, 0x800000, v1
	v_cndmask_b32_e32 v1, v1, v2, vcc_lo
	s_delay_alu instid0(VALU_DEP_1) | instskip(SKIP_2) | instid1(VALU_DEP_1)
	v_rsq_f32_e32 v1, v1
	s_waitcnt_depctr 0xfff
	v_mul_f32_e32 v2, 0x45800000, v1
	v_dual_cndmask_b32 v1, v1, v2 :: v_dual_mov_b32 v2, 0
	ds_store_b32 v2, v1 offset:520
.LBB9_13:
	s_or_b32 exec_lo, exec_lo, s7
	v_mov_b32_e32 v1, 0
	s_waitcnt lgkmcnt(0)
	s_barrier
	buffer_gl0_inv
                                        ; implicit-def: $sgpr7
                                        ; implicit-def: $sgpr8_sgpr9
	ds_load_b32 v3, v1 offset:520
	s_waitcnt lgkmcnt(0)
	s_barrier
	buffer_gl0_inv
	s_and_saveexec_b32 s10, s3
	s_delay_alu instid0(SALU_CYCLE_1)
	s_xor_b32 s3, exec_lo, s10
; %bb.14:
	s_add_u32 s8, s0, 64
	s_addc_u32 s9, s1, 0
	s_mov_b32 s7, 0
; %bb.15:
	s_or_saveexec_b32 s3, s3
	v_dual_mov_b32 v16, s7 :: v_dual_mov_b32 v1, s8
	v_mov_b32_e32 v2, s9
	s_mul_hi_u32 s11, s22, s24
	s_mul_i32 s28, s22, s24
	s_xor_b32 exec_lo, exec_lo, s3
	s_cbranch_execz .LBB9_19
; %bb.16:
	s_load_b32 s23, s[0:1], 0x4c
	s_ashr_i32 s7, s22, 31
	v_dual_mov_b32 v2, 0 :: v_dual_mov_b32 v1, v0
	s_mul_i32 s7, s7, s24
	v_mov_b32_e32 v16, 0
	s_add_i32 s29, s11, s7
	s_delay_alu instid0(SALU_CYCLE_1) | instskip(NEXT) | instid1(SALU_CYCLE_1)
	s_lshl_b64 s[8:9], s[28:29], 1
	s_add_u32 s7, s16, s8
	s_addc_u32 s10, s17, s9
	s_add_u32 s8, s0, 64
	s_addc_u32 s9, s1, 0
	s_waitcnt lgkmcnt(0)
	s_and_b32 s29, s23, 0xffff
	s_mov_b32 s23, 0
	.p2align	6
.LBB9_17:                               ; =>This Inner Loop Header: Depth=1
	v_lshlrev_b64 v[17:18], 1, v[1:2]
	s_delay_alu instid0(VALU_DEP_2) | instskip(NEXT) | instid1(VALU_DEP_2)
	v_dual_max_f32 v16, v16, v16 :: v_dual_add_nc_u32 v1, s29, v1
	v_add_co_u32 v19, vcc_lo, s7, v17
	s_delay_alu instid0(VALU_DEP_3)
	v_add_co_ci_u32_e32 v20, vcc_lo, s10, v18, vcc_lo
	v_add_co_u32 v17, vcc_lo, s18, v17
	v_add_co_ci_u32_e32 v18, vcc_lo, s19, v18, vcc_lo
	v_cmp_le_u32_e32 vcc_lo, s21, v1
	global_load_u16 v19, v[19:20], off
	global_load_u16 v17, v[17:18], off
	s_or_b32 s23, vcc_lo, s23
	s_waitcnt vmcnt(1)
	v_fma_mixlo_f16 v18, v3, v19, 0 op_sel_hi:[0,1,0]
	s_waitcnt vmcnt(0)
	s_delay_alu instid0(VALU_DEP_1) | instskip(NEXT) | instid1(VALU_DEP_1)
	v_mul_f16_e32 v17, v17, v18
	v_cvt_f32_f16_e64 v17, |v17|
	s_delay_alu instid0(VALU_DEP_1)
	v_max_f32_e32 v16, v16, v17
	s_and_not1_b32 exec_lo, exec_lo, s23
	s_cbranch_execnz .LBB9_17
; %bb.18:
	s_or_b32 exec_lo, exec_lo, s23
	v_dual_mov_b32 v1, s8 :: v_dual_mov_b32 v2, s9
.LBB9_19:
	s_or_b32 exec_lo, exec_lo, s3
	global_load_b32 v17, v[1:2], off
	s_waitcnt vmcnt(0)
	v_cmp_lt_u32_e32 vcc_lo, s24, v17
	v_cndmask_b32_e64 v17, 18, 12, vcc_lo
	s_delay_alu instid0(VALU_DEP_1)
	v_add_co_u32 v1, vcc_lo, v1, v17
	v_add_co_ci_u32_e32 v2, vcc_lo, 0, v2, vcc_lo
	global_load_u16 v1, v[1:2], off
	ds_bpermute_b32 v2, v4, v16
	s_waitcnt lgkmcnt(0)
	v_cmp_lt_f32_e32 vcc_lo, v16, v2
	v_cndmask_b32_e32 v2, v16, v2, vcc_lo
	s_waitcnt vmcnt(0)
	v_sub_nc_u32_e64 v14, v1, v14 clamp
	s_delay_alu instid0(VALU_DEP_1)
	v_cmp_lt_u32_e32 vcc_lo, v5, v14
	v_cmp_lt_u32_e64 s9, v13, v14
	v_cndmask_b32_e32 v2, v16, v2, vcc_lo
	ds_bpermute_b32 v17, v6, v2
	s_waitcnt lgkmcnt(0)
	v_cmp_lt_f32_e64 s3, v2, v17
	s_delay_alu instid0(VALU_DEP_1) | instskip(SKIP_1) | instid1(VALU_DEP_1)
	v_cndmask_b32_e64 v17, v2, v17, s3
	v_cmp_lt_u32_e64 s3, v8, v14
	v_cndmask_b32_e64 v2, v2, v17, s3
	s_or_b32 s3, vcc_lo, s3
	ds_bpermute_b32 v17, v7, v2
	s_waitcnt lgkmcnt(0)
	v_cmp_lt_f32_e64 s7, v2, v17
	s_delay_alu instid0(VALU_DEP_1) | instskip(SKIP_1) | instid1(VALU_DEP_1)
	v_cndmask_b32_e64 v17, v2, v17, s7
	v_cmp_lt_u32_e64 s7, v10, v14
	v_cndmask_b32_e64 v2, v2, v17, s7
	s_or_b32 s3, s7, s3
	ds_bpermute_b32 v17, v9, v2
	s_waitcnt lgkmcnt(0)
	v_cmp_lt_f32_e64 s8, v2, v17
	s_delay_alu instid0(VALU_DEP_1) | instskip(SKIP_1) | instid1(VALU_DEP_1)
	v_cndmask_b32_e64 v17, v2, v17, s8
	v_cmp_lt_u32_e64 s8, v12, v14
	v_cndmask_b32_e64 v2, v2, v17, s8
	s_or_b32 s3, s8, s3
	ds_bpermute_b32 v17, v11, v2
	s_waitcnt lgkmcnt(0)
	v_cmp_lt_f32_e64 s10, v2, v17
	s_delay_alu instid0(VALU_DEP_1) | instskip(SKIP_2) | instid1(VALU_DEP_1)
	s_and_b32 vcc_lo, s9, s10
	v_cndmask_b32_e32 v2, v2, v17, vcc_lo
	s_or_b32 vcc_lo, s9, s3
	v_cndmask_b32_e32 v2, v16, v2, vcc_lo
	s_and_saveexec_b32 s3, s5
	s_cbranch_execz .LBB9_21
; %bb.20:
	v_lshrrev_b32_e32 v14, 3, v0
	s_delay_alu instid0(VALU_DEP_1)
	v_and_b32_e32 v14, 0x7c, v14
	ds_store_b32 v14, v2 offset:384
.LBB9_21:
	s_or_b32 exec_lo, exec_lo, s3
	s_waitcnt lgkmcnt(0)
	s_barrier
	buffer_gl0_inv
	s_and_saveexec_b32 s9, s6
	s_cbranch_execz .LBB9_23
; %bb.22:
	ds_load_b32 v2, v15 offset:384
	s_waitcnt lgkmcnt(0)
	ds_bpermute_b32 v4, v4, v2
	s_waitcnt lgkmcnt(0)
	v_cmp_lt_f32_e32 vcc_lo, v2, v4
	v_dual_cndmask_b32 v4, v2, v4 :: v_dual_add_nc_u32 v1, 31, v1
	s_delay_alu instid0(VALU_DEP_1) | instskip(NEXT) | instid1(VALU_DEP_1)
	v_lshrrev_b32_e32 v1, 5, v1
	v_cmp_lt_u32_e32 vcc_lo, v5, v1
	v_cmp_lt_u32_e64 s7, v13, v1
	s_delay_alu instid0(VALU_DEP_4) | instskip(SKIP_3) | instid1(VALU_DEP_1)
	v_cndmask_b32_e32 v4, v2, v4, vcc_lo
	ds_bpermute_b32 v5, v6, v4
	s_waitcnt lgkmcnt(0)
	v_cmp_lt_f32_e64 s3, v4, v5
	v_cndmask_b32_e64 v5, v4, v5, s3
	v_cmp_lt_u32_e64 s3, v8, v1
	s_delay_alu instid0(VALU_DEP_1) | instskip(SKIP_4) | instid1(VALU_DEP_1)
	v_cndmask_b32_e64 v4, v4, v5, s3
	s_or_b32 s3, vcc_lo, s3
	ds_bpermute_b32 v5, v7, v4
	s_waitcnt lgkmcnt(0)
	v_cmp_lt_f32_e64 s5, v4, v5
	v_cndmask_b32_e64 v5, v4, v5, s5
	v_cmp_lt_u32_e64 s5, v10, v1
	s_delay_alu instid0(VALU_DEP_1) | instskip(SKIP_4) | instid1(VALU_DEP_1)
	v_cndmask_b32_e64 v4, v4, v5, s5
	s_or_b32 s3, s5, s3
	ds_bpermute_b32 v5, v9, v4
	s_waitcnt lgkmcnt(0)
	v_cmp_lt_f32_e64 s6, v4, v5
	v_cndmask_b32_e64 v5, v4, v5, s6
	v_cmp_lt_u32_e64 s6, v12, v1
	s_delay_alu instid0(VALU_DEP_1) | instskip(SKIP_4) | instid1(VALU_DEP_1)
	v_cndmask_b32_e64 v4, v4, v5, s6
	s_or_b32 s3, s6, s3
	ds_bpermute_b32 v5, v11, v4
	s_waitcnt lgkmcnt(0)
	v_cmp_lt_f32_e64 s8, v4, v5
	s_and_b32 vcc_lo, s7, s8
	v_cndmask_b32_e32 v1, v4, v5, vcc_lo
	s_or_b32 vcc_lo, s7, s3
	s_delay_alu instid0(VALU_DEP_1)
	v_cndmask_b32_e32 v2, v2, v1, vcc_lo
.LBB9_23:
	s_or_b32 exec_lo, exec_lo, s9
	s_and_saveexec_b32 s3, s4
	s_cbranch_execz .LBB9_27
; %bb.24:
	s_cmp_eq_u64 s[26:27], 0
	s_cbranch_scc1 .LBB9_26
; %bb.25:
	s_load_b32 s4, s[26:27], 0x0
	v_max_f32_e32 v1, v2, v2
	s_waitcnt lgkmcnt(0)
	v_max_f32_e64 v2, s4, s4
	s_delay_alu instid0(VALU_DEP_1)
	v_min_f32_e32 v2, v1, v2
.LBB9_26:
	s_delay_alu instid0(VALU_DEP_1) | instskip(SKIP_2) | instid1(VALU_DEP_2)
	v_div_scale_f32 v1, null, 0x43e00000, 0x43e00000, v2
	v_div_scale_f32 v6, vcc_lo, v2, 0x43e00000, v2
	s_lshl_b64 s[4:5], s[24:25], 2
	v_rcp_f32_e32 v4, v1
	s_add_u32 s4, s14, s4
	s_addc_u32 s5, s15, s5
	s_waitcnt_depctr 0xfff
	v_fma_f32 v5, -v1, v4, 1.0
	s_delay_alu instid0(VALU_DEP_1) | instskip(NEXT) | instid1(VALU_DEP_1)
	v_fmac_f32_e32 v4, v5, v4
	v_mul_f32_e32 v5, v6, v4
	s_delay_alu instid0(VALU_DEP_1) | instskip(NEXT) | instid1(VALU_DEP_1)
	v_fma_f32 v7, -v1, v5, v6
	v_fmac_f32_e32 v5, v7, v4
	s_delay_alu instid0(VALU_DEP_1) | instskip(NEXT) | instid1(VALU_DEP_1)
	v_fma_f32 v1, -v1, v5, v6
	v_div_fmas_f32 v1, v1, v4, v5
	s_delay_alu instid0(VALU_DEP_1) | instskip(NEXT) | instid1(VALU_DEP_1)
	v_div_fixup_f32 v1, v1, 0x43e00000, v2
	v_dual_mov_b32 v2, 0 :: v_dual_max_f32 v1, 0x36924925, v1
	ds_store_b32 v2, v1 offset:524
	global_store_b32 v2, v1, s[4:5]
.LBB9_27:
	s_or_b32 exec_lo, exec_lo, s3
	s_waitcnt lgkmcnt(0)
	s_waitcnt_vscnt null, 0x0
	s_barrier
	buffer_gl0_inv
	s_and_saveexec_b32 s3, s2
	s_cbranch_execz .LBB9_36
; %bb.28:
	v_dual_mov_b32 v2, 0 :: v_dual_mov_b32 v1, v0
	s_load_b32 s7, s[0:1], 0x4c
	s_ashr_i32 s4, s22, 31
	s_ashr_i32 s2, s21, 31
	ds_load_b32 v4, v2 offset:524
	s_mul_i32 s4, s4, s24
	s_mul_hi_u32 s5, s21, s24
	s_mul_i32 s2, s2, s24
	s_add_i32 s29, s11, s4
	s_add_i32 s6, s5, s2
	s_lshl_b64 s[4:5], s[28:29], 1
	s_mul_i32 s8, s21, s24
	s_add_u32 s2, s16, s4
	s_addc_u32 s4, s17, s5
	s_add_u32 s5, s12, s8
	s_addc_u32 s6, s13, s6
	s_mov_b32 s8, 0
	s_mov_b32 s9, 0x43e00000
	s_waitcnt lgkmcnt(0)
	s_and_b32 s7, s7, 0xffff
	s_branch .LBB9_31
.LBB9_29:                               ;   in Loop: Header=BB9_31 Depth=1
	s_or_b32 exec_lo, exec_lo, s11
.LBB9_30:                               ;   in Loop: Header=BB9_31 Depth=1
	s_delay_alu instid0(SALU_CYCLE_1) | instskip(SKIP_3) | instid1(VALU_DEP_3)
	s_or_b32 exec_lo, exec_lo, s10
	v_lshrrev_b32_e32 v7, 24, v5
	v_add_co_u32 v5, s10, s5, v1
	v_add_nc_u32_e32 v1, s7, v1
	v_and_or_b32 v7, 0x80, v7, v6
	v_add_co_ci_u32_e64 v6, null, s6, 0, s10
	s_delay_alu instid0(VALU_DEP_3) | instskip(SKIP_2) | instid1(SALU_CYCLE_1)
	v_cmp_le_u32_e32 vcc_lo, s21, v1
	global_store_b8 v[5:6], v7, off
	s_or_b32 s8, vcc_lo, s8
	s_and_not1_b32 exec_lo, exec_lo, s8
	s_cbranch_execz .LBB9_36
.LBB9_31:                               ; =>This Inner Loop Header: Depth=1
	v_lshlrev_b64 v[5:6], 1, v[1:2]
	s_mov_b32 s10, exec_lo
	s_delay_alu instid0(VALU_DEP_1) | instskip(NEXT) | instid1(VALU_DEP_2)
	v_add_co_u32 v7, vcc_lo, s2, v5
	v_add_co_ci_u32_e32 v8, vcc_lo, s4, v6, vcc_lo
	v_add_co_u32 v5, vcc_lo, s18, v5
	v_add_co_ci_u32_e32 v6, vcc_lo, s19, v6, vcc_lo
	global_load_u16 v7, v[7:8], off
	global_load_u16 v5, v[5:6], off
	s_waitcnt vmcnt(1)
	v_fma_mixlo_f16 v6, v3, v7, 0 op_sel_hi:[0,1,0]
	s_waitcnt vmcnt(0)
	s_delay_alu instid0(VALU_DEP_1) | instskip(NEXT) | instid1(VALU_DEP_1)
	v_mul_f16_e32 v5, v5, v6
	v_cvt_f32_f16_e32 v5, v5
	s_delay_alu instid0(VALU_DEP_1) | instskip(SKIP_1) | instid1(VALU_DEP_2)
	v_div_scale_f32 v6, null, v4, v4, v5
	v_div_scale_f32 v9, vcc_lo, v5, v4, v5
	v_rcp_f32_e32 v7, v6
	s_waitcnt_depctr 0xfff
	v_fma_f32 v8, -v6, v7, 1.0
	s_delay_alu instid0(VALU_DEP_1) | instskip(NEXT) | instid1(VALU_DEP_1)
	v_fmac_f32_e32 v7, v8, v7
	v_mul_f32_e32 v8, v9, v7
	s_delay_alu instid0(VALU_DEP_1) | instskip(NEXT) | instid1(VALU_DEP_1)
	v_fma_f32 v10, -v6, v8, v9
	v_fmac_f32_e32 v8, v10, v7
	s_delay_alu instid0(VALU_DEP_1) | instskip(NEXT) | instid1(VALU_DEP_1)
	v_fma_f32 v6, -v6, v8, v9
	v_div_fmas_f32 v6, v6, v7, v8
	s_delay_alu instid0(VALU_DEP_1) | instskip(SKIP_1) | instid1(VALU_DEP_2)
	v_div_fixup_f32 v5, v6, v4, v5
	v_mov_b32_e32 v6, 0x7f
	v_minmax_f32 v5, v5, s9, 0xc3e00000
	s_delay_alu instid0(VALU_DEP_1) | instskip(NEXT) | instid1(VALU_DEP_1)
	v_and_b32_e32 v7, 0x7fffffff, v5
	v_cmpx_gt_u32_e32 0x43f00000, v7
	s_cbranch_execz .LBB9_30
; %bb.32:                               ;   in Loop: Header=BB9_31 Depth=1
	s_mov_b32 s11, exec_lo
                                        ; implicit-def: $vgpr6
	v_cmpx_lt_u32_e32 0x3c7fffff, v7
	s_xor_b32 s11, exec_lo, s11
; %bb.33:                               ;   in Loop: Header=BB9_31 Depth=1
	v_bfe_u32 v6, v5, 20, 1
	s_delay_alu instid0(VALU_DEP_1) | instskip(NEXT) | instid1(VALU_DEP_1)
	v_add3_u32 v6, v5, v6, 0x407ffff
	v_lshrrev_b32_e32 v6, 20, v6
; %bb.34:                               ;   in Loop: Header=BB9_31 Depth=1
	s_and_not1_saveexec_b32 s11, s11
	s_cbranch_execz .LBB9_29
; %bb.35:                               ;   in Loop: Header=BB9_31 Depth=1
	v_add_f32_e64 v6, 0x46800000, |v5|
	s_branch .LBB9_29
.LBB9_36:
	s_or_b32 exec_lo, exec_lo, s3
	s_branch .LBB9_177
.LBB9_37:
	s_cbranch_execz .LBB9_177
; %bb.38:
	s_load_b32 s3, s[0:1], 0x40
	s_ashr_i32 s2, s22, 31
	s_mul_hi_u32 s4, s22, s24
	s_mul_i32 s2, s2, s24
	v_mov_b32_e32 v9, 0
	s_add_i32 s5, s4, s2
	s_mul_i32 s4, s22, s24
	s_mov_b32 s25, 0
	s_lshl_b64 s[4:5], s[4:5], 1
	s_delay_alu instid0(SALU_CYCLE_1)
	s_add_u32 s9, s16, s4
	s_addc_u32 s10, s17, s5
	s_ashr_i32 s11, s21, 2
	s_add_u32 s0, s0, 64
	v_cmp_gt_u32_e64 s2, s11, v0
	s_addc_u32 s1, s1, 0
	s_delay_alu instid0(VALU_DEP_1)
	s_and_saveexec_b32 s4, s2
	s_cbranch_execz .LBB9_48
; %bb.39:
	s_waitcnt lgkmcnt(0)
	s_cmp_lt_u32 s24, s3
	v_dual_mov_b32 v2, 0 :: v_dual_mov_b32 v1, v0
	s_cselect_b32 s5, 12, 18
	s_delay_alu instid0(SALU_CYCLE_1)
	s_add_u32 s6, s0, s5
	s_addc_u32 s7, s1, 0
	s_mov_b32 s5, s25
	global_load_u16 v6, v2, s[6:7]
                                        ; implicit-def: $sgpr6
	v_mov_b32_e32 v9, v2
	s_waitcnt vmcnt(0)
	v_mul_lo_u32 v7, v6, 3
	v_lshlrev_b32_e32 v8, 1, v6
	v_add_nc_u32_e32 v10, v6, v6
	s_branch .LBB9_43
.LBB9_40:                               ;   in Loop: Header=BB9_43 Depth=1
	s_or_b32 exec_lo, exec_lo, s16
	s_delay_alu instid0(SALU_CYCLE_1)
	s_or_not1_b32 s16, s17, exec_lo
.LBB9_41:                               ;   in Loop: Header=BB9_43 Depth=1
	s_or_b32 exec_lo, exec_lo, s8
	s_delay_alu instid0(SALU_CYCLE_1) | instskip(SKIP_1) | instid1(SALU_CYCLE_1)
	s_and_not1_b32 s6, s6, exec_lo
	s_and_b32 s8, s16, exec_lo
	s_or_b32 s6, s6, s8
.LBB9_42:                               ;   in Loop: Header=BB9_43 Depth=1
	s_or_b32 exec_lo, exec_lo, s7
	s_delay_alu instid0(SALU_CYCLE_1) | instskip(NEXT) | instid1(SALU_CYCLE_1)
	s_and_b32 s7, exec_lo, s6
	s_or_b32 s5, s7, s5
	s_delay_alu instid0(SALU_CYCLE_1)
	s_and_not1_b32 exec_lo, exec_lo, s5
	s_cbranch_execz .LBB9_47
.LBB9_43:                               ; =>This Inner Loop Header: Depth=1
	v_lshlrev_b64 v[3:4], 3, v[1:2]
	s_or_b32 s6, s6, exec_lo
	s_mov_b32 s7, exec_lo
	s_delay_alu instid0(VALU_DEP_1) | instskip(NEXT) | instid1(VALU_DEP_2)
	v_add_co_u32 v3, vcc_lo, s9, v3
	v_add_co_ci_u32_e32 v4, vcc_lo, s10, v4, vcc_lo
	global_load_b64 v[3:4], v[3:4], off
	s_waitcnt vmcnt(0)
	v_fma_mix_f32 v5, v3, v3, v9 op_sel_hi:[1,1,0]
	s_delay_alu instid0(VALU_DEP_1) | instskip(NEXT) | instid1(VALU_DEP_1)
	v_fma_mix_f32 v3, v3, v3, v5 op_sel:[1,1,0] op_sel_hi:[1,1,0]
	v_fma_mix_f32 v5, v4, v4, v3 op_sel_hi:[1,1,0]
	v_add_nc_u32_e32 v3, v1, v6
	s_delay_alu instid0(VALU_DEP_2) | instskip(NEXT) | instid1(VALU_DEP_2)
	v_fma_mix_f32 v9, v4, v4, v5 op_sel:[1,1,0] op_sel_hi:[1,1,0]
	v_cmpx_gt_u32_e64 s11, v3
	s_cbranch_execz .LBB9_42
; %bb.44:                               ;   in Loop: Header=BB9_43 Depth=1
	v_mov_b32_e32 v4, v2
	s_mov_b32 s16, -1
	s_mov_b32 s8, exec_lo
	s_delay_alu instid0(VALU_DEP_1) | instskip(NEXT) | instid1(VALU_DEP_1)
	v_lshlrev_b64 v[4:5], 3, v[3:4]
	v_add_co_u32 v4, vcc_lo, s9, v4
	s_delay_alu instid0(VALU_DEP_2) | instskip(SKIP_3) | instid1(VALU_DEP_1)
	v_add_co_ci_u32_e32 v5, vcc_lo, s10, v5, vcc_lo
	global_load_b64 v[4:5], v[4:5], off
	s_waitcnt vmcnt(0)
	v_fma_mix_f32 v9, v4, v4, v9 op_sel_hi:[1,1,0]
	v_fma_mix_f32 v4, v4, v4, v9 op_sel:[1,1,0] op_sel_hi:[1,1,0]
	s_delay_alu instid0(VALU_DEP_1) | instskip(SKIP_1) | instid1(VALU_DEP_2)
	v_fma_mix_f32 v9, v5, v5, v4 op_sel_hi:[1,1,0]
	v_add_nc_u32_e32 v4, v8, v1
	v_fma_mix_f32 v9, v5, v5, v9 op_sel:[1,1,0] op_sel_hi:[1,1,0]
	s_delay_alu instid0(VALU_DEP_2)
	v_cmpx_gt_u32_e64 s11, v4
	s_cbranch_execz .LBB9_41
; %bb.45:                               ;   in Loop: Header=BB9_43 Depth=1
	v_mov_b32_e32 v5, v2
	v_add_nc_u32_e32 v1, v7, v1
	s_mov_b32 s17, -1
	s_mov_b32 s16, exec_lo
	s_delay_alu instid0(VALU_DEP_2) | instskip(NEXT) | instid1(VALU_DEP_1)
	v_lshlrev_b64 v[4:5], 3, v[4:5]
	v_add_co_u32 v4, vcc_lo, s9, v4
	s_delay_alu instid0(VALU_DEP_2) | instskip(SKIP_3) | instid1(VALU_DEP_1)
	v_add_co_ci_u32_e32 v5, vcc_lo, s10, v5, vcc_lo
	global_load_b64 v[4:5], v[4:5], off
	s_waitcnt vmcnt(0)
	v_fma_mix_f32 v9, v4, v4, v9 op_sel_hi:[1,1,0]
	v_fma_mix_f32 v4, v4, v4, v9 op_sel:[1,1,0] op_sel_hi:[1,1,0]
	s_delay_alu instid0(VALU_DEP_1) | instskip(NEXT) | instid1(VALU_DEP_1)
	v_fma_mix_f32 v4, v5, v5, v4 op_sel_hi:[1,1,0]
	v_fma_mix_f32 v9, v5, v5, v4 op_sel:[1,1,0] op_sel_hi:[1,1,0]
	v_cmpx_gt_u32_e64 s11, v1
	s_xor_b32 s16, exec_lo, s16
	s_cbranch_execz .LBB9_40
; %bb.46:                               ;   in Loop: Header=BB9_43 Depth=1
	v_lshlrev_b64 v[4:5], 3, v[1:2]
	s_delay_alu instid0(VALU_DEP_1) | instskip(NEXT) | instid1(VALU_DEP_2)
	v_add_co_u32 v4, vcc_lo, s9, v4
	v_add_co_ci_u32_e32 v5, vcc_lo, s10, v5, vcc_lo
	global_load_b64 v[4:5], v[4:5], off
	s_waitcnt vmcnt(0)
	v_fma_mix_f32 v1, v4, v4, v9 op_sel_hi:[1,1,0]
	s_delay_alu instid0(VALU_DEP_1) | instskip(SKIP_1) | instid1(VALU_DEP_2)
	v_fma_mix_f32 v4, v4, v4, v1 op_sel:[1,1,0] op_sel_hi:[1,1,0]
	v_add3_u32 v1, v10, v6, v3
	v_fma_mix_f32 v3, v5, v5, v4 op_sel_hi:[1,1,0]
	s_delay_alu instid0(VALU_DEP_2) | instskip(NEXT) | instid1(VALU_DEP_2)
	v_cmp_le_u32_e32 vcc_lo, s11, v1
	v_fma_mix_f32 v9, v5, v5, v3 op_sel:[1,1,0] op_sel_hi:[1,1,0]
	s_or_not1_b32 s17, vcc_lo, exec_lo
	s_branch .LBB9_40
.LBB9_47:
	s_or_b32 exec_lo, exec_lo, s5
.LBB9_48:
	s_delay_alu instid0(SALU_CYCLE_1)
	s_or_b32 exec_lo, exec_lo, s4
	s_waitcnt lgkmcnt(0)
	s_cmp_lt_u32 s24, s3
	v_dual_mov_b32 v1, 0 :: v_dual_and_b32 v4, 0x3e0, v0
	s_cselect_b32 s3, 12, 18
	v_mbcnt_lo_u32_b32 v6, -1, 0
	s_add_u32 s0, s0, s3
	s_addc_u32 s1, s1, 0
	global_load_u16 v1, v1, s[0:1]
	v_cmp_ne_u32_e32 vcc_lo, 31, v6
	v_add_nc_u32_e32 v8, 1, v6
	v_add_nc_u32_e32 v12, 2, v6
	;; [unrolled: 1-line block ×4, first 2 shown]
	v_add_co_ci_u32_e32 v2, vcc_lo, 0, v6, vcc_lo
	v_cmp_gt_u32_e32 vcc_lo, 30, v6
	v_add_nc_u32_e32 v17, 16, v6
	v_cmp_eq_u32_e64 s6, 0, v6
	s_delay_alu instid0(VALU_DEP_4)
	v_lshlrev_b32_e32 v7, 2, v2
	v_cndmask_b32_e64 v3, 0, 1, vcc_lo
	v_cmp_gt_u32_e32 vcc_lo, 28, v6
	ds_bpermute_b32 v2, v7, v9
	v_lshlrev_b32_e32 v3, 1, v3
	v_cndmask_b32_e64 v5, 0, 1, vcc_lo
	v_cmp_gt_u32_e32 vcc_lo, 24, v6
	s_delay_alu instid0(VALU_DEP_2) | instskip(NEXT) | instid1(VALU_DEP_1)
	v_lshlrev_b32_e32 v5, 2, v5
	v_add_lshl_u32 v11, v5, v6, 2
	v_cndmask_b32_e64 v5, 0, 1, vcc_lo
	v_cmp_gt_u32_e32 vcc_lo, 16, v6
	s_waitcnt lgkmcnt(0)
	s_delay_alu instid0(VALU_DEP_2) | instskip(SKIP_1) | instid1(VALU_DEP_2)
	v_dual_add_f32 v2, v9, v2 :: v_dual_lshlrev_b32 v5, 3, v5
	v_add_lshl_u32 v10, v3, v6, 2
	v_add_lshl_u32 v13, v5, v6, 2
	v_cndmask_b32_e64 v5, 0, 1, vcc_lo
	s_delay_alu instid0(VALU_DEP_1) | instskip(NEXT) | instid1(VALU_DEP_1)
	v_lshlrev_b32_e32 v5, 4, v5
	v_add_lshl_u32 v15, v5, v6, 2
	s_waitcnt vmcnt(0)
	v_sub_nc_u32_e64 v4, v1, v4 clamp
	v_readfirstlane_b32 s16, v1
	s_delay_alu instid0(VALU_DEP_2)
	v_cmp_lt_u32_e64 s0, v8, v4
	v_cmp_lt_u32_e64 s1, v12, v4
	;; [unrolled: 1-line block ×5, first 2 shown]
	v_cndmask_b32_e64 v2, v9, v2, s0
	ds_bpermute_b32 v3, v10, v2
	s_waitcnt lgkmcnt(0)
	v_add_f32_e32 v3, v2, v3
	s_delay_alu instid0(VALU_DEP_1) | instskip(SKIP_3) | instid1(VALU_DEP_1)
	v_cndmask_b32_e64 v2, v2, v3, s1
	ds_bpermute_b32 v3, v11, v2
	s_waitcnt lgkmcnt(0)
	v_add_f32_e32 v3, v2, v3
	v_cndmask_b32_e64 v2, v2, v3, s3
	ds_bpermute_b32 v3, v13, v2
	s_waitcnt lgkmcnt(0)
	v_add_f32_e32 v3, v2, v3
	s_delay_alu instid0(VALU_DEP_1) | instskip(SKIP_3) | instid1(VALU_DEP_1)
	v_cndmask_b32_e64 v2, v2, v3, s5
	ds_bpermute_b32 v3, v15, v2
	s_waitcnt lgkmcnt(0)
	v_add_f32_e32 v3, v2, v3
	v_cndmask_b32_e64 v1, v2, v3, s8
	s_and_saveexec_b32 s4, s6
	s_cbranch_execz .LBB9_50
; %bb.49:
	v_lshrrev_b32_e32 v2, 3, v0
	s_delay_alu instid0(VALU_DEP_1)
	v_and_b32_e32 v2, 0x7c, v2
	ds_store_b32 v2, v1
.LBB9_50:
	s_or_b32 exec_lo, exec_lo, s4
	v_cmp_gt_u32_e64 s7, 32, v0
	s_waitcnt lgkmcnt(0)
	s_waitcnt_vscnt null, 0x0
	s_barrier
	buffer_gl0_inv
	s_and_saveexec_b32 s4, s7
	s_cbranch_execz .LBB9_52
; %bb.51:
	v_lshlrev_b32_e32 v1, 2, v6
	s_add_i32 s17, s16, 31
	s_delay_alu instid0(SALU_CYCLE_1) | instskip(NEXT) | instid1(SALU_CYCLE_1)
	s_lshr_b32 s17, s17, 5
	v_cmp_gt_u32_e32 vcc_lo, s17, v8
	ds_load_b32 v1, v1
	s_waitcnt lgkmcnt(0)
	ds_bpermute_b32 v2, v7, v1
	s_waitcnt lgkmcnt(0)
	v_add_f32_e32 v2, v1, v2
	s_delay_alu instid0(VALU_DEP_1) | instskip(SKIP_4) | instid1(VALU_DEP_1)
	v_cndmask_b32_e32 v1, v1, v2, vcc_lo
	v_cmp_gt_u32_e32 vcc_lo, s17, v12
	ds_bpermute_b32 v2, v10, v1
	s_waitcnt lgkmcnt(0)
	v_add_f32_e32 v2, v1, v2
	v_cndmask_b32_e32 v1, v1, v2, vcc_lo
	v_cmp_gt_u32_e32 vcc_lo, s17, v14
	ds_bpermute_b32 v2, v11, v1
	s_waitcnt lgkmcnt(0)
	v_add_f32_e32 v2, v1, v2
	s_delay_alu instid0(VALU_DEP_1) | instskip(SKIP_4) | instid1(VALU_DEP_1)
	v_cndmask_b32_e32 v1, v1, v2, vcc_lo
	v_cmp_gt_u32_e32 vcc_lo, s17, v16
	ds_bpermute_b32 v2, v13, v1
	s_waitcnt lgkmcnt(0)
	v_add_f32_e32 v2, v1, v2
	v_cndmask_b32_e32 v1, v1, v2, vcc_lo
	v_cmp_gt_u32_e32 vcc_lo, s17, v17
	ds_bpermute_b32 v2, v15, v1
	s_waitcnt lgkmcnt(0)
	v_add_f32_e32 v2, v1, v2
	s_delay_alu instid0(VALU_DEP_1)
	v_cndmask_b32_e32 v1, v1, v2, vcc_lo
.LBB9_52:
	s_or_b32 exec_lo, exec_lo, s4
	v_cmp_eq_u32_e64 s4, 0, v0
	s_delay_alu instid0(VALU_DEP_1)
	s_and_saveexec_b32 s17, s4
	s_cbranch_execz .LBB9_54
; %bb.53:
	v_cvt_f32_i32_e32 v2, s21
	s_delay_alu instid0(VALU_DEP_1) | instskip(SKIP_1) | instid1(VALU_DEP_2)
	v_div_scale_f32 v3, null, v2, v2, v1
	v_div_scale_f32 v9, vcc_lo, v1, v2, v1
	v_rcp_f32_e32 v4, v3
	s_waitcnt_depctr 0xfff
	v_fma_f32 v5, -v3, v4, 1.0
	s_delay_alu instid0(VALU_DEP_1) | instskip(NEXT) | instid1(VALU_DEP_1)
	v_fmac_f32_e32 v4, v5, v4
	v_mul_f32_e32 v5, v9, v4
	s_delay_alu instid0(VALU_DEP_1) | instskip(NEXT) | instid1(VALU_DEP_1)
	v_fma_f32 v18, -v3, v5, v9
	v_fmac_f32_e32 v5, v18, v4
	s_delay_alu instid0(VALU_DEP_1) | instskip(NEXT) | instid1(VALU_DEP_1)
	v_fma_f32 v3, -v3, v5, v9
	v_div_fmas_f32 v3, v3, v4, v5
	s_delay_alu instid0(VALU_DEP_1) | instskip(NEXT) | instid1(VALU_DEP_1)
	v_div_fixup_f32 v1, v3, v2, v1
	v_add_f32_e32 v1, s20, v1
	s_delay_alu instid0(VALU_DEP_1) | instskip(SKIP_1) | instid1(VALU_DEP_2)
	v_mul_f32_e32 v2, 0x4b800000, v1
	v_cmp_gt_f32_e32 vcc_lo, 0x800000, v1
	v_cndmask_b32_e32 v1, v1, v2, vcc_lo
	s_delay_alu instid0(VALU_DEP_1) | instskip(SKIP_2) | instid1(VALU_DEP_1)
	v_rsq_f32_e32 v1, v1
	s_waitcnt_depctr 0xfff
	v_mul_f32_e32 v2, 0x45800000, v1
	v_dual_cndmask_b32 v1, v1, v2 :: v_dual_mov_b32 v2, 0
	ds_store_b32 v2, v1 offset:512
.LBB9_54:
	s_or_b32 exec_lo, exec_lo, s17
	v_mov_b32_e32 v18, 0
	s_waitcnt lgkmcnt(0)
	s_barrier
	buffer_gl0_inv
	ds_load_b32 v9, v18 offset:512
	s_and_saveexec_b32 s17, s2
	s_cbranch_execz .LBB9_64
; %bb.55:
	v_dual_mov_b32 v2, 0 :: v_dual_mov_b32 v1, v0
	v_mov_b32_e32 v18, 0
	s_mul_i32 s20, s16, 3
	s_lshl_b32 s23, s16, 1
	s_mov_b32 s22, 0
	s_add_i32 s28, s16, s16
                                        ; implicit-def: $sgpr29
	s_branch .LBB9_59
.LBB9_56:                               ;   in Loop: Header=BB9_59 Depth=1
	s_or_b32 exec_lo, exec_lo, s33
	s_delay_alu instid0(SALU_CYCLE_1)
	s_or_not1_b32 s33, s34, exec_lo
.LBB9_57:                               ;   in Loop: Header=BB9_59 Depth=1
	s_or_b32 exec_lo, exec_lo, s31
	s_delay_alu instid0(SALU_CYCLE_1) | instskip(SKIP_1) | instid1(SALU_CYCLE_1)
	s_and_not1_b32 s29, s29, exec_lo
	s_and_b32 s31, s33, exec_lo
	s_or_b32 s29, s29, s31
.LBB9_58:                               ;   in Loop: Header=BB9_59 Depth=1
	s_or_b32 exec_lo, exec_lo, s30
	s_delay_alu instid0(SALU_CYCLE_1) | instskip(NEXT) | instid1(SALU_CYCLE_1)
	s_and_b32 s30, exec_lo, s29
	s_or_b32 s22, s30, s22
	s_delay_alu instid0(SALU_CYCLE_1)
	s_and_not1_b32 exec_lo, exec_lo, s22
	s_cbranch_execz .LBB9_63
.LBB9_59:                               ; =>This Inner Loop Header: Depth=1
	v_lshlrev_b64 v[3:4], 3, v[1:2]
	s_or_b32 s29, s29, exec_lo
	s_mov_b32 s30, exec_lo
	s_delay_alu instid0(VALU_DEP_1) | instskip(NEXT) | instid1(VALU_DEP_2)
	v_add_co_u32 v19, vcc_lo, s18, v3
	v_add_co_ci_u32_e32 v20, vcc_lo, s19, v4, vcc_lo
	v_add_co_u32 v3, vcc_lo, s9, v3
	v_add_co_ci_u32_e32 v4, vcc_lo, s10, v4, vcc_lo
	global_load_b64 v[19:20], v[19:20], off
	global_load_b64 v[3:4], v[3:4], off
	s_waitcnt vmcnt(1)
	v_lshrrev_b32_e32 v5, 16, v19
	s_waitcnt vmcnt(0) lgkmcnt(0)
	v_fma_mixlo_f16 v21, v9, v3, 0 op_sel_hi:[0,1,0]
	v_fma_mixlo_f16 v3, v9, v3, 0 op_sel:[0,1,0] op_sel_hi:[0,1,0]
	v_lshrrev_b32_e32 v22, 16, v20
	v_fma_mixlo_f16 v23, v9, v4, 0 op_sel_hi:[0,1,0]
	v_fma_mixlo_f16 v4, v9, v4, 0 op_sel:[0,1,0] op_sel_hi:[0,1,0]
	v_mul_f16_e32 v19, v19, v21
	v_mul_f16_e32 v3, v5, v3
	s_delay_alu instid0(VALU_DEP_4) | instskip(NEXT) | instid1(VALU_DEP_4)
	v_mul_f16_e32 v5, v20, v23
	v_mul_f16_e32 v4, v22, v4
	s_delay_alu instid0(VALU_DEP_4) | instskip(NEXT) | instid1(VALU_DEP_4)
	v_cvt_f32_f16_e64 v19, |v19|
	v_cvt_f32_f16_e64 v3, |v3|
	s_delay_alu instid0(VALU_DEP_4) | instskip(NEXT) | instid1(VALU_DEP_4)
	v_cvt_f32_f16_e64 v5, |v5|
	v_cvt_f32_f16_e64 v4, |v4|
	s_delay_alu instid0(VALU_DEP_3) | instskip(SKIP_1) | instid1(VALU_DEP_2)
	v_max3_f32 v18, v18, v19, v3
	v_add_nc_u32_e32 v3, s16, v1
	v_max3_f32 v18, v18, v5, v4
	s_delay_alu instid0(VALU_DEP_2)
	v_cmpx_gt_u32_e64 s11, v3
	s_cbranch_execz .LBB9_58
; %bb.60:                               ;   in Loop: Header=BB9_59 Depth=1
	v_mov_b32_e32 v4, v2
	s_mov_b32 s33, -1
	s_mov_b32 s31, exec_lo
	s_delay_alu instid0(VALU_DEP_1) | instskip(NEXT) | instid1(VALU_DEP_1)
	v_lshlrev_b64 v[4:5], 3, v[3:4]
	v_add_co_u32 v19, vcc_lo, s18, v4
	s_delay_alu instid0(VALU_DEP_2)
	v_add_co_ci_u32_e32 v20, vcc_lo, s19, v5, vcc_lo
	v_add_co_u32 v4, vcc_lo, s9, v4
	v_add_co_ci_u32_e32 v5, vcc_lo, s10, v5, vcc_lo
	global_load_b64 v[19:20], v[19:20], off
	global_load_b64 v[4:5], v[4:5], off
	s_waitcnt vmcnt(1)
	v_lshrrev_b32_e32 v21, 16, v19
	s_waitcnt vmcnt(0)
	v_fma_mixlo_f16 v22, v9, v4, 0 op_sel_hi:[0,1,0]
	v_fma_mixlo_f16 v4, v9, v4, 0 op_sel:[0,1,0] op_sel_hi:[0,1,0]
	v_lshrrev_b32_e32 v23, 16, v20
	v_fma_mixlo_f16 v24, v9, v5, 0 op_sel_hi:[0,1,0]
	v_fma_mixlo_f16 v5, v9, v5, 0 op_sel:[0,1,0] op_sel_hi:[0,1,0]
	v_mul_f16_e32 v19, v19, v22
	v_mul_f16_e32 v4, v21, v4
	s_delay_alu instid0(VALU_DEP_4) | instskip(NEXT) | instid1(VALU_DEP_4)
	v_mul_f16_e32 v20, v20, v24
	v_mul_f16_e32 v5, v23, v5
	s_delay_alu instid0(VALU_DEP_4) | instskip(NEXT) | instid1(VALU_DEP_4)
	v_cvt_f32_f16_e64 v19, |v19|
	v_cvt_f32_f16_e64 v4, |v4|
	s_delay_alu instid0(VALU_DEP_4) | instskip(NEXT) | instid1(VALU_DEP_4)
	v_cvt_f32_f16_e64 v20, |v20|
	v_cvt_f32_f16_e64 v5, |v5|
	s_delay_alu instid0(VALU_DEP_3) | instskip(SKIP_1) | instid1(VALU_DEP_2)
	v_max3_f32 v18, v18, v19, v4
	v_add_nc_u32_e32 v4, s23, v1
	v_max3_f32 v18, v18, v20, v5
	s_delay_alu instid0(VALU_DEP_2)
	v_cmpx_gt_u32_e64 s11, v4
	s_cbranch_execz .LBB9_57
; %bb.61:                               ;   in Loop: Header=BB9_59 Depth=1
	v_mov_b32_e32 v5, v2
	v_add_nc_u32_e32 v1, s20, v1
	s_mov_b32 s34, -1
	s_mov_b32 s33, exec_lo
	s_delay_alu instid0(VALU_DEP_2) | instskip(NEXT) | instid1(VALU_DEP_1)
	v_lshlrev_b64 v[4:5], 3, v[4:5]
	v_add_co_u32 v19, vcc_lo, s18, v4
	s_delay_alu instid0(VALU_DEP_2)
	v_add_co_ci_u32_e32 v20, vcc_lo, s19, v5, vcc_lo
	v_add_co_u32 v4, vcc_lo, s9, v4
	v_add_co_ci_u32_e32 v5, vcc_lo, s10, v5, vcc_lo
	global_load_b64 v[19:20], v[19:20], off
	global_load_b64 v[4:5], v[4:5], off
	s_waitcnt vmcnt(1)
	v_lshrrev_b32_e32 v21, 16, v19
	s_waitcnt vmcnt(0)
	v_fma_mixlo_f16 v22, v9, v4, 0 op_sel_hi:[0,1,0]
	v_fma_mixlo_f16 v4, v9, v4, 0 op_sel:[0,1,0] op_sel_hi:[0,1,0]
	v_lshrrev_b32_e32 v23, 16, v20
	v_fma_mixlo_f16 v24, v9, v5, 0 op_sel_hi:[0,1,0]
	v_fma_mixlo_f16 v5, v9, v5, 0 op_sel:[0,1,0] op_sel_hi:[0,1,0]
	v_mul_f16_e32 v19, v19, v22
	v_mul_f16_e32 v4, v21, v4
	s_delay_alu instid0(VALU_DEP_4) | instskip(NEXT) | instid1(VALU_DEP_4)
	v_mul_f16_e32 v20, v20, v24
	v_mul_f16_e32 v5, v23, v5
	s_delay_alu instid0(VALU_DEP_4) | instskip(NEXT) | instid1(VALU_DEP_4)
	v_cvt_f32_f16_e64 v19, |v19|
	v_cvt_f32_f16_e64 v4, |v4|
	s_delay_alu instid0(VALU_DEP_4) | instskip(NEXT) | instid1(VALU_DEP_4)
	v_cvt_f32_f16_e64 v20, |v20|
	v_cvt_f32_f16_e64 v5, |v5|
	s_delay_alu instid0(VALU_DEP_3) | instskip(NEXT) | instid1(VALU_DEP_1)
	v_max3_f32 v4, v18, v19, v4
	v_max3_f32 v18, v4, v20, v5
	v_cmpx_gt_u32_e64 s11, v1
	s_xor_b32 s33, exec_lo, s33
	s_cbranch_execz .LBB9_56
; %bb.62:                               ;   in Loop: Header=BB9_59 Depth=1
	v_lshlrev_b64 v[4:5], 3, v[1:2]
	s_delay_alu instid0(VALU_DEP_1) | instskip(NEXT) | instid1(VALU_DEP_2)
	v_add_co_u32 v19, vcc_lo, s18, v4
	v_add_co_ci_u32_e32 v20, vcc_lo, s19, v5, vcc_lo
	v_add_co_u32 v4, vcc_lo, s9, v4
	v_add_co_ci_u32_e32 v5, vcc_lo, s10, v5, vcc_lo
	global_load_b64 v[19:20], v[19:20], off
	global_load_b64 v[4:5], v[4:5], off
	s_waitcnt vmcnt(1)
	v_lshrrev_b32_e32 v1, 16, v19
	s_waitcnt vmcnt(0)
	v_fma_mixlo_f16 v21, v9, v4, 0 op_sel_hi:[0,1,0]
	v_fma_mixlo_f16 v4, v9, v4, 0 op_sel:[0,1,0] op_sel_hi:[0,1,0]
	v_lshrrev_b32_e32 v22, 16, v20
	v_fma_mixlo_f16 v23, v9, v5, 0 op_sel_hi:[0,1,0]
	s_delay_alu instid0(VALU_DEP_4) | instskip(NEXT) | instid1(VALU_DEP_4)
	v_mul_f16_e32 v19, v19, v21
	v_mul_f16_e32 v1, v1, v4
	v_fma_mixlo_f16 v4, v9, v5, 0 op_sel:[0,1,0] op_sel_hi:[0,1,0]
	s_delay_alu instid0(VALU_DEP_4) | instskip(NEXT) | instid1(VALU_DEP_4)
	v_mul_f16_e32 v5, v20, v23
	v_cvt_f32_f16_e64 v19, |v19|
	s_delay_alu instid0(VALU_DEP_4) | instskip(NEXT) | instid1(VALU_DEP_4)
	v_cvt_f32_f16_e64 v20, |v1|
	v_mul_f16_e32 v4, v22, v4
	v_add3_u32 v1, s28, s16, v3
	v_cvt_f32_f16_e64 v3, |v5|
	s_delay_alu instid0(VALU_DEP_4) | instskip(NEXT) | instid1(VALU_DEP_4)
	v_max3_f32 v5, v18, v19, v20
	v_cvt_f32_f16_e64 v4, |v4|
	s_delay_alu instid0(VALU_DEP_4) | instskip(NEXT) | instid1(VALU_DEP_2)
	v_cmp_le_u32_e32 vcc_lo, s11, v1
	v_max3_f32 v18, v5, v3, v4
	s_or_not1_b32 s34, vcc_lo, exec_lo
	s_branch .LBB9_56
.LBB9_63:
	s_or_b32 exec_lo, exec_lo, s22
.LBB9_64:
	s_delay_alu instid0(SALU_CYCLE_1) | instskip(SKIP_4) | instid1(VALU_DEP_1)
	s_or_b32 exec_lo, exec_lo, s17
	ds_bpermute_b32 v1, v7, v18
	s_waitcnt lgkmcnt(0)
	v_cmp_lt_f32_e32 vcc_lo, v18, v1
	v_cndmask_b32_e32 v1, v18, v1, vcc_lo
	v_cndmask_b32_e64 v1, v18, v1, s0
	s_or_b32 s0, s0, s1
	s_delay_alu instid0(SALU_CYCLE_1) | instskip(NEXT) | instid1(SALU_CYCLE_1)
	s_or_b32 s0, s3, s0
	s_or_b32 s0, s5, s0
	ds_bpermute_b32 v2, v10, v1
	s_waitcnt lgkmcnt(0)
	v_cmp_lt_f32_e32 vcc_lo, v1, v2
	v_cndmask_b32_e32 v2, v1, v2, vcc_lo
	s_delay_alu instid0(VALU_DEP_1) | instskip(SKIP_4) | instid1(VALU_DEP_1)
	v_cndmask_b32_e64 v1, v1, v2, s1
	ds_bpermute_b32 v2, v11, v1
	s_waitcnt lgkmcnt(0)
	v_cmp_lt_f32_e32 vcc_lo, v1, v2
	v_cndmask_b32_e32 v2, v1, v2, vcc_lo
	v_cndmask_b32_e64 v1, v1, v2, s3
	ds_bpermute_b32 v2, v13, v1
	s_waitcnt lgkmcnt(0)
	v_cmp_lt_f32_e32 vcc_lo, v1, v2
	v_cndmask_b32_e32 v2, v1, v2, vcc_lo
	s_delay_alu instid0(VALU_DEP_1)
	v_cndmask_b32_e64 v1, v1, v2, s5
	ds_bpermute_b32 v2, v15, v1
	s_waitcnt lgkmcnt(0)
	v_cmp_lt_f32_e32 vcc_lo, v1, v2
	s_and_b32 vcc_lo, s8, vcc_lo
	v_cndmask_b32_e32 v1, v1, v2, vcc_lo
	s_or_b32 vcc_lo, s8, s0
	s_delay_alu instid0(VALU_DEP_1)
	v_cndmask_b32_e32 v1, v18, v1, vcc_lo
	s_and_saveexec_b32 s0, s6
	s_cbranch_execz .LBB9_66
; %bb.65:
	v_lshrrev_b32_e32 v2, 3, v0
	s_delay_alu instid0(VALU_DEP_1)
	v_and_b32_e32 v2, 0x7c, v2
	ds_store_b32 v2, v1 offset:128
.LBB9_66:
	s_or_b32 exec_lo, exec_lo, s0
	s_waitcnt lgkmcnt(0)
	s_barrier
	buffer_gl0_inv
	s_and_saveexec_b32 s8, s7
	s_cbranch_execz .LBB9_68
; %bb.67:
	v_lshlrev_b32_e32 v1, 2, v6
	s_add_i32 s0, s16, 31
	s_delay_alu instid0(SALU_CYCLE_1)
	s_lshr_b32 s5, s0, 5
	ds_load_b32 v1, v1 offset:128
	s_waitcnt lgkmcnt(0)
	ds_bpermute_b32 v2, v7, v1
	s_waitcnt lgkmcnt(0)
	v_cmp_lt_f32_e32 vcc_lo, v1, v2
	v_cndmask_b32_e32 v2, v1, v2, vcc_lo
	v_cmp_gt_u32_e32 vcc_lo, s5, v8
	s_delay_alu instid0(VALU_DEP_2) | instskip(SKIP_3) | instid1(VALU_DEP_1)
	v_cndmask_b32_e32 v2, v1, v2, vcc_lo
	ds_bpermute_b32 v3, v10, v2
	s_waitcnt lgkmcnt(0)
	v_cmp_lt_f32_e64 s0, v2, v3
	v_cndmask_b32_e64 v3, v2, v3, s0
	v_cmp_gt_u32_e64 s0, s5, v12
	s_delay_alu instid0(VALU_DEP_1) | instskip(SKIP_4) | instid1(VALU_DEP_1)
	v_cndmask_b32_e64 v2, v2, v3, s0
	s_or_b32 s0, vcc_lo, s0
	ds_bpermute_b32 v3, v11, v2
	s_waitcnt lgkmcnt(0)
	v_cmp_lt_f32_e64 s1, v2, v3
	v_cndmask_b32_e64 v3, v2, v3, s1
	v_cmp_gt_u32_e64 s1, s5, v14
	s_delay_alu instid0(VALU_DEP_1) | instskip(SKIP_4) | instid1(VALU_DEP_1)
	v_cndmask_b32_e64 v2, v2, v3, s1
	s_or_b32 s0, s1, s0
	ds_bpermute_b32 v3, v13, v2
	s_waitcnt lgkmcnt(0)
	v_cmp_lt_f32_e64 s3, v2, v3
	v_cndmask_b32_e64 v3, v2, v3, s3
	v_cmp_gt_u32_e64 s3, s5, v16
	v_cmp_gt_u32_e64 s5, s5, v17
	s_delay_alu instid0(VALU_DEP_2) | instskip(SKIP_4) | instid1(VALU_DEP_1)
	v_cndmask_b32_e64 v2, v2, v3, s3
	s_or_b32 s0, s3, s0
	ds_bpermute_b32 v3, v15, v2
	s_waitcnt lgkmcnt(0)
	v_cmp_lt_f32_e64 s6, v2, v3
	s_and_b32 vcc_lo, s5, s6
	v_cndmask_b32_e32 v2, v2, v3, vcc_lo
	s_or_b32 vcc_lo, s5, s0
	s_delay_alu instid0(VALU_DEP_1)
	v_cndmask_b32_e32 v1, v1, v2, vcc_lo
.LBB9_68:
	s_or_b32 exec_lo, exec_lo, s8
	s_and_saveexec_b32 s0, s4
	s_cbranch_execz .LBB9_72
; %bb.69:
	s_cmp_eq_u64 s[26:27], 0
	s_cbranch_scc1 .LBB9_71
; %bb.70:
	s_load_b32 s1, s[26:27], 0x0
	v_max_f32_e32 v1, v1, v1
	s_waitcnt lgkmcnt(0)
	v_max_f32_e64 v2, s1, s1
	s_delay_alu instid0(VALU_DEP_1)
	v_min_f32_e32 v1, v1, v2
.LBB9_71:
	s_delay_alu instid0(VALU_DEP_1) | instskip(SKIP_2) | instid1(VALU_DEP_2)
	v_div_scale_f32 v2, null, 0x43e00000, 0x43e00000, v1
	v_div_scale_f32 v5, vcc_lo, v1, 0x43e00000, v1
	s_lshl_b64 s[4:5], s[24:25], 2
	v_rcp_f32_e32 v3, v2
	s_add_u32 s4, s14, s4
	s_addc_u32 s5, s15, s5
	s_waitcnt_depctr 0xfff
	v_fma_f32 v4, -v2, v3, 1.0
	s_delay_alu instid0(VALU_DEP_1) | instskip(NEXT) | instid1(VALU_DEP_1)
	v_fmac_f32_e32 v3, v4, v3
	v_mul_f32_e32 v4, v5, v3
	s_delay_alu instid0(VALU_DEP_1) | instskip(NEXT) | instid1(VALU_DEP_1)
	v_fma_f32 v6, -v2, v4, v5
	v_fmac_f32_e32 v4, v6, v3
	s_delay_alu instid0(VALU_DEP_1) | instskip(NEXT) | instid1(VALU_DEP_1)
	v_fma_f32 v2, -v2, v4, v5
	v_div_fmas_f32 v2, v2, v3, v4
	s_delay_alu instid0(VALU_DEP_1) | instskip(NEXT) | instid1(VALU_DEP_1)
	v_div_fixup_f32 v1, v2, 0x43e00000, v1
	v_dual_mov_b32 v2, 0 :: v_dual_max_f32 v1, 0x36924925, v1
	ds_store_b32 v2, v1 offset:516
	global_store_b32 v2, v1, s[4:5]
.LBB9_72:
	s_or_b32 exec_lo, exec_lo, s0
	s_waitcnt lgkmcnt(0)
	s_waitcnt_vscnt null, 0x0
	s_barrier
	buffer_gl0_inv
	s_and_saveexec_b32 s0, s2
	s_cbranch_execz .LBB9_177
; %bb.73:
	v_mov_b32_e32 v1, 0
	s_ashr_i32 s0, s21, 31
	s_mul_hi_u32 s1, s21, s24
	s_mul_i32 s0, s0, s24
	s_mul_i32 s2, s21, s24
	ds_load_b32 v10, v1 offset:516
	s_add_i32 s1, s1, s0
	s_add_u32 s0, s12, s2
	s_addc_u32 s1, s13, s1
	s_mul_i32 s2, s16, 3
	s_lshl_b32 s3, s16, 1
	s_mov_b32 s4, 0
	s_mov_b32 s5, 0x43e00000
	s_add_i32 s6, s16, s16
	s_branch .LBB9_79
.LBB9_74:                               ;   in Loop: Header=BB9_79 Depth=1
	s_or_b32 exec_lo, exec_lo, s14
.LBB9_75:                               ;   in Loop: Header=BB9_79 Depth=1
	s_delay_alu instid0(SALU_CYCLE_1)
	s_or_b32 exec_lo, exec_lo, s13
	v_lshrrev_b32_e32 v6, 24, v13
	v_lshrrev_b32_e32 v3, 24, v3
	;; [unrolled: 1-line block ×3, first 2 shown]
	v_lshlrev_b32_e32 v5, 24, v5
	v_and_b32_e32 v8, 0xff, v8
	v_and_b32_e32 v6, 0x80, v6
	;; [unrolled: 1-line block ×3, first 2 shown]
	s_delay_alu instid0(VALU_DEP_3) | instskip(NEXT) | instid1(VALU_DEP_3)
	v_and_or_b32 v8, 0x80, v11, v8
	v_and_or_b32 v6, 0xff, v12, v6
	v_and_b32_e32 v12, 0x80000000, v4
	s_delay_alu instid0(VALU_DEP_4) | instskip(SKIP_3) | instid1(VALU_DEP_4)
	v_and_or_b32 v7, 0xff, v7, v3
	v_lshlrev_b64 v[3:4], 2, v[0:1]
	v_add3_u32 v0, s6, s16, v2
	v_lshlrev_b32_e32 v6, 16, v6
	v_lshlrev_b32_e32 v7, 8, v7
	s_delay_alu instid0(VALU_DEP_4) | instskip(NEXT) | instid1(VALU_DEP_3)
	v_add_co_u32 v2, vcc_lo, s0, v3
	v_or3_b32 v5, v12, v5, v6
	v_add_co_ci_u32_e32 v3, vcc_lo, s1, v4, vcc_lo
	v_cmp_le_u32_e32 vcc_lo, s11, v0
	s_delay_alu instid0(VALU_DEP_3)
	v_or3_b32 v4, v5, v7, v8
	s_or_not1_b32 s13, vcc_lo, exec_lo
	global_store_b32 v[2:3], v4, off
.LBB9_76:                               ;   in Loop: Header=BB9_79 Depth=1
	s_or_b32 exec_lo, exec_lo, s12
	s_delay_alu instid0(SALU_CYCLE_1)
	s_or_not1_b32 s12, s13, exec_lo
.LBB9_77:                               ;   in Loop: Header=BB9_79 Depth=1
	s_or_b32 exec_lo, exec_lo, s8
	s_delay_alu instid0(SALU_CYCLE_1)
	s_or_not1_b32 s8, s12, exec_lo
.LBB9_78:                               ;   in Loop: Header=BB9_79 Depth=1
	s_or_b32 exec_lo, exec_lo, s7
	s_delay_alu instid0(SALU_CYCLE_1) | instskip(NEXT) | instid1(SALU_CYCLE_1)
	s_and_b32 s7, exec_lo, s8
	s_or_b32 s4, s7, s4
	s_delay_alu instid0(SALU_CYCLE_1)
	s_and_not1_b32 exec_lo, exec_lo, s4
	s_cbranch_execz .LBB9_177
.LBB9_79:                               ; =>This Inner Loop Header: Depth=1
	v_lshlrev_b64 v[2:3], 3, v[0:1]
	s_mov_b32 s7, exec_lo
	s_delay_alu instid0(VALU_DEP_1) | instskip(NEXT) | instid1(VALU_DEP_2)
	v_add_co_u32 v4, vcc_lo, s9, v2
	v_add_co_ci_u32_e32 v5, vcc_lo, s10, v3, vcc_lo
	v_add_co_u32 v6, vcc_lo, s18, v2
	v_add_co_ci_u32_e32 v7, vcc_lo, s19, v3, vcc_lo
	global_load_b64 v[2:3], v[4:5], off
	global_load_b64 v[4:5], v[6:7], off
	s_waitcnt vmcnt(1)
	v_fma_mixlo_f16 v6, v9, v2, 0 op_sel_hi:[0,1,0]
	s_waitcnt vmcnt(0)
	s_delay_alu instid0(VALU_DEP_1) | instskip(NEXT) | instid1(VALU_DEP_1)
	v_mul_f16_e32 v6, v4, v6
	v_cvt_f32_f16_e32 v6, v6
	s_waitcnt lgkmcnt(0)
	s_delay_alu instid0(VALU_DEP_1) | instskip(SKIP_1) | instid1(VALU_DEP_2)
	v_div_scale_f32 v7, null, v10, v10, v6
	v_div_scale_f32 v12, vcc_lo, v6, v10, v6
	v_rcp_f32_e32 v8, v7
	s_waitcnt_depctr 0xfff
	v_fma_f32 v11, -v7, v8, 1.0
	s_delay_alu instid0(VALU_DEP_1) | instskip(NEXT) | instid1(VALU_DEP_1)
	v_fmac_f32_e32 v8, v11, v8
	v_mul_f32_e32 v11, v12, v8
	s_delay_alu instid0(VALU_DEP_1) | instskip(NEXT) | instid1(VALU_DEP_1)
	v_fma_f32 v13, -v7, v11, v12
	v_fmac_f32_e32 v11, v13, v8
	s_delay_alu instid0(VALU_DEP_1) | instskip(NEXT) | instid1(VALU_DEP_1)
	v_fma_f32 v7, -v7, v11, v12
	v_div_fmas_f32 v7, v7, v8, v11
	s_delay_alu instid0(VALU_DEP_1) | instskip(SKIP_1) | instid1(VALU_DEP_2)
	v_div_fixup_f32 v6, v7, v10, v6
	v_mov_b32_e32 v7, 0x7f
	v_minmax_f32 v8, v6, s5, 0xc3e00000
	v_mov_b32_e32 v6, 0x7f
	s_delay_alu instid0(VALU_DEP_2) | instskip(NEXT) | instid1(VALU_DEP_1)
	v_and_b32_e32 v11, 0x7fffffff, v8
	v_cmpx_gt_u32_e32 0x43f00000, v11
	s_cbranch_execz .LBB9_85
; %bb.80:                               ;   in Loop: Header=BB9_79 Depth=1
	s_mov_b32 s8, exec_lo
                                        ; implicit-def: $vgpr7
	v_cmpx_lt_u32_e32 0x3c7fffff, v11
	s_xor_b32 s8, exec_lo, s8
; %bb.81:                               ;   in Loop: Header=BB9_79 Depth=1
	v_bfe_u32 v7, v8, 20, 1
	s_delay_alu instid0(VALU_DEP_1) | instskip(NEXT) | instid1(VALU_DEP_1)
	v_add3_u32 v7, v8, v7, 0x407ffff
	v_lshrrev_b32_e32 v7, 20, v7
; %bb.82:                               ;   in Loop: Header=BB9_79 Depth=1
	s_and_not1_saveexec_b32 s8, s8
; %bb.83:                               ;   in Loop: Header=BB9_79 Depth=1
	v_add_f32_e64 v7, 0x46800000, |v8|
; %bb.84:                               ;   in Loop: Header=BB9_79 Depth=1
	s_or_b32 exec_lo, exec_lo, s8
.LBB9_85:                               ;   in Loop: Header=BB9_79 Depth=1
	s_delay_alu instid0(SALU_CYCLE_1) | instskip(SKIP_3) | instid1(VALU_DEP_1)
	s_or_b32 exec_lo, exec_lo, s7
	v_lshrrev_b32_e32 v4, 16, v4
	v_fma_mixlo_f16 v2, v9, v2, 0 op_sel:[0,1,0] op_sel_hi:[0,1,0]
	s_mov_b32 s7, exec_lo
	v_mul_f16_e32 v2, v4, v2
	s_delay_alu instid0(VALU_DEP_1) | instskip(NEXT) | instid1(VALU_DEP_1)
	v_cvt_f32_f16_e32 v2, v2
	v_div_scale_f32 v4, null, v10, v10, v2
	s_delay_alu instid0(VALU_DEP_1) | instskip(SKIP_2) | instid1(VALU_DEP_1)
	v_rcp_f32_e32 v11, v4
	s_waitcnt_depctr 0xfff
	v_fma_f32 v12, -v4, v11, 1.0
	v_fmac_f32_e32 v11, v12, v11
	v_div_scale_f32 v12, vcc_lo, v2, v10, v2
	s_delay_alu instid0(VALU_DEP_1) | instskip(NEXT) | instid1(VALU_DEP_1)
	v_mul_f32_e32 v13, v12, v11
	v_fma_f32 v14, -v4, v13, v12
	s_delay_alu instid0(VALU_DEP_1) | instskip(NEXT) | instid1(VALU_DEP_1)
	v_fmac_f32_e32 v13, v14, v11
	v_fma_f32 v4, -v4, v13, v12
	s_delay_alu instid0(VALU_DEP_1) | instskip(NEXT) | instid1(VALU_DEP_1)
	v_div_fmas_f32 v4, v4, v11, v13
	v_div_fixup_f32 v2, v4, v10, v2
	s_delay_alu instid0(VALU_DEP_1) | instskip(NEXT) | instid1(VALU_DEP_1)
	v_minmax_f32 v2, v2, s5, 0xc3e00000
	v_and_b32_e32 v4, 0x7fffffff, v2
	s_delay_alu instid0(VALU_DEP_1)
	v_cmpx_gt_u32_e32 0x43f00000, v4
	s_cbranch_execz .LBB9_91
; %bb.86:                               ;   in Loop: Header=BB9_79 Depth=1
	s_mov_b32 s8, exec_lo
                                        ; implicit-def: $vgpr6
	v_cmpx_lt_u32_e32 0x3c7fffff, v4
	s_xor_b32 s8, exec_lo, s8
; %bb.87:                               ;   in Loop: Header=BB9_79 Depth=1
	v_bfe_u32 v4, v2, 20, 1
	s_delay_alu instid0(VALU_DEP_1) | instskip(NEXT) | instid1(VALU_DEP_1)
	v_add3_u32 v4, v2, v4, 0x407ffff
	v_lshrrev_b32_e32 v6, 20, v4
; %bb.88:                               ;   in Loop: Header=BB9_79 Depth=1
	s_and_not1_saveexec_b32 s8, s8
; %bb.89:                               ;   in Loop: Header=BB9_79 Depth=1
	v_add_f32_e64 v6, 0x46800000, |v2|
; %bb.90:                               ;   in Loop: Header=BB9_79 Depth=1
	s_or_b32 exec_lo, exec_lo, s8
.LBB9_91:                               ;   in Loop: Header=BB9_79 Depth=1
	s_delay_alu instid0(SALU_CYCLE_1) | instskip(SKIP_2) | instid1(VALU_DEP_1)
	s_or_b32 exec_lo, exec_lo, s7
	v_fma_mixlo_f16 v4, v9, v3, 0 op_sel_hi:[0,1,0]
	s_mov_b32 s7, exec_lo
	v_mul_f16_e32 v4, v5, v4
	s_delay_alu instid0(VALU_DEP_1) | instskip(NEXT) | instid1(VALU_DEP_1)
	v_cvt_f32_f16_e32 v4, v4
	v_div_scale_f32 v11, null, v10, v10, v4
	v_div_scale_f32 v14, vcc_lo, v4, v10, v4
	s_delay_alu instid0(VALU_DEP_2) | instskip(SKIP_2) | instid1(VALU_DEP_1)
	v_rcp_f32_e32 v12, v11
	s_waitcnt_depctr 0xfff
	v_fma_f32 v13, -v11, v12, 1.0
	v_fmac_f32_e32 v12, v13, v12
	s_delay_alu instid0(VALU_DEP_1) | instskip(NEXT) | instid1(VALU_DEP_1)
	v_mul_f32_e32 v13, v14, v12
	v_fma_f32 v15, -v11, v13, v14
	s_delay_alu instid0(VALU_DEP_1) | instskip(NEXT) | instid1(VALU_DEP_1)
	v_fmac_f32_e32 v13, v15, v12
	v_fma_f32 v11, -v11, v13, v14
	s_delay_alu instid0(VALU_DEP_1) | instskip(NEXT) | instid1(VALU_DEP_1)
	v_div_fmas_f32 v11, v11, v12, v13
	v_div_fixup_f32 v4, v11, v10, v4
	v_mov_b32_e32 v11, 0x7f
	s_delay_alu instid0(VALU_DEP_2) | instskip(SKIP_1) | instid1(VALU_DEP_2)
	v_minmax_f32 v12, v4, s5, 0xc3e00000
	v_mov_b32_e32 v4, 0x7f
	v_and_b32_e32 v13, 0x7fffffff, v12
	s_delay_alu instid0(VALU_DEP_1)
	v_cmpx_gt_u32_e32 0x43f00000, v13
	s_cbranch_execz .LBB9_97
; %bb.92:                               ;   in Loop: Header=BB9_79 Depth=1
	s_mov_b32 s8, exec_lo
                                        ; implicit-def: $vgpr11
	v_cmpx_lt_u32_e32 0x3c7fffff, v13
	s_xor_b32 s8, exec_lo, s8
; %bb.93:                               ;   in Loop: Header=BB9_79 Depth=1
	v_bfe_u32 v11, v12, 20, 1
	s_delay_alu instid0(VALU_DEP_1) | instskip(NEXT) | instid1(VALU_DEP_1)
	v_add3_u32 v11, v12, v11, 0x407ffff
	v_lshrrev_b32_e32 v11, 20, v11
; %bb.94:                               ;   in Loop: Header=BB9_79 Depth=1
	s_and_not1_saveexec_b32 s8, s8
; %bb.95:                               ;   in Loop: Header=BB9_79 Depth=1
	v_add_f32_e64 v11, 0x46800000, |v12|
; %bb.96:                               ;   in Loop: Header=BB9_79 Depth=1
	s_or_b32 exec_lo, exec_lo, s8
.LBB9_97:                               ;   in Loop: Header=BB9_79 Depth=1
	s_delay_alu instid0(SALU_CYCLE_1) | instskip(SKIP_3) | instid1(VALU_DEP_1)
	s_or_b32 exec_lo, exec_lo, s7
	v_lshrrev_b32_e32 v5, 16, v5
	v_fma_mixlo_f16 v3, v9, v3, 0 op_sel:[0,1,0] op_sel_hi:[0,1,0]
	s_mov_b32 s7, exec_lo
	v_mul_f16_e32 v3, v5, v3
	s_delay_alu instid0(VALU_DEP_1) | instskip(NEXT) | instid1(VALU_DEP_1)
	v_cvt_f32_f16_e32 v3, v3
	v_div_scale_f32 v5, null, v10, v10, v3
	s_delay_alu instid0(VALU_DEP_1) | instskip(SKIP_2) | instid1(VALU_DEP_1)
	v_rcp_f32_e32 v13, v5
	s_waitcnt_depctr 0xfff
	v_fma_f32 v14, -v5, v13, 1.0
	v_fmac_f32_e32 v13, v14, v13
	v_div_scale_f32 v14, vcc_lo, v3, v10, v3
	s_delay_alu instid0(VALU_DEP_1) | instskip(NEXT) | instid1(VALU_DEP_1)
	v_mul_f32_e32 v15, v14, v13
	v_fma_f32 v16, -v5, v15, v14
	s_delay_alu instid0(VALU_DEP_1) | instskip(NEXT) | instid1(VALU_DEP_1)
	v_fmac_f32_e32 v15, v16, v13
	v_fma_f32 v5, -v5, v15, v14
	s_delay_alu instid0(VALU_DEP_1) | instskip(NEXT) | instid1(VALU_DEP_1)
	v_div_fmas_f32 v5, v5, v13, v15
	v_div_fixup_f32 v3, v5, v10, v3
	s_delay_alu instid0(VALU_DEP_1) | instskip(NEXT) | instid1(VALU_DEP_1)
	v_minmax_f32 v3, v3, s5, 0xc3e00000
	v_and_b32_e32 v5, 0x7fffffff, v3
	s_delay_alu instid0(VALU_DEP_1)
	v_cmpx_gt_u32_e32 0x43f00000, v5
	s_cbranch_execz .LBB9_103
; %bb.98:                               ;   in Loop: Header=BB9_79 Depth=1
	s_mov_b32 s8, exec_lo
                                        ; implicit-def: $vgpr4
	v_cmpx_lt_u32_e32 0x3c7fffff, v5
	s_xor_b32 s8, exec_lo, s8
; %bb.99:                               ;   in Loop: Header=BB9_79 Depth=1
	v_bfe_u32 v4, v3, 20, 1
	s_delay_alu instid0(VALU_DEP_1) | instskip(NEXT) | instid1(VALU_DEP_1)
	v_add3_u32 v4, v3, v4, 0x407ffff
	v_lshrrev_b32_e32 v4, 20, v4
; %bb.100:                              ;   in Loop: Header=BB9_79 Depth=1
	s_and_not1_saveexec_b32 s8, s8
; %bb.101:                              ;   in Loop: Header=BB9_79 Depth=1
	v_add_f32_e64 v4, 0x46800000, |v3|
; %bb.102:                              ;   in Loop: Header=BB9_79 Depth=1
	s_or_b32 exec_lo, exec_lo, s8
.LBB9_103:                              ;   in Loop: Header=BB9_79 Depth=1
	s_delay_alu instid0(SALU_CYCLE_1)
	s_or_b32 exec_lo, exec_lo, s7
	v_lshrrev_b32_e32 v5, 24, v12
	v_lshrrev_b32_e32 v2, 24, v2
	;; [unrolled: 1-line block ×3, first 2 shown]
	v_and_b32_e32 v12, 0x80000000, v3
	v_and_b32_e32 v7, 0xff, v7
	;; [unrolled: 1-line block ×4, first 2 shown]
	s_mov_b32 s8, -1
	s_mov_b32 s7, exec_lo
	s_delay_alu instid0(VALU_DEP_2)
	v_and_or_b32 v5, 0xff, v11, v5
	v_lshlrev_b32_e32 v11, 24, v4
	v_and_or_b32 v2, 0xff, v6, v2
	v_lshlrev_b64 v[3:4], 2, v[0:1]
	v_and_or_b32 v6, 0x80, v8, v7
	v_lshlrev_b32_e32 v5, 16, v5
	s_delay_alu instid0(VALU_DEP_4) | instskip(SKIP_2) | instid1(VALU_DEP_4)
	v_lshlrev_b32_e32 v7, 8, v2
	v_add_nc_u32_e32 v2, s16, v0
	v_add_co_u32 v3, vcc_lo, s0, v3
	v_or3_b32 v5, v12, v11, v5
	v_add_co_ci_u32_e32 v4, vcc_lo, s1, v4, vcc_lo
	s_delay_alu instid0(VALU_DEP_2)
	v_or3_b32 v5, v5, v7, v6
	global_store_b32 v[3:4], v5, off
	v_cmpx_gt_u32_e64 s11, v2
	s_cbranch_execz .LBB9_78
; %bb.104:                              ;   in Loop: Header=BB9_79 Depth=1
	v_mov_b32_e32 v3, v1
	s_mov_b32 s8, exec_lo
	s_delay_alu instid0(VALU_DEP_1) | instskip(NEXT) | instid1(VALU_DEP_1)
	v_lshlrev_b64 v[4:5], 3, v[2:3]
	v_add_co_u32 v6, vcc_lo, s9, v4
	s_delay_alu instid0(VALU_DEP_2)
	v_add_co_ci_u32_e32 v7, vcc_lo, s10, v5, vcc_lo
	v_add_co_u32 v11, vcc_lo, s18, v4
	v_add_co_ci_u32_e32 v12, vcc_lo, s19, v5, vcc_lo
	global_load_b64 v[4:5], v[6:7], off
	global_load_b64 v[6:7], v[11:12], off
	s_waitcnt vmcnt(1)
	v_fma_mixlo_f16 v8, v9, v4, 0 op_sel_hi:[0,1,0]
	s_waitcnt vmcnt(0)
	s_delay_alu instid0(VALU_DEP_1) | instskip(NEXT) | instid1(VALU_DEP_1)
	v_mul_f16_e32 v8, v6, v8
	v_cvt_f32_f16_e32 v8, v8
	s_delay_alu instid0(VALU_DEP_1) | instskip(SKIP_1) | instid1(VALU_DEP_2)
	v_div_scale_f32 v11, null, v10, v10, v8
	v_div_scale_f32 v14, vcc_lo, v8, v10, v8
	v_rcp_f32_e32 v12, v11
	s_waitcnt_depctr 0xfff
	v_fma_f32 v13, -v11, v12, 1.0
	s_delay_alu instid0(VALU_DEP_1) | instskip(NEXT) | instid1(VALU_DEP_1)
	v_fmac_f32_e32 v12, v13, v12
	v_mul_f32_e32 v13, v14, v12
	s_delay_alu instid0(VALU_DEP_1) | instskip(NEXT) | instid1(VALU_DEP_1)
	v_fma_f32 v15, -v11, v13, v14
	v_fmac_f32_e32 v13, v15, v12
	s_delay_alu instid0(VALU_DEP_1) | instskip(NEXT) | instid1(VALU_DEP_1)
	v_fma_f32 v11, -v11, v13, v14
	v_div_fmas_f32 v11, v11, v12, v13
	s_delay_alu instid0(VALU_DEP_1) | instskip(SKIP_1) | instid1(VALU_DEP_2)
	v_div_fixup_f32 v8, v11, v10, v8
	v_mov_b32_e32 v11, 0x7f
	v_minmax_f32 v12, v8, s5, 0xc3e00000
	v_mov_b32_e32 v8, 0x7f
	s_delay_alu instid0(VALU_DEP_2) | instskip(NEXT) | instid1(VALU_DEP_1)
	v_and_b32_e32 v13, 0x7fffffff, v12
	v_cmpx_gt_u32_e32 0x43f00000, v13
	s_cbranch_execz .LBB9_110
; %bb.105:                              ;   in Loop: Header=BB9_79 Depth=1
	s_mov_b32 s12, exec_lo
                                        ; implicit-def: $vgpr11
	v_cmpx_lt_u32_e32 0x3c7fffff, v13
	s_xor_b32 s12, exec_lo, s12
; %bb.106:                              ;   in Loop: Header=BB9_79 Depth=1
	v_bfe_u32 v11, v12, 20, 1
	s_delay_alu instid0(VALU_DEP_1) | instskip(NEXT) | instid1(VALU_DEP_1)
	v_add3_u32 v11, v12, v11, 0x407ffff
	v_lshrrev_b32_e32 v11, 20, v11
; %bb.107:                              ;   in Loop: Header=BB9_79 Depth=1
	s_and_not1_saveexec_b32 s12, s12
; %bb.108:                              ;   in Loop: Header=BB9_79 Depth=1
	v_add_f32_e64 v11, 0x46800000, |v12|
; %bb.109:                              ;   in Loop: Header=BB9_79 Depth=1
	s_or_b32 exec_lo, exec_lo, s12
.LBB9_110:                              ;   in Loop: Header=BB9_79 Depth=1
	s_delay_alu instid0(SALU_CYCLE_1) | instskip(SKIP_3) | instid1(VALU_DEP_1)
	s_or_b32 exec_lo, exec_lo, s8
	v_lshrrev_b32_e32 v6, 16, v6
	v_fma_mixlo_f16 v4, v9, v4, 0 op_sel:[0,1,0] op_sel_hi:[0,1,0]
	s_mov_b32 s8, exec_lo
	v_mul_f16_e32 v4, v6, v4
	s_delay_alu instid0(VALU_DEP_1) | instskip(NEXT) | instid1(VALU_DEP_1)
	v_cvt_f32_f16_e32 v4, v4
	v_div_scale_f32 v6, null, v10, v10, v4
	s_delay_alu instid0(VALU_DEP_1) | instskip(SKIP_2) | instid1(VALU_DEP_1)
	v_rcp_f32_e32 v13, v6
	s_waitcnt_depctr 0xfff
	v_fma_f32 v14, -v6, v13, 1.0
	v_fmac_f32_e32 v13, v14, v13
	v_div_scale_f32 v14, vcc_lo, v4, v10, v4
	s_delay_alu instid0(VALU_DEP_1) | instskip(NEXT) | instid1(VALU_DEP_1)
	v_mul_f32_e32 v15, v14, v13
	v_fma_f32 v16, -v6, v15, v14
	s_delay_alu instid0(VALU_DEP_1) | instskip(NEXT) | instid1(VALU_DEP_1)
	v_fmac_f32_e32 v15, v16, v13
	v_fma_f32 v6, -v6, v15, v14
	s_delay_alu instid0(VALU_DEP_1) | instskip(NEXT) | instid1(VALU_DEP_1)
	v_div_fmas_f32 v6, v6, v13, v15
	v_div_fixup_f32 v4, v6, v10, v4
	s_delay_alu instid0(VALU_DEP_1) | instskip(NEXT) | instid1(VALU_DEP_1)
	v_minmax_f32 v4, v4, s5, 0xc3e00000
	v_and_b32_e32 v6, 0x7fffffff, v4
	s_delay_alu instid0(VALU_DEP_1)
	v_cmpx_gt_u32_e32 0x43f00000, v6
	s_cbranch_execz .LBB9_116
; %bb.111:                              ;   in Loop: Header=BB9_79 Depth=1
	s_mov_b32 s12, exec_lo
                                        ; implicit-def: $vgpr8
	v_cmpx_lt_u32_e32 0x3c7fffff, v6
	s_xor_b32 s12, exec_lo, s12
; %bb.112:                              ;   in Loop: Header=BB9_79 Depth=1
	v_bfe_u32 v6, v4, 20, 1
	s_delay_alu instid0(VALU_DEP_1) | instskip(NEXT) | instid1(VALU_DEP_1)
	v_add3_u32 v6, v4, v6, 0x407ffff
	v_lshrrev_b32_e32 v8, 20, v6
; %bb.113:                              ;   in Loop: Header=BB9_79 Depth=1
	s_and_not1_saveexec_b32 s12, s12
; %bb.114:                              ;   in Loop: Header=BB9_79 Depth=1
	v_add_f32_e64 v8, 0x46800000, |v4|
; %bb.115:                              ;   in Loop: Header=BB9_79 Depth=1
	s_or_b32 exec_lo, exec_lo, s12
.LBB9_116:                              ;   in Loop: Header=BB9_79 Depth=1
	s_delay_alu instid0(SALU_CYCLE_1) | instskip(SKIP_2) | instid1(VALU_DEP_1)
	s_or_b32 exec_lo, exec_lo, s8
	v_fma_mixlo_f16 v6, v9, v5, 0 op_sel_hi:[0,1,0]
	s_mov_b32 s8, exec_lo
	v_mul_f16_e32 v6, v7, v6
	s_delay_alu instid0(VALU_DEP_1) | instskip(NEXT) | instid1(VALU_DEP_1)
	v_cvt_f32_f16_e32 v6, v6
	v_div_scale_f32 v13, null, v10, v10, v6
	v_div_scale_f32 v16, vcc_lo, v6, v10, v6
	s_delay_alu instid0(VALU_DEP_2) | instskip(SKIP_2) | instid1(VALU_DEP_1)
	v_rcp_f32_e32 v14, v13
	s_waitcnt_depctr 0xfff
	v_fma_f32 v15, -v13, v14, 1.0
	v_fmac_f32_e32 v14, v15, v14
	s_delay_alu instid0(VALU_DEP_1) | instskip(NEXT) | instid1(VALU_DEP_1)
	v_mul_f32_e32 v15, v16, v14
	v_fma_f32 v17, -v13, v15, v16
	s_delay_alu instid0(VALU_DEP_1) | instskip(NEXT) | instid1(VALU_DEP_1)
	v_fmac_f32_e32 v15, v17, v14
	v_fma_f32 v13, -v13, v15, v16
	s_delay_alu instid0(VALU_DEP_1) | instskip(NEXT) | instid1(VALU_DEP_1)
	v_div_fmas_f32 v13, v13, v14, v15
	v_div_fixup_f32 v6, v13, v10, v6
	v_mov_b32_e32 v13, 0x7f
	s_delay_alu instid0(VALU_DEP_2) | instskip(SKIP_1) | instid1(VALU_DEP_2)
	v_minmax_f32 v14, v6, s5, 0xc3e00000
	v_mov_b32_e32 v6, 0x7f
	v_and_b32_e32 v15, 0x7fffffff, v14
	s_delay_alu instid0(VALU_DEP_1)
	v_cmpx_gt_u32_e32 0x43f00000, v15
	s_cbranch_execz .LBB9_122
; %bb.117:                              ;   in Loop: Header=BB9_79 Depth=1
	s_mov_b32 s12, exec_lo
                                        ; implicit-def: $vgpr13
	v_cmpx_lt_u32_e32 0x3c7fffff, v15
	s_xor_b32 s12, exec_lo, s12
; %bb.118:                              ;   in Loop: Header=BB9_79 Depth=1
	v_bfe_u32 v13, v14, 20, 1
	s_delay_alu instid0(VALU_DEP_1) | instskip(NEXT) | instid1(VALU_DEP_1)
	v_add3_u32 v13, v14, v13, 0x407ffff
	v_lshrrev_b32_e32 v13, 20, v13
; %bb.119:                              ;   in Loop: Header=BB9_79 Depth=1
	s_and_not1_saveexec_b32 s12, s12
; %bb.120:                              ;   in Loop: Header=BB9_79 Depth=1
	v_add_f32_e64 v13, 0x46800000, |v14|
; %bb.121:                              ;   in Loop: Header=BB9_79 Depth=1
	s_or_b32 exec_lo, exec_lo, s12
.LBB9_122:                              ;   in Loop: Header=BB9_79 Depth=1
	s_delay_alu instid0(SALU_CYCLE_1) | instskip(SKIP_3) | instid1(VALU_DEP_1)
	s_or_b32 exec_lo, exec_lo, s8
	v_lshrrev_b32_e32 v7, 16, v7
	v_fma_mixlo_f16 v5, v9, v5, 0 op_sel:[0,1,0] op_sel_hi:[0,1,0]
	s_mov_b32 s8, exec_lo
	v_mul_f16_e32 v5, v7, v5
	s_delay_alu instid0(VALU_DEP_1) | instskip(NEXT) | instid1(VALU_DEP_1)
	v_cvt_f32_f16_e32 v5, v5
	v_div_scale_f32 v7, null, v10, v10, v5
	s_delay_alu instid0(VALU_DEP_1) | instskip(SKIP_2) | instid1(VALU_DEP_1)
	v_rcp_f32_e32 v15, v7
	s_waitcnt_depctr 0xfff
	v_fma_f32 v16, -v7, v15, 1.0
	v_fmac_f32_e32 v15, v16, v15
	v_div_scale_f32 v16, vcc_lo, v5, v10, v5
	s_delay_alu instid0(VALU_DEP_1) | instskip(NEXT) | instid1(VALU_DEP_1)
	v_mul_f32_e32 v17, v16, v15
	v_fma_f32 v18, -v7, v17, v16
	s_delay_alu instid0(VALU_DEP_1) | instskip(NEXT) | instid1(VALU_DEP_1)
	v_fmac_f32_e32 v17, v18, v15
	v_fma_f32 v7, -v7, v17, v16
	s_delay_alu instid0(VALU_DEP_1) | instskip(NEXT) | instid1(VALU_DEP_1)
	v_div_fmas_f32 v7, v7, v15, v17
	v_div_fixup_f32 v5, v7, v10, v5
	s_delay_alu instid0(VALU_DEP_1) | instskip(NEXT) | instid1(VALU_DEP_1)
	v_minmax_f32 v5, v5, s5, 0xc3e00000
	v_and_b32_e32 v7, 0x7fffffff, v5
	s_delay_alu instid0(VALU_DEP_1)
	v_cmpx_gt_u32_e32 0x43f00000, v7
	s_cbranch_execz .LBB9_128
; %bb.123:                              ;   in Loop: Header=BB9_79 Depth=1
	s_mov_b32 s12, exec_lo
                                        ; implicit-def: $vgpr6
	v_cmpx_lt_u32_e32 0x3c7fffff, v7
	s_xor_b32 s12, exec_lo, s12
; %bb.124:                              ;   in Loop: Header=BB9_79 Depth=1
	v_bfe_u32 v6, v5, 20, 1
	s_delay_alu instid0(VALU_DEP_1) | instskip(NEXT) | instid1(VALU_DEP_1)
	v_add3_u32 v6, v5, v6, 0x407ffff
	v_lshrrev_b32_e32 v6, 20, v6
; %bb.125:                              ;   in Loop: Header=BB9_79 Depth=1
	s_and_not1_saveexec_b32 s12, s12
; %bb.126:                              ;   in Loop: Header=BB9_79 Depth=1
	v_add_f32_e64 v6, 0x46800000, |v5|
; %bb.127:                              ;   in Loop: Header=BB9_79 Depth=1
	s_or_b32 exec_lo, exec_lo, s12
.LBB9_128:                              ;   in Loop: Header=BB9_79 Depth=1
	s_delay_alu instid0(SALU_CYCLE_1)
	s_or_b32 exec_lo, exec_lo, s8
	v_lshrrev_b32_e32 v7, 24, v14
	v_lshrrev_b32_e32 v4, 24, v4
	;; [unrolled: 1-line block ×3, first 2 shown]
	v_lshlrev_b32_e32 v6, 24, v6
	v_and_b32_e32 v11, 0xff, v11
	v_and_b32_e32 v7, 0x80, v7
	;; [unrolled: 1-line block ×3, first 2 shown]
	s_mov_b32 s12, -1
	s_mov_b32 s8, exec_lo
	v_and_or_b32 v11, 0x80, v12, v11
	v_and_or_b32 v7, 0xff, v13, v7
	v_and_b32_e32 v13, 0x80000000, v5
	v_and_or_b32 v8, 0xff, v8, v4
	v_lshlrev_b64 v[4:5], 2, v[2:3]
	v_add_nc_u32_e32 v3, s3, v0
	v_lshlrev_b32_e32 v7, 16, v7
	s_delay_alu instid0(VALU_DEP_4) | instskip(NEXT) | instid1(VALU_DEP_4)
	v_lshlrev_b32_e32 v8, 8, v8
	v_add_co_u32 v4, vcc_lo, s0, v4
	s_delay_alu instid0(VALU_DEP_3) | instskip(SKIP_1) | instid1(VALU_DEP_2)
	v_or3_b32 v6, v13, v6, v7
	v_add_co_ci_u32_e32 v5, vcc_lo, s1, v5, vcc_lo
	v_or3_b32 v6, v6, v8, v11
	global_store_b32 v[4:5], v6, off
	v_cmpx_gt_u32_e64 s11, v3
	s_cbranch_execz .LBB9_77
; %bb.129:                              ;   in Loop: Header=BB9_79 Depth=1
	v_mov_b32_e32 v4, v1
	s_mov_b32 s12, exec_lo
	s_delay_alu instid0(VALU_DEP_1) | instskip(NEXT) | instid1(VALU_DEP_1)
	v_lshlrev_b64 v[5:6], 3, v[3:4]
	v_add_co_u32 v7, vcc_lo, s9, v5
	s_delay_alu instid0(VALU_DEP_2)
	v_add_co_ci_u32_e32 v8, vcc_lo, s10, v6, vcc_lo
	v_add_co_u32 v11, vcc_lo, s18, v5
	v_add_co_ci_u32_e32 v12, vcc_lo, s19, v6, vcc_lo
	global_load_b64 v[5:6], v[7:8], off
	global_load_b64 v[7:8], v[11:12], off
	s_waitcnt vmcnt(1)
	v_fma_mixlo_f16 v11, v9, v5, 0 op_sel_hi:[0,1,0]
	s_waitcnt vmcnt(0)
	s_delay_alu instid0(VALU_DEP_1) | instskip(NEXT) | instid1(VALU_DEP_1)
	v_mul_f16_e32 v11, v7, v11
	v_cvt_f32_f16_e32 v11, v11
	s_delay_alu instid0(VALU_DEP_1) | instskip(SKIP_1) | instid1(VALU_DEP_2)
	v_div_scale_f32 v12, null, v10, v10, v11
	v_div_scale_f32 v15, vcc_lo, v11, v10, v11
	v_rcp_f32_e32 v13, v12
	s_waitcnt_depctr 0xfff
	v_fma_f32 v14, -v12, v13, 1.0
	s_delay_alu instid0(VALU_DEP_1) | instskip(NEXT) | instid1(VALU_DEP_1)
	v_fmac_f32_e32 v13, v14, v13
	v_mul_f32_e32 v14, v15, v13
	s_delay_alu instid0(VALU_DEP_1) | instskip(NEXT) | instid1(VALU_DEP_1)
	v_fma_f32 v16, -v12, v14, v15
	v_fmac_f32_e32 v14, v16, v13
	s_delay_alu instid0(VALU_DEP_1) | instskip(NEXT) | instid1(VALU_DEP_1)
	v_fma_f32 v12, -v12, v14, v15
	v_div_fmas_f32 v12, v12, v13, v14
	s_delay_alu instid0(VALU_DEP_1) | instskip(SKIP_1) | instid1(VALU_DEP_2)
	v_div_fixup_f32 v11, v12, v10, v11
	v_mov_b32_e32 v12, 0x7f
	v_minmax_f32 v13, v11, s5, 0xc3e00000
	v_mov_b32_e32 v11, 0x7f
	s_delay_alu instid0(VALU_DEP_2) | instskip(NEXT) | instid1(VALU_DEP_1)
	v_and_b32_e32 v14, 0x7fffffff, v13
	v_cmpx_gt_u32_e32 0x43f00000, v14
	s_cbranch_execz .LBB9_135
; %bb.130:                              ;   in Loop: Header=BB9_79 Depth=1
	s_mov_b32 s13, exec_lo
                                        ; implicit-def: $vgpr12
	v_cmpx_lt_u32_e32 0x3c7fffff, v14
	s_xor_b32 s13, exec_lo, s13
; %bb.131:                              ;   in Loop: Header=BB9_79 Depth=1
	v_bfe_u32 v12, v13, 20, 1
	s_delay_alu instid0(VALU_DEP_1) | instskip(NEXT) | instid1(VALU_DEP_1)
	v_add3_u32 v12, v13, v12, 0x407ffff
	v_lshrrev_b32_e32 v12, 20, v12
; %bb.132:                              ;   in Loop: Header=BB9_79 Depth=1
	s_and_not1_saveexec_b32 s13, s13
; %bb.133:                              ;   in Loop: Header=BB9_79 Depth=1
	v_add_f32_e64 v12, 0x46800000, |v13|
; %bb.134:                              ;   in Loop: Header=BB9_79 Depth=1
	s_or_b32 exec_lo, exec_lo, s13
.LBB9_135:                              ;   in Loop: Header=BB9_79 Depth=1
	s_delay_alu instid0(SALU_CYCLE_1) | instskip(SKIP_3) | instid1(VALU_DEP_1)
	s_or_b32 exec_lo, exec_lo, s12
	v_lshrrev_b32_e32 v7, 16, v7
	v_fma_mixlo_f16 v5, v9, v5, 0 op_sel:[0,1,0] op_sel_hi:[0,1,0]
	s_mov_b32 s12, exec_lo
	v_mul_f16_e32 v5, v7, v5
	s_delay_alu instid0(VALU_DEP_1) | instskip(NEXT) | instid1(VALU_DEP_1)
	v_cvt_f32_f16_e32 v5, v5
	v_div_scale_f32 v7, null, v10, v10, v5
	s_delay_alu instid0(VALU_DEP_1) | instskip(SKIP_2) | instid1(VALU_DEP_1)
	v_rcp_f32_e32 v14, v7
	s_waitcnt_depctr 0xfff
	v_fma_f32 v15, -v7, v14, 1.0
	v_fmac_f32_e32 v14, v15, v14
	v_div_scale_f32 v15, vcc_lo, v5, v10, v5
	s_delay_alu instid0(VALU_DEP_1) | instskip(NEXT) | instid1(VALU_DEP_1)
	v_mul_f32_e32 v16, v15, v14
	v_fma_f32 v17, -v7, v16, v15
	s_delay_alu instid0(VALU_DEP_1) | instskip(NEXT) | instid1(VALU_DEP_1)
	v_fmac_f32_e32 v16, v17, v14
	v_fma_f32 v7, -v7, v16, v15
	s_delay_alu instid0(VALU_DEP_1) | instskip(NEXT) | instid1(VALU_DEP_1)
	v_div_fmas_f32 v7, v7, v14, v16
	v_div_fixup_f32 v5, v7, v10, v5
	s_delay_alu instid0(VALU_DEP_1) | instskip(NEXT) | instid1(VALU_DEP_1)
	v_minmax_f32 v5, v5, s5, 0xc3e00000
	v_and_b32_e32 v7, 0x7fffffff, v5
	s_delay_alu instid0(VALU_DEP_1)
	v_cmpx_gt_u32_e32 0x43f00000, v7
	s_cbranch_execz .LBB9_141
; %bb.136:                              ;   in Loop: Header=BB9_79 Depth=1
	s_mov_b32 s13, exec_lo
                                        ; implicit-def: $vgpr11
	v_cmpx_lt_u32_e32 0x3c7fffff, v7
	s_xor_b32 s13, exec_lo, s13
; %bb.137:                              ;   in Loop: Header=BB9_79 Depth=1
	v_bfe_u32 v7, v5, 20, 1
	s_delay_alu instid0(VALU_DEP_1) | instskip(NEXT) | instid1(VALU_DEP_1)
	v_add3_u32 v7, v5, v7, 0x407ffff
	v_lshrrev_b32_e32 v11, 20, v7
; %bb.138:                              ;   in Loop: Header=BB9_79 Depth=1
	s_and_not1_saveexec_b32 s13, s13
; %bb.139:                              ;   in Loop: Header=BB9_79 Depth=1
	v_add_f32_e64 v11, 0x46800000, |v5|
; %bb.140:                              ;   in Loop: Header=BB9_79 Depth=1
	s_or_b32 exec_lo, exec_lo, s13
.LBB9_141:                              ;   in Loop: Header=BB9_79 Depth=1
	s_delay_alu instid0(SALU_CYCLE_1) | instskip(SKIP_2) | instid1(VALU_DEP_1)
	s_or_b32 exec_lo, exec_lo, s12
	v_fma_mixlo_f16 v7, v9, v6, 0 op_sel_hi:[0,1,0]
	s_mov_b32 s12, exec_lo
	v_mul_f16_e32 v7, v8, v7
	s_delay_alu instid0(VALU_DEP_1) | instskip(NEXT) | instid1(VALU_DEP_1)
	v_cvt_f32_f16_e32 v7, v7
	v_div_scale_f32 v14, null, v10, v10, v7
	v_div_scale_f32 v17, vcc_lo, v7, v10, v7
	s_delay_alu instid0(VALU_DEP_2) | instskip(SKIP_2) | instid1(VALU_DEP_1)
	v_rcp_f32_e32 v15, v14
	s_waitcnt_depctr 0xfff
	v_fma_f32 v16, -v14, v15, 1.0
	v_fmac_f32_e32 v15, v16, v15
	s_delay_alu instid0(VALU_DEP_1) | instskip(NEXT) | instid1(VALU_DEP_1)
	v_mul_f32_e32 v16, v17, v15
	v_fma_f32 v18, -v14, v16, v17
	s_delay_alu instid0(VALU_DEP_1) | instskip(NEXT) | instid1(VALU_DEP_1)
	v_fmac_f32_e32 v16, v18, v15
	v_fma_f32 v14, -v14, v16, v17
	s_delay_alu instid0(VALU_DEP_1) | instskip(NEXT) | instid1(VALU_DEP_1)
	v_div_fmas_f32 v14, v14, v15, v16
	v_div_fixup_f32 v7, v14, v10, v7
	v_mov_b32_e32 v14, 0x7f
	s_delay_alu instid0(VALU_DEP_2) | instskip(SKIP_1) | instid1(VALU_DEP_2)
	v_minmax_f32 v15, v7, s5, 0xc3e00000
	v_mov_b32_e32 v7, 0x7f
	v_and_b32_e32 v16, 0x7fffffff, v15
	s_delay_alu instid0(VALU_DEP_1)
	v_cmpx_gt_u32_e32 0x43f00000, v16
	s_cbranch_execz .LBB9_147
; %bb.142:                              ;   in Loop: Header=BB9_79 Depth=1
	s_mov_b32 s13, exec_lo
                                        ; implicit-def: $vgpr14
	v_cmpx_lt_u32_e32 0x3c7fffff, v16
	s_xor_b32 s13, exec_lo, s13
; %bb.143:                              ;   in Loop: Header=BB9_79 Depth=1
	v_bfe_u32 v14, v15, 20, 1
	s_delay_alu instid0(VALU_DEP_1) | instskip(NEXT) | instid1(VALU_DEP_1)
	v_add3_u32 v14, v15, v14, 0x407ffff
	v_lshrrev_b32_e32 v14, 20, v14
; %bb.144:                              ;   in Loop: Header=BB9_79 Depth=1
	s_and_not1_saveexec_b32 s13, s13
; %bb.145:                              ;   in Loop: Header=BB9_79 Depth=1
	v_add_f32_e64 v14, 0x46800000, |v15|
; %bb.146:                              ;   in Loop: Header=BB9_79 Depth=1
	s_or_b32 exec_lo, exec_lo, s13
.LBB9_147:                              ;   in Loop: Header=BB9_79 Depth=1
	s_delay_alu instid0(SALU_CYCLE_1) | instskip(SKIP_3) | instid1(VALU_DEP_1)
	s_or_b32 exec_lo, exec_lo, s12
	v_lshrrev_b32_e32 v8, 16, v8
	v_fma_mixlo_f16 v6, v9, v6, 0 op_sel:[0,1,0] op_sel_hi:[0,1,0]
	s_mov_b32 s12, exec_lo
	v_mul_f16_e32 v6, v8, v6
	s_delay_alu instid0(VALU_DEP_1) | instskip(NEXT) | instid1(VALU_DEP_1)
	v_cvt_f32_f16_e32 v6, v6
	v_div_scale_f32 v8, null, v10, v10, v6
	s_delay_alu instid0(VALU_DEP_1) | instskip(SKIP_2) | instid1(VALU_DEP_1)
	v_rcp_f32_e32 v16, v8
	s_waitcnt_depctr 0xfff
	v_fma_f32 v17, -v8, v16, 1.0
	v_fmac_f32_e32 v16, v17, v16
	v_div_scale_f32 v17, vcc_lo, v6, v10, v6
	s_delay_alu instid0(VALU_DEP_1) | instskip(NEXT) | instid1(VALU_DEP_1)
	v_mul_f32_e32 v18, v17, v16
	v_fma_f32 v19, -v8, v18, v17
	s_delay_alu instid0(VALU_DEP_1) | instskip(NEXT) | instid1(VALU_DEP_1)
	v_fmac_f32_e32 v18, v19, v16
	v_fma_f32 v8, -v8, v18, v17
	s_delay_alu instid0(VALU_DEP_1) | instskip(NEXT) | instid1(VALU_DEP_1)
	v_div_fmas_f32 v8, v8, v16, v18
	v_div_fixup_f32 v6, v8, v10, v6
	s_delay_alu instid0(VALU_DEP_1) | instskip(NEXT) | instid1(VALU_DEP_1)
	v_minmax_f32 v6, v6, s5, 0xc3e00000
	v_and_b32_e32 v8, 0x7fffffff, v6
	s_delay_alu instid0(VALU_DEP_1)
	v_cmpx_gt_u32_e32 0x43f00000, v8
	s_cbranch_execz .LBB9_153
; %bb.148:                              ;   in Loop: Header=BB9_79 Depth=1
	s_mov_b32 s13, exec_lo
                                        ; implicit-def: $vgpr7
	v_cmpx_lt_u32_e32 0x3c7fffff, v8
	s_xor_b32 s13, exec_lo, s13
; %bb.149:                              ;   in Loop: Header=BB9_79 Depth=1
	v_bfe_u32 v7, v6, 20, 1
	s_delay_alu instid0(VALU_DEP_1) | instskip(NEXT) | instid1(VALU_DEP_1)
	v_add3_u32 v7, v6, v7, 0x407ffff
	v_lshrrev_b32_e32 v7, 20, v7
; %bb.150:                              ;   in Loop: Header=BB9_79 Depth=1
	s_and_not1_saveexec_b32 s13, s13
; %bb.151:                              ;   in Loop: Header=BB9_79 Depth=1
	v_add_f32_e64 v7, 0x46800000, |v6|
; %bb.152:                              ;   in Loop: Header=BB9_79 Depth=1
	s_or_b32 exec_lo, exec_lo, s13
.LBB9_153:                              ;   in Loop: Header=BB9_79 Depth=1
	s_delay_alu instid0(SALU_CYCLE_1)
	s_or_b32 exec_lo, exec_lo, s12
	v_lshrrev_b32_e32 v8, 24, v15
	v_lshrrev_b32_e32 v5, 24, v5
	;; [unrolled: 1-line block ×3, first 2 shown]
	v_lshlrev_b32_e32 v7, 24, v7
	v_and_b32_e32 v6, 0x80000000, v6
	v_and_b32_e32 v8, 0x80, v8
	;; [unrolled: 1-line block ×4, first 2 shown]
	v_lshlrev_b64 v[3:4], 2, v[3:4]
	v_add_nc_u32_e32 v0, s2, v0
	v_and_or_b32 v8, 0xff, v14, v8
	v_and_or_b32 v5, 0xff, v11, v5
	;; [unrolled: 1-line block ×3, first 2 shown]
	s_mov_b32 s13, -1
	v_add_co_u32 v3, vcc_lo, s0, v3
	v_lshlrev_b32_e32 v8, 16, v8
	v_lshlrev_b32_e32 v5, 8, v5
	v_add_co_ci_u32_e32 v4, vcc_lo, s1, v4, vcc_lo
	s_mov_b32 s12, exec_lo
	s_delay_alu instid0(VALU_DEP_3) | instskip(NEXT) | instid1(VALU_DEP_1)
	v_or3_b32 v6, v6, v7, v8
	v_or3_b32 v5, v6, v5, v11
	global_store_b32 v[3:4], v5, off
	v_cmpx_gt_u32_e64 s11, v0
	s_cbranch_execz .LBB9_76
; %bb.154:                              ;   in Loop: Header=BB9_79 Depth=1
	v_lshlrev_b64 v[3:4], 3, v[0:1]
	s_mov_b32 s13, exec_lo
	s_delay_alu instid0(VALU_DEP_1) | instskip(NEXT) | instid1(VALU_DEP_2)
	v_add_co_u32 v5, vcc_lo, s9, v3
	v_add_co_ci_u32_e32 v6, vcc_lo, s10, v4, vcc_lo
	v_add_co_u32 v7, vcc_lo, s18, v3
	v_add_co_ci_u32_e32 v8, vcc_lo, s19, v4, vcc_lo
	global_load_b64 v[3:4], v[5:6], off
	global_load_b64 v[5:6], v[7:8], off
	s_waitcnt vmcnt(1)
	v_fma_mixlo_f16 v7, v9, v3, 0 op_sel_hi:[0,1,0]
	s_waitcnt vmcnt(0)
	s_delay_alu instid0(VALU_DEP_1) | instskip(NEXT) | instid1(VALU_DEP_1)
	v_mul_f16_e32 v7, v5, v7
	v_cvt_f32_f16_e32 v7, v7
	s_delay_alu instid0(VALU_DEP_1) | instskip(SKIP_1) | instid1(VALU_DEP_2)
	v_div_scale_f32 v8, null, v10, v10, v7
	v_div_scale_f32 v13, vcc_lo, v7, v10, v7
	v_rcp_f32_e32 v11, v8
	s_waitcnt_depctr 0xfff
	v_fma_f32 v12, -v8, v11, 1.0
	s_delay_alu instid0(VALU_DEP_1) | instskip(NEXT) | instid1(VALU_DEP_1)
	v_fmac_f32_e32 v11, v12, v11
	v_mul_f32_e32 v12, v13, v11
	s_delay_alu instid0(VALU_DEP_1) | instskip(NEXT) | instid1(VALU_DEP_1)
	v_fma_f32 v14, -v8, v12, v13
	v_fmac_f32_e32 v12, v14, v11
	s_delay_alu instid0(VALU_DEP_1) | instskip(NEXT) | instid1(VALU_DEP_1)
	v_fma_f32 v8, -v8, v12, v13
	v_div_fmas_f32 v8, v8, v11, v12
	s_delay_alu instid0(VALU_DEP_1) | instskip(SKIP_1) | instid1(VALU_DEP_2)
	v_div_fixup_f32 v7, v8, v10, v7
	v_mov_b32_e32 v8, 0x7f
	v_minmax_f32 v11, v7, s5, 0xc3e00000
	v_mov_b32_e32 v7, 0x7f
	s_delay_alu instid0(VALU_DEP_2) | instskip(NEXT) | instid1(VALU_DEP_1)
	v_and_b32_e32 v12, 0x7fffffff, v11
	v_cmpx_gt_u32_e32 0x43f00000, v12
	s_cbranch_execz .LBB9_160
; %bb.155:                              ;   in Loop: Header=BB9_79 Depth=1
	s_mov_b32 s14, exec_lo
                                        ; implicit-def: $vgpr8
	v_cmpx_lt_u32_e32 0x3c7fffff, v12
	s_xor_b32 s14, exec_lo, s14
; %bb.156:                              ;   in Loop: Header=BB9_79 Depth=1
	v_bfe_u32 v8, v11, 20, 1
	s_delay_alu instid0(VALU_DEP_1) | instskip(NEXT) | instid1(VALU_DEP_1)
	v_add3_u32 v8, v11, v8, 0x407ffff
	v_lshrrev_b32_e32 v8, 20, v8
; %bb.157:                              ;   in Loop: Header=BB9_79 Depth=1
	s_and_not1_saveexec_b32 s14, s14
; %bb.158:                              ;   in Loop: Header=BB9_79 Depth=1
	v_add_f32_e64 v8, 0x46800000, |v11|
; %bb.159:                              ;   in Loop: Header=BB9_79 Depth=1
	s_or_b32 exec_lo, exec_lo, s14
.LBB9_160:                              ;   in Loop: Header=BB9_79 Depth=1
	s_delay_alu instid0(SALU_CYCLE_1) | instskip(SKIP_3) | instid1(VALU_DEP_1)
	s_or_b32 exec_lo, exec_lo, s13
	v_lshrrev_b32_e32 v5, 16, v5
	v_fma_mixlo_f16 v3, v9, v3, 0 op_sel:[0,1,0] op_sel_hi:[0,1,0]
	s_mov_b32 s13, exec_lo
	v_mul_f16_e32 v3, v5, v3
	s_delay_alu instid0(VALU_DEP_1) | instskip(NEXT) | instid1(VALU_DEP_1)
	v_cvt_f32_f16_e32 v3, v3
	v_div_scale_f32 v5, null, v10, v10, v3
	s_delay_alu instid0(VALU_DEP_1) | instskip(SKIP_2) | instid1(VALU_DEP_1)
	v_rcp_f32_e32 v12, v5
	s_waitcnt_depctr 0xfff
	v_fma_f32 v13, -v5, v12, 1.0
	v_fmac_f32_e32 v12, v13, v12
	v_div_scale_f32 v13, vcc_lo, v3, v10, v3
	s_delay_alu instid0(VALU_DEP_1) | instskip(NEXT) | instid1(VALU_DEP_1)
	v_mul_f32_e32 v14, v13, v12
	v_fma_f32 v15, -v5, v14, v13
	s_delay_alu instid0(VALU_DEP_1) | instskip(NEXT) | instid1(VALU_DEP_1)
	v_fmac_f32_e32 v14, v15, v12
	v_fma_f32 v5, -v5, v14, v13
	s_delay_alu instid0(VALU_DEP_1) | instskip(NEXT) | instid1(VALU_DEP_1)
	v_div_fmas_f32 v5, v5, v12, v14
	v_div_fixup_f32 v3, v5, v10, v3
	s_delay_alu instid0(VALU_DEP_1) | instskip(NEXT) | instid1(VALU_DEP_1)
	v_minmax_f32 v3, v3, s5, 0xc3e00000
	v_and_b32_e32 v5, 0x7fffffff, v3
	s_delay_alu instid0(VALU_DEP_1)
	v_cmpx_gt_u32_e32 0x43f00000, v5
	s_cbranch_execz .LBB9_166
; %bb.161:                              ;   in Loop: Header=BB9_79 Depth=1
	s_mov_b32 s14, exec_lo
                                        ; implicit-def: $vgpr7
	v_cmpx_lt_u32_e32 0x3c7fffff, v5
	s_xor_b32 s14, exec_lo, s14
; %bb.162:                              ;   in Loop: Header=BB9_79 Depth=1
	v_bfe_u32 v5, v3, 20, 1
	s_delay_alu instid0(VALU_DEP_1) | instskip(NEXT) | instid1(VALU_DEP_1)
	v_add3_u32 v5, v3, v5, 0x407ffff
	v_lshrrev_b32_e32 v7, 20, v5
; %bb.163:                              ;   in Loop: Header=BB9_79 Depth=1
	s_and_not1_saveexec_b32 s14, s14
; %bb.164:                              ;   in Loop: Header=BB9_79 Depth=1
	v_add_f32_e64 v7, 0x46800000, |v3|
; %bb.165:                              ;   in Loop: Header=BB9_79 Depth=1
	s_or_b32 exec_lo, exec_lo, s14
.LBB9_166:                              ;   in Loop: Header=BB9_79 Depth=1
	s_delay_alu instid0(SALU_CYCLE_1) | instskip(SKIP_2) | instid1(VALU_DEP_1)
	s_or_b32 exec_lo, exec_lo, s13
	v_fma_mixlo_f16 v5, v9, v4, 0 op_sel_hi:[0,1,0]
	s_mov_b32 s13, exec_lo
	v_mul_f16_e32 v5, v6, v5
	s_delay_alu instid0(VALU_DEP_1) | instskip(NEXT) | instid1(VALU_DEP_1)
	v_cvt_f32_f16_e32 v5, v5
	v_div_scale_f32 v12, null, v10, v10, v5
	v_div_scale_f32 v15, vcc_lo, v5, v10, v5
	s_delay_alu instid0(VALU_DEP_2) | instskip(SKIP_2) | instid1(VALU_DEP_1)
	v_rcp_f32_e32 v13, v12
	s_waitcnt_depctr 0xfff
	v_fma_f32 v14, -v12, v13, 1.0
	v_fmac_f32_e32 v13, v14, v13
	s_delay_alu instid0(VALU_DEP_1) | instskip(NEXT) | instid1(VALU_DEP_1)
	v_mul_f32_e32 v14, v15, v13
	v_fma_f32 v16, -v12, v14, v15
	s_delay_alu instid0(VALU_DEP_1) | instskip(NEXT) | instid1(VALU_DEP_1)
	v_fmac_f32_e32 v14, v16, v13
	v_fma_f32 v12, -v12, v14, v15
	s_delay_alu instid0(VALU_DEP_1) | instskip(NEXT) | instid1(VALU_DEP_1)
	v_div_fmas_f32 v12, v12, v13, v14
	v_div_fixup_f32 v5, v12, v10, v5
	v_mov_b32_e32 v12, 0x7f
	s_delay_alu instid0(VALU_DEP_2) | instskip(SKIP_1) | instid1(VALU_DEP_2)
	v_minmax_f32 v13, v5, s5, 0xc3e00000
	v_mov_b32_e32 v5, 0x7f
	v_and_b32_e32 v14, 0x7fffffff, v13
	s_delay_alu instid0(VALU_DEP_1)
	v_cmpx_gt_u32_e32 0x43f00000, v14
	s_cbranch_execz .LBB9_172
; %bb.167:                              ;   in Loop: Header=BB9_79 Depth=1
	s_mov_b32 s14, exec_lo
                                        ; implicit-def: $vgpr12
	v_cmpx_lt_u32_e32 0x3c7fffff, v14
	s_xor_b32 s14, exec_lo, s14
; %bb.168:                              ;   in Loop: Header=BB9_79 Depth=1
	v_bfe_u32 v12, v13, 20, 1
	s_delay_alu instid0(VALU_DEP_1) | instskip(NEXT) | instid1(VALU_DEP_1)
	v_add3_u32 v12, v13, v12, 0x407ffff
	v_lshrrev_b32_e32 v12, 20, v12
; %bb.169:                              ;   in Loop: Header=BB9_79 Depth=1
	s_and_not1_saveexec_b32 s14, s14
; %bb.170:                              ;   in Loop: Header=BB9_79 Depth=1
	v_add_f32_e64 v12, 0x46800000, |v13|
; %bb.171:                              ;   in Loop: Header=BB9_79 Depth=1
	s_or_b32 exec_lo, exec_lo, s14
.LBB9_172:                              ;   in Loop: Header=BB9_79 Depth=1
	s_delay_alu instid0(SALU_CYCLE_1) | instskip(SKIP_3) | instid1(VALU_DEP_1)
	s_or_b32 exec_lo, exec_lo, s13
	v_lshrrev_b32_e32 v6, 16, v6
	v_fma_mixlo_f16 v4, v9, v4, 0 op_sel:[0,1,0] op_sel_hi:[0,1,0]
	s_mov_b32 s13, exec_lo
	v_mul_f16_e32 v4, v6, v4
	s_delay_alu instid0(VALU_DEP_1) | instskip(NEXT) | instid1(VALU_DEP_1)
	v_cvt_f32_f16_e32 v4, v4
	v_div_scale_f32 v6, null, v10, v10, v4
	s_delay_alu instid0(VALU_DEP_1) | instskip(SKIP_2) | instid1(VALU_DEP_1)
	v_rcp_f32_e32 v14, v6
	s_waitcnt_depctr 0xfff
	v_fma_f32 v15, -v6, v14, 1.0
	v_fmac_f32_e32 v14, v15, v14
	v_div_scale_f32 v15, vcc_lo, v4, v10, v4
	s_delay_alu instid0(VALU_DEP_1) | instskip(NEXT) | instid1(VALU_DEP_1)
	v_mul_f32_e32 v16, v15, v14
	v_fma_f32 v17, -v6, v16, v15
	s_delay_alu instid0(VALU_DEP_1) | instskip(NEXT) | instid1(VALU_DEP_1)
	v_fmac_f32_e32 v16, v17, v14
	v_fma_f32 v6, -v6, v16, v15
	s_delay_alu instid0(VALU_DEP_1) | instskip(NEXT) | instid1(VALU_DEP_1)
	v_div_fmas_f32 v6, v6, v14, v16
	v_div_fixup_f32 v4, v6, v10, v4
	s_delay_alu instid0(VALU_DEP_1) | instskip(NEXT) | instid1(VALU_DEP_1)
	v_minmax_f32 v4, v4, s5, 0xc3e00000
	v_and_b32_e32 v6, 0x7fffffff, v4
	s_delay_alu instid0(VALU_DEP_1)
	v_cmpx_gt_u32_e32 0x43f00000, v6
	s_cbranch_execz .LBB9_75
; %bb.173:                              ;   in Loop: Header=BB9_79 Depth=1
	s_mov_b32 s14, exec_lo
                                        ; implicit-def: $vgpr5
	v_cmpx_lt_u32_e32 0x3c7fffff, v6
	s_xor_b32 s14, exec_lo, s14
; %bb.174:                              ;   in Loop: Header=BB9_79 Depth=1
	v_bfe_u32 v5, v4, 20, 1
	s_delay_alu instid0(VALU_DEP_1) | instskip(NEXT) | instid1(VALU_DEP_1)
	v_add3_u32 v5, v4, v5, 0x407ffff
	v_lshrrev_b32_e32 v5, 20, v5
; %bb.175:                              ;   in Loop: Header=BB9_79 Depth=1
	s_and_not1_saveexec_b32 s14, s14
	s_cbranch_execz .LBB9_74
; %bb.176:                              ;   in Loop: Header=BB9_79 Depth=1
	v_add_f32_e64 v5, 0x46800000, |v4|
	s_branch .LBB9_74
.LBB9_177:
	s_nop 0
	s_sendmsg sendmsg(MSG_DEALLOC_VGPRS)
	s_endpgm
	.section	.rodata,"a",@progbits
	.p2align	6, 0x0
	.amdhsa_kernel _ZN4vllm39rms_norm_dynamic_per_token_quant_kernelIN3c104HalfENS1_13Float8_e4m3fnELb0EEEvPT0_PfPKT_S9_PKffiiPS7_
		.amdhsa_group_segment_fixed_size 528
		.amdhsa_private_segment_fixed_size 0
		.amdhsa_kernarg_size 320
		.amdhsa_user_sgpr_count 15
		.amdhsa_user_sgpr_dispatch_ptr 0
		.amdhsa_user_sgpr_queue_ptr 0
		.amdhsa_user_sgpr_kernarg_segment_ptr 1
		.amdhsa_user_sgpr_dispatch_id 0
		.amdhsa_user_sgpr_private_segment_size 0
		.amdhsa_wavefront_size32 1
		.amdhsa_uses_dynamic_stack 0
		.amdhsa_enable_private_segment 0
		.amdhsa_system_sgpr_workgroup_id_x 1
		.amdhsa_system_sgpr_workgroup_id_y 0
		.amdhsa_system_sgpr_workgroup_id_z 0
		.amdhsa_system_sgpr_workgroup_info 0
		.amdhsa_system_vgpr_workitem_id 0
		.amdhsa_next_free_vgpr 25
		.amdhsa_next_free_sgpr 35
		.amdhsa_reserve_vcc 1
		.amdhsa_float_round_mode_32 0
		.amdhsa_float_round_mode_16_64 0
		.amdhsa_float_denorm_mode_32 3
		.amdhsa_float_denorm_mode_16_64 3
		.amdhsa_dx10_clamp 1
		.amdhsa_ieee_mode 1
		.amdhsa_fp16_overflow 0
		.amdhsa_workgroup_processor_mode 1
		.amdhsa_memory_ordered 1
		.amdhsa_forward_progress 0
		.amdhsa_shared_vgpr_count 0
		.amdhsa_exception_fp_ieee_invalid_op 0
		.amdhsa_exception_fp_denorm_src 0
		.amdhsa_exception_fp_ieee_div_zero 0
		.amdhsa_exception_fp_ieee_overflow 0
		.amdhsa_exception_fp_ieee_underflow 0
		.amdhsa_exception_fp_ieee_inexact 0
		.amdhsa_exception_int_div_zero 0
	.end_amdhsa_kernel
	.section	.text._ZN4vllm39rms_norm_dynamic_per_token_quant_kernelIN3c104HalfENS1_13Float8_e4m3fnELb0EEEvPT0_PfPKT_S9_PKffiiPS7_,"axG",@progbits,_ZN4vllm39rms_norm_dynamic_per_token_quant_kernelIN3c104HalfENS1_13Float8_e4m3fnELb0EEEvPT0_PfPKT_S9_PKffiiPS7_,comdat
.Lfunc_end9:
	.size	_ZN4vllm39rms_norm_dynamic_per_token_quant_kernelIN3c104HalfENS1_13Float8_e4m3fnELb0EEEvPT0_PfPKT_S9_PKffiiPS7_, .Lfunc_end9-_ZN4vllm39rms_norm_dynamic_per_token_quant_kernelIN3c104HalfENS1_13Float8_e4m3fnELb0EEEvPT0_PfPKT_S9_PKffiiPS7_
                                        ; -- End function
	.section	.AMDGPU.csdata,"",@progbits
; Kernel info:
; codeLenInByte = 10760
; NumSgprs: 37
; NumVgprs: 25
; ScratchSize: 0
; MemoryBound: 0
; FloatMode: 240
; IeeeMode: 1
; LDSByteSize: 528 bytes/workgroup (compile time only)
; SGPRBlocks: 4
; VGPRBlocks: 3
; NumSGPRsForWavesPerEU: 37
; NumVGPRsForWavesPerEU: 25
; Occupancy: 16
; WaveLimiterHint : 0
; COMPUTE_PGM_RSRC2:SCRATCH_EN: 0
; COMPUTE_PGM_RSRC2:USER_SGPR: 15
; COMPUTE_PGM_RSRC2:TRAP_HANDLER: 0
; COMPUTE_PGM_RSRC2:TGID_X_EN: 1
; COMPUTE_PGM_RSRC2:TGID_Y_EN: 0
; COMPUTE_PGM_RSRC2:TGID_Z_EN: 0
; COMPUTE_PGM_RSRC2:TIDIG_COMP_CNT: 0
	.section	.text._ZN4vllm39rms_norm_dynamic_per_token_quant_kernelIN3c104HalfENS1_15Float8_e4m3fnuzELb0EEEvPT0_PfPKT_S9_PKffiiPS7_,"axG",@progbits,_ZN4vllm39rms_norm_dynamic_per_token_quant_kernelIN3c104HalfENS1_15Float8_e4m3fnuzELb0EEEvPT0_PfPKT_S9_PKffiiPS7_,comdat
	.protected	_ZN4vllm39rms_norm_dynamic_per_token_quant_kernelIN3c104HalfENS1_15Float8_e4m3fnuzELb0EEEvPT0_PfPKT_S9_PKffiiPS7_ ; -- Begin function _ZN4vllm39rms_norm_dynamic_per_token_quant_kernelIN3c104HalfENS1_15Float8_e4m3fnuzELb0EEEvPT0_PfPKT_S9_PKffiiPS7_
	.globl	_ZN4vllm39rms_norm_dynamic_per_token_quant_kernelIN3c104HalfENS1_15Float8_e4m3fnuzELb0EEEvPT0_PfPKT_S9_PKffiiPS7_
	.p2align	8
	.type	_ZN4vllm39rms_norm_dynamic_per_token_quant_kernelIN3c104HalfENS1_15Float8_e4m3fnuzELb0EEEvPT0_PfPKT_S9_PKffiiPS7_,@function
_ZN4vllm39rms_norm_dynamic_per_token_quant_kernelIN3c104HalfENS1_15Float8_e4m3fnuzELb0EEEvPT0_PfPKT_S9_PKffiiPS7_: ; @_ZN4vllm39rms_norm_dynamic_per_token_quant_kernelIN3c104HalfENS1_15Float8_e4m3fnuzELb0EEEvPT0_PfPKT_S9_PKffiiPS7_
; %bb.0:
	s_mov_b32 s24, s15
	s_clause 0x2
	s_load_b128 s[20:23], s[0:1], 0x28
	s_load_b64 s[26:27], s[0:1], 0x20
	s_load_b256 s[12:19], s[0:1], 0x0
	s_waitcnt lgkmcnt(0)
	s_or_b32 s2, s22, s21
	s_delay_alu instid0(SALU_CYCLE_1) | instskip(NEXT) | instid1(SALU_CYCLE_1)
	s_and_b32 s2, s2, 3
	s_cmp_lg_u32 s2, 0
	s_cbranch_scc0 .LBB10_39
; %bb.1:
	v_cmp_gt_u32_e64 s2, s21, v0
	v_cmp_le_u32_e64 s3, s21, v0
                                        ; implicit-def: $sgpr7
                                        ; implicit-def: $sgpr4_sgpr5
	s_delay_alu instid0(VALU_DEP_1) | instskip(NEXT) | instid1(SALU_CYCLE_1)
	s_and_saveexec_b32 s6, s3
	s_xor_b32 s6, exec_lo, s6
; %bb.2:
	s_add_u32 s4, s0, 64
	s_addc_u32 s5, s1, 0
	s_mov_b32 s7, 0
; %bb.3:
	s_or_saveexec_b32 s6, s6
	v_dual_mov_b32 v1, s4 :: v_dual_mov_b32 v4, s24
	v_dual_mov_b32 v3, s7 :: v_dual_mov_b32 v2, s5
	s_xor_b32 exec_lo, exec_lo, s6
	s_cbranch_execz .LBB10_7
; %bb.4:
	s_load_b32 s9, s[0:1], 0x4c
	s_ashr_i32 s5, s22, 31
	s_mul_hi_u32 s7, s22, s24
	s_mul_i32 s5, s5, s24
	s_mul_i32 s4, s22, s24
	s_add_i32 s5, s7, s5
	v_dual_mov_b32 v2, 0 :: v_dual_mov_b32 v3, 0
	s_lshl_b64 s[4:5], s[4:5], 1
	v_mov_b32_e32 v1, v0
	s_add_u32 s7, s16, s4
	s_addc_u32 s8, s17, s5
	s_add_u32 s4, s0, 64
	s_addc_u32 s5, s1, 0
	s_waitcnt lgkmcnt(0)
	s_and_b32 s10, s9, 0xffff
	s_mov_b32 s9, 0
.LBB10_5:                               ; =>This Inner Loop Header: Depth=1
	v_lshlrev_b64 v[4:5], 1, v[1:2]
	v_add_nc_u32_e32 v1, s10, v1
	s_delay_alu instid0(VALU_DEP_2) | instskip(NEXT) | instid1(VALU_DEP_3)
	v_add_co_u32 v4, vcc_lo, s7, v4
	v_add_co_ci_u32_e32 v5, vcc_lo, s8, v5, vcc_lo
	s_delay_alu instid0(VALU_DEP_3)
	v_cmp_le_u32_e32 vcc_lo, s21, v1
	global_load_u16 v4, v[4:5], off
	s_or_b32 s9, vcc_lo, s9
	s_waitcnt vmcnt(0)
	v_fma_mix_f32 v3, v4, v4, v3 op_sel_hi:[1,1,0]
	s_and_not1_b32 exec_lo, exec_lo, s9
	s_cbranch_execnz .LBB10_5
; %bb.6:
	s_or_b32 exec_lo, exec_lo, s9
	v_dual_mov_b32 v1, s4 :: v_dual_mov_b32 v2, s5
	v_mov_b32_e32 v4, s24
.LBB10_7:
	s_or_b32 exec_lo, exec_lo, s6
	global_load_b32 v5, v[1:2], off
	v_and_b32_e32 v14, 0x3e0, v0
	s_waitcnt vmcnt(0)
	v_cmp_lt_u32_e32 vcc_lo, v4, v5
	v_cndmask_b32_e64 v4, 18, 12, vcc_lo
	s_delay_alu instid0(VALU_DEP_1) | instskip(SKIP_3) | instid1(VALU_DEP_1)
	v_add_co_u32 v1, vcc_lo, v1, v4
	v_add_co_ci_u32_e32 v2, vcc_lo, 0, v2, vcc_lo
	global_load_u16 v1, v[1:2], off
	v_mbcnt_lo_u32_b32 v2, -1, 0
	v_cmp_ne_u32_e32 vcc_lo, 31, v2
	v_add_nc_u32_e32 v5, 1, v2
	v_cmp_eq_u32_e64 s5, 0, v2
	v_add_co_ci_u32_e32 v4, vcc_lo, 0, v2, vcc_lo
	v_cmp_gt_u32_e32 vcc_lo, 30, v2
	s_delay_alu instid0(VALU_DEP_2) | instskip(SKIP_4) | instid1(VALU_DEP_1)
	v_lshlrev_b32_e32 v4, 2, v4
	v_cndmask_b32_e64 v7, 0, 1, vcc_lo
	ds_bpermute_b32 v6, v4, v3
	s_waitcnt lgkmcnt(0)
	v_dual_add_f32 v8, v3, v6 :: v_dual_lshlrev_b32 v7, 1, v7
	v_add_lshl_u32 v6, v7, v2, 2
	s_waitcnt vmcnt(0)
	v_sub_nc_u32_e64 v15, v1, v14 clamp
	s_delay_alu instid0(VALU_DEP_1) | instskip(SKIP_3) | instid1(VALU_DEP_1)
	v_cmp_lt_u32_e32 vcc_lo, v5, v15
	v_cndmask_b32_e32 v3, v3, v8, vcc_lo
	v_cmp_gt_u32_e32 vcc_lo, 28, v2
	v_cndmask_b32_e64 v8, 0, 1, vcc_lo
	v_lshlrev_b32_e32 v9, 2, v8
	v_add_nc_u32_e32 v8, 2, v2
	ds_bpermute_b32 v7, v6, v3
	v_cmp_lt_u32_e32 vcc_lo, v8, v15
	s_waitcnt lgkmcnt(0)
	v_add_f32_e32 v10, v3, v7
	v_add_lshl_u32 v7, v9, v2, 2
	s_delay_alu instid0(VALU_DEP_2) | instskip(SKIP_4) | instid1(VALU_DEP_1)
	v_cndmask_b32_e32 v3, v3, v10, vcc_lo
	v_cmp_gt_u32_e32 vcc_lo, 24, v2
	ds_bpermute_b32 v9, v7, v3
	v_cndmask_b32_e64 v10, 0, 1, vcc_lo
	s_waitcnt lgkmcnt(0)
	v_dual_add_f32 v12, v3, v9 :: v_dual_lshlrev_b32 v11, 3, v10
	v_add_nc_u32_e32 v10, 4, v2
	s_delay_alu instid0(VALU_DEP_2) | instskip(NEXT) | instid1(VALU_DEP_2)
	v_add_lshl_u32 v9, v11, v2, 2
	v_cmp_lt_u32_e32 vcc_lo, v10, v15
	s_delay_alu instid0(VALU_DEP_4) | instskip(SKIP_4) | instid1(VALU_DEP_1)
	v_cndmask_b32_e32 v3, v3, v12, vcc_lo
	v_cmp_gt_u32_e32 vcc_lo, 16, v2
	ds_bpermute_b32 v11, v9, v3
	v_cndmask_b32_e64 v12, 0, 1, vcc_lo
	s_waitcnt lgkmcnt(0)
	v_dual_add_f32 v16, v3, v11 :: v_dual_lshlrev_b32 v13, 4, v12
	v_add_nc_u32_e32 v12, 8, v2
	s_delay_alu instid0(VALU_DEP_2) | instskip(NEXT) | instid1(VALU_DEP_2)
	v_add_lshl_u32 v11, v13, v2, 2
	v_cmp_lt_u32_e32 vcc_lo, v12, v15
	s_delay_alu instid0(VALU_DEP_4) | instskip(SKIP_3) | instid1(VALU_DEP_1)
	v_cndmask_b32_e32 v3, v3, v16, vcc_lo
	ds_bpermute_b32 v16, v11, v3
	s_waitcnt lgkmcnt(0)
	v_dual_add_f32 v16, v3, v16 :: v_dual_add_nc_u32 v13, 16, v2
	v_cmp_lt_u32_e32 vcc_lo, v13, v15
	s_delay_alu instid0(VALU_DEP_2)
	v_cndmask_b32_e32 v3, v3, v16, vcc_lo
	s_and_saveexec_b32 s4, s5
	s_cbranch_execz .LBB10_9
; %bb.8:
	v_lshrrev_b32_e32 v15, 3, v0
	s_delay_alu instid0(VALU_DEP_1)
	v_and_b32_e32 v15, 0x7c, v15
	ds_store_b32 v15, v3 offset:256
.LBB10_9:
	s_or_b32 exec_lo, exec_lo, s4
	v_cmp_gt_u32_e64 s6, 32, v0
	v_lshlrev_b32_e32 v15, 2, v2
	s_waitcnt lgkmcnt(0)
	s_barrier
	buffer_gl0_inv
	s_and_saveexec_b32 s4, s6
	s_cbranch_execz .LBB10_11
; %bb.10:
	ds_load_b32 v2, v15 offset:256
	s_waitcnt lgkmcnt(0)
	ds_bpermute_b32 v3, v4, v2
	s_waitcnt lgkmcnt(0)
	v_add_f32_e32 v3, v2, v3
	v_add_nc_u32_e32 v1, 31, v1
	s_delay_alu instid0(VALU_DEP_1) | instskip(NEXT) | instid1(VALU_DEP_1)
	v_lshrrev_b32_e32 v1, 5, v1
	v_cmp_lt_u32_e32 vcc_lo, v5, v1
	s_delay_alu instid0(VALU_DEP_4) | instskip(SKIP_4) | instid1(VALU_DEP_1)
	v_cndmask_b32_e32 v2, v2, v3, vcc_lo
	v_cmp_lt_u32_e32 vcc_lo, v8, v1
	ds_bpermute_b32 v3, v6, v2
	s_waitcnt lgkmcnt(0)
	v_add_f32_e32 v3, v2, v3
	v_cndmask_b32_e32 v2, v2, v3, vcc_lo
	v_cmp_lt_u32_e32 vcc_lo, v10, v1
	ds_bpermute_b32 v3, v7, v2
	s_waitcnt lgkmcnt(0)
	v_add_f32_e32 v3, v2, v3
	s_delay_alu instid0(VALU_DEP_1) | instskip(SKIP_4) | instid1(VALU_DEP_1)
	v_cndmask_b32_e32 v2, v2, v3, vcc_lo
	v_cmp_lt_u32_e32 vcc_lo, v12, v1
	ds_bpermute_b32 v3, v9, v2
	s_waitcnt lgkmcnt(0)
	v_add_f32_e32 v3, v2, v3
	v_cndmask_b32_e32 v2, v2, v3, vcc_lo
	v_cmp_lt_u32_e32 vcc_lo, v13, v1
	ds_bpermute_b32 v3, v11, v2
	s_waitcnt lgkmcnt(0)
	v_add_f32_e32 v3, v2, v3
	s_delay_alu instid0(VALU_DEP_1)
	v_cndmask_b32_e32 v3, v2, v3, vcc_lo
.LBB10_11:
	s_or_b32 exec_lo, exec_lo, s4
	v_cmp_eq_u32_e64 s4, 0, v0
	s_mov_b32 s25, 0
	s_delay_alu instid0(VALU_DEP_1)
	s_and_saveexec_b32 s7, s4
	s_cbranch_execz .LBB10_13
; %bb.12:
	v_cvt_f32_i32_e32 v1, s21
	s_delay_alu instid0(VALU_DEP_1) | instskip(SKIP_1) | instid1(VALU_DEP_2)
	v_div_scale_f32 v2, null, v1, v1, v3
	v_div_scale_f32 v18, vcc_lo, v3, v1, v3
	v_rcp_f32_e32 v16, v2
	s_waitcnt_depctr 0xfff
	v_fma_f32 v17, -v2, v16, 1.0
	s_delay_alu instid0(VALU_DEP_1) | instskip(NEXT) | instid1(VALU_DEP_1)
	v_fmac_f32_e32 v16, v17, v16
	v_mul_f32_e32 v17, v18, v16
	s_delay_alu instid0(VALU_DEP_1) | instskip(NEXT) | instid1(VALU_DEP_1)
	v_fma_f32 v19, -v2, v17, v18
	v_fmac_f32_e32 v17, v19, v16
	s_delay_alu instid0(VALU_DEP_1) | instskip(NEXT) | instid1(VALU_DEP_1)
	v_fma_f32 v2, -v2, v17, v18
	v_div_fmas_f32 v2, v2, v16, v17
	s_delay_alu instid0(VALU_DEP_1) | instskip(NEXT) | instid1(VALU_DEP_1)
	v_div_fixup_f32 v1, v2, v1, v3
	v_add_f32_e32 v1, s20, v1
	s_delay_alu instid0(VALU_DEP_1) | instskip(SKIP_1) | instid1(VALU_DEP_2)
	v_mul_f32_e32 v2, 0x4b800000, v1
	v_cmp_gt_f32_e32 vcc_lo, 0x800000, v1
	v_cndmask_b32_e32 v1, v1, v2, vcc_lo
	s_delay_alu instid0(VALU_DEP_1) | instskip(SKIP_2) | instid1(VALU_DEP_1)
	v_rsq_f32_e32 v1, v1
	s_waitcnt_depctr 0xfff
	v_mul_f32_e32 v2, 0x45800000, v1
	v_dual_cndmask_b32 v1, v1, v2 :: v_dual_mov_b32 v2, 0
	ds_store_b32 v2, v1 offset:520
.LBB10_13:
	s_or_b32 exec_lo, exec_lo, s7
	v_mov_b32_e32 v1, 0
	s_waitcnt lgkmcnt(0)
	s_barrier
	buffer_gl0_inv
                                        ; implicit-def: $sgpr7
                                        ; implicit-def: $sgpr8_sgpr9
	ds_load_b32 v3, v1 offset:520
	s_waitcnt lgkmcnt(0)
	s_barrier
	buffer_gl0_inv
	s_and_saveexec_b32 s10, s3
	s_delay_alu instid0(SALU_CYCLE_1)
	s_xor_b32 s3, exec_lo, s10
; %bb.14:
	s_add_u32 s8, s0, 64
	s_addc_u32 s9, s1, 0
	s_mov_b32 s7, 0
; %bb.15:
	s_or_saveexec_b32 s3, s3
	v_dual_mov_b32 v16, s7 :: v_dual_mov_b32 v1, s8
	v_mov_b32_e32 v2, s9
	s_mul_hi_u32 s11, s22, s24
	s_mul_i32 s28, s22, s24
	s_xor_b32 exec_lo, exec_lo, s3
	s_cbranch_execz .LBB10_19
; %bb.16:
	s_load_b32 s23, s[0:1], 0x4c
	s_ashr_i32 s7, s22, 31
	v_dual_mov_b32 v2, 0 :: v_dual_mov_b32 v1, v0
	s_mul_i32 s7, s7, s24
	v_mov_b32_e32 v16, 0
	s_add_i32 s29, s11, s7
	s_delay_alu instid0(SALU_CYCLE_1) | instskip(NEXT) | instid1(SALU_CYCLE_1)
	s_lshl_b64 s[8:9], s[28:29], 1
	s_add_u32 s7, s16, s8
	s_addc_u32 s10, s17, s9
	s_add_u32 s8, s0, 64
	s_addc_u32 s9, s1, 0
	s_waitcnt lgkmcnt(0)
	s_and_b32 s29, s23, 0xffff
	s_mov_b32 s23, 0
	.p2align	6
.LBB10_17:                              ; =>This Inner Loop Header: Depth=1
	v_lshlrev_b64 v[17:18], 1, v[1:2]
	s_delay_alu instid0(VALU_DEP_2) | instskip(NEXT) | instid1(VALU_DEP_2)
	v_dual_max_f32 v16, v16, v16 :: v_dual_add_nc_u32 v1, s29, v1
	v_add_co_u32 v19, vcc_lo, s7, v17
	s_delay_alu instid0(VALU_DEP_3)
	v_add_co_ci_u32_e32 v20, vcc_lo, s10, v18, vcc_lo
	v_add_co_u32 v17, vcc_lo, s18, v17
	v_add_co_ci_u32_e32 v18, vcc_lo, s19, v18, vcc_lo
	v_cmp_le_u32_e32 vcc_lo, s21, v1
	global_load_u16 v19, v[19:20], off
	global_load_u16 v17, v[17:18], off
	s_or_b32 s23, vcc_lo, s23
	s_waitcnt vmcnt(1)
	v_fma_mixlo_f16 v18, v3, v19, 0 op_sel_hi:[0,1,0]
	s_waitcnt vmcnt(0)
	s_delay_alu instid0(VALU_DEP_1) | instskip(NEXT) | instid1(VALU_DEP_1)
	v_mul_f16_e32 v17, v17, v18
	v_cvt_f32_f16_e64 v17, |v17|
	s_delay_alu instid0(VALU_DEP_1)
	v_max_f32_e32 v16, v16, v17
	s_and_not1_b32 exec_lo, exec_lo, s23
	s_cbranch_execnz .LBB10_17
; %bb.18:
	s_or_b32 exec_lo, exec_lo, s23
	v_dual_mov_b32 v1, s8 :: v_dual_mov_b32 v2, s9
.LBB10_19:
	s_or_b32 exec_lo, exec_lo, s3
	global_load_b32 v17, v[1:2], off
	s_waitcnt vmcnt(0)
	v_cmp_lt_u32_e32 vcc_lo, s24, v17
	v_cndmask_b32_e64 v17, 18, 12, vcc_lo
	s_delay_alu instid0(VALU_DEP_1)
	v_add_co_u32 v1, vcc_lo, v1, v17
	v_add_co_ci_u32_e32 v2, vcc_lo, 0, v2, vcc_lo
	global_load_u16 v1, v[1:2], off
	ds_bpermute_b32 v2, v4, v16
	s_waitcnt lgkmcnt(0)
	v_cmp_lt_f32_e32 vcc_lo, v16, v2
	v_cndmask_b32_e32 v2, v16, v2, vcc_lo
	s_waitcnt vmcnt(0)
	v_sub_nc_u32_e64 v14, v1, v14 clamp
	s_delay_alu instid0(VALU_DEP_1)
	v_cmp_lt_u32_e32 vcc_lo, v5, v14
	v_cmp_lt_u32_e64 s9, v13, v14
	v_cndmask_b32_e32 v2, v16, v2, vcc_lo
	ds_bpermute_b32 v17, v6, v2
	s_waitcnt lgkmcnt(0)
	v_cmp_lt_f32_e64 s3, v2, v17
	s_delay_alu instid0(VALU_DEP_1) | instskip(SKIP_1) | instid1(VALU_DEP_1)
	v_cndmask_b32_e64 v17, v2, v17, s3
	v_cmp_lt_u32_e64 s3, v8, v14
	v_cndmask_b32_e64 v2, v2, v17, s3
	s_or_b32 s3, vcc_lo, s3
	ds_bpermute_b32 v17, v7, v2
	s_waitcnt lgkmcnt(0)
	v_cmp_lt_f32_e64 s7, v2, v17
	s_delay_alu instid0(VALU_DEP_1) | instskip(SKIP_1) | instid1(VALU_DEP_1)
	v_cndmask_b32_e64 v17, v2, v17, s7
	v_cmp_lt_u32_e64 s7, v10, v14
	v_cndmask_b32_e64 v2, v2, v17, s7
	s_or_b32 s3, s7, s3
	ds_bpermute_b32 v17, v9, v2
	s_waitcnt lgkmcnt(0)
	v_cmp_lt_f32_e64 s8, v2, v17
	s_delay_alu instid0(VALU_DEP_1) | instskip(SKIP_1) | instid1(VALU_DEP_1)
	v_cndmask_b32_e64 v17, v2, v17, s8
	v_cmp_lt_u32_e64 s8, v12, v14
	v_cndmask_b32_e64 v2, v2, v17, s8
	s_or_b32 s3, s8, s3
	ds_bpermute_b32 v17, v11, v2
	s_waitcnt lgkmcnt(0)
	v_cmp_lt_f32_e64 s10, v2, v17
	s_delay_alu instid0(VALU_DEP_1) | instskip(SKIP_2) | instid1(VALU_DEP_1)
	s_and_b32 vcc_lo, s9, s10
	v_cndmask_b32_e32 v2, v2, v17, vcc_lo
	s_or_b32 vcc_lo, s9, s3
	v_cndmask_b32_e32 v2, v16, v2, vcc_lo
	s_and_saveexec_b32 s3, s5
	s_cbranch_execz .LBB10_21
; %bb.20:
	v_lshrrev_b32_e32 v14, 3, v0
	s_delay_alu instid0(VALU_DEP_1)
	v_and_b32_e32 v14, 0x7c, v14
	ds_store_b32 v14, v2 offset:384
.LBB10_21:
	s_or_b32 exec_lo, exec_lo, s3
	s_waitcnt lgkmcnt(0)
	s_barrier
	buffer_gl0_inv
	s_and_saveexec_b32 s9, s6
	s_cbranch_execz .LBB10_23
; %bb.22:
	ds_load_b32 v2, v15 offset:384
	s_waitcnt lgkmcnt(0)
	ds_bpermute_b32 v4, v4, v2
	s_waitcnt lgkmcnt(0)
	v_cmp_lt_f32_e32 vcc_lo, v2, v4
	v_dual_cndmask_b32 v4, v2, v4 :: v_dual_add_nc_u32 v1, 31, v1
	s_delay_alu instid0(VALU_DEP_1) | instskip(NEXT) | instid1(VALU_DEP_1)
	v_lshrrev_b32_e32 v1, 5, v1
	v_cmp_lt_u32_e32 vcc_lo, v5, v1
	v_cmp_lt_u32_e64 s7, v13, v1
	s_delay_alu instid0(VALU_DEP_4) | instskip(SKIP_3) | instid1(VALU_DEP_1)
	v_cndmask_b32_e32 v4, v2, v4, vcc_lo
	ds_bpermute_b32 v5, v6, v4
	s_waitcnt lgkmcnt(0)
	v_cmp_lt_f32_e64 s3, v4, v5
	v_cndmask_b32_e64 v5, v4, v5, s3
	v_cmp_lt_u32_e64 s3, v8, v1
	s_delay_alu instid0(VALU_DEP_1) | instskip(SKIP_4) | instid1(VALU_DEP_1)
	v_cndmask_b32_e64 v4, v4, v5, s3
	s_or_b32 s3, vcc_lo, s3
	ds_bpermute_b32 v5, v7, v4
	s_waitcnt lgkmcnt(0)
	v_cmp_lt_f32_e64 s5, v4, v5
	v_cndmask_b32_e64 v5, v4, v5, s5
	v_cmp_lt_u32_e64 s5, v10, v1
	s_delay_alu instid0(VALU_DEP_1) | instskip(SKIP_4) | instid1(VALU_DEP_1)
	v_cndmask_b32_e64 v4, v4, v5, s5
	s_or_b32 s3, s5, s3
	ds_bpermute_b32 v5, v9, v4
	s_waitcnt lgkmcnt(0)
	v_cmp_lt_f32_e64 s6, v4, v5
	v_cndmask_b32_e64 v5, v4, v5, s6
	v_cmp_lt_u32_e64 s6, v12, v1
	s_delay_alu instid0(VALU_DEP_1) | instskip(SKIP_4) | instid1(VALU_DEP_1)
	v_cndmask_b32_e64 v4, v4, v5, s6
	s_or_b32 s3, s6, s3
	ds_bpermute_b32 v5, v11, v4
	s_waitcnt lgkmcnt(0)
	v_cmp_lt_f32_e64 s8, v4, v5
	s_and_b32 vcc_lo, s7, s8
	v_cndmask_b32_e32 v1, v4, v5, vcc_lo
	s_or_b32 vcc_lo, s7, s3
	s_delay_alu instid0(VALU_DEP_1)
	v_cndmask_b32_e32 v2, v2, v1, vcc_lo
.LBB10_23:
	s_or_b32 exec_lo, exec_lo, s9
	s_and_saveexec_b32 s3, s4
	s_cbranch_execz .LBB10_27
; %bb.24:
	s_cmp_eq_u64 s[26:27], 0
	s_cbranch_scc1 .LBB10_26
; %bb.25:
	s_load_b32 s4, s[26:27], 0x0
	v_max_f32_e32 v1, v2, v2
	s_waitcnt lgkmcnt(0)
	v_max_f32_e64 v2, s4, s4
	s_delay_alu instid0(VALU_DEP_1)
	v_min_f32_e32 v2, v1, v2
.LBB10_26:
	s_delay_alu instid0(VALU_DEP_1) | instskip(SKIP_2) | instid1(VALU_DEP_2)
	v_div_scale_f32 v1, null, 0x43600000, 0x43600000, v2
	v_div_scale_f32 v6, vcc_lo, v2, 0x43600000, v2
	s_lshl_b64 s[4:5], s[24:25], 2
	v_rcp_f32_e32 v4, v1
	s_add_u32 s4, s14, s4
	s_addc_u32 s5, s15, s5
	s_waitcnt_depctr 0xfff
	v_fma_f32 v5, -v1, v4, 1.0
	s_delay_alu instid0(VALU_DEP_1) | instskip(NEXT) | instid1(VALU_DEP_1)
	v_fmac_f32_e32 v4, v5, v4
	v_mul_f32_e32 v5, v6, v4
	s_delay_alu instid0(VALU_DEP_1) | instskip(NEXT) | instid1(VALU_DEP_1)
	v_fma_f32 v7, -v1, v5, v6
	v_fmac_f32_e32 v5, v7, v4
	s_delay_alu instid0(VALU_DEP_1) | instskip(NEXT) | instid1(VALU_DEP_1)
	v_fma_f32 v1, -v1, v5, v6
	v_div_fmas_f32 v1, v1, v4, v5
	s_delay_alu instid0(VALU_DEP_1) | instskip(NEXT) | instid1(VALU_DEP_1)
	v_div_fixup_f32 v1, v1, 0x43600000, v2
	v_dual_mov_b32 v2, 0 :: v_dual_max_f32 v1, 0x37124925, v1
	ds_store_b32 v2, v1 offset:524
	global_store_b32 v2, v1, s[4:5]
.LBB10_27:
	s_or_b32 exec_lo, exec_lo, s3
	s_waitcnt lgkmcnt(0)
	s_waitcnt_vscnt null, 0x0
	s_barrier
	buffer_gl0_inv
	s_and_saveexec_b32 s3, s2
	s_cbranch_execz .LBB10_38
; %bb.28:
	v_dual_mov_b32 v2, 0 :: v_dual_mov_b32 v1, v0
	s_load_b32 s7, s[0:1], 0x4c
	s_ashr_i32 s4, s22, 31
	s_ashr_i32 s2, s21, 31
	ds_load_b32 v4, v2 offset:524
	s_mul_i32 s4, s4, s24
	s_mul_hi_u32 s5, s21, s24
	s_mul_i32 s2, s2, s24
	s_add_i32 s29, s11, s4
	s_add_i32 s6, s5, s2
	s_lshl_b64 s[4:5], s[28:29], 1
	s_mul_i32 s8, s21, s24
	s_add_u32 s2, s16, s4
	s_addc_u32 s4, s17, s5
	s_add_u32 s5, s12, s8
	s_addc_u32 s6, s13, s6
	s_mov_b32 s8, 0
	s_mov_b32 s9, 0x43600000
	s_waitcnt lgkmcnt(0)
	s_and_b32 s7, s7, 0xffff
	s_branch .LBB10_31
.LBB10_29:                              ;   in Loop: Header=BB10_31 Depth=1
	s_or_b32 exec_lo, exec_lo, s23
.LBB10_30:                              ;   in Loop: Header=BB10_31 Depth=1
	s_delay_alu instid0(SALU_CYCLE_1) | instskip(SKIP_3) | instid1(VALU_DEP_2)
	s_or_b32 exec_lo, exec_lo, s10
	v_add_co_u32 v5, s10, s5, v1
	v_add_nc_u32_e32 v1, s7, v1
	v_add_co_ci_u32_e64 v6, null, s6, 0, s10
	v_cmp_le_u32_e32 vcc_lo, s21, v1
	global_store_b8 v[5:6], v7, off
	s_or_b32 s8, vcc_lo, s8
	s_delay_alu instid0(SALU_CYCLE_1)
	s_and_not1_b32 exec_lo, exec_lo, s8
	s_cbranch_execz .LBB10_38
.LBB10_31:                              ; =>This Inner Loop Header: Depth=1
	v_lshlrev_b64 v[5:6], 1, v[1:2]
	s_mov_b32 s10, exec_lo
	s_delay_alu instid0(VALU_DEP_1) | instskip(NEXT) | instid1(VALU_DEP_2)
	v_add_co_u32 v7, vcc_lo, s2, v5
	v_add_co_ci_u32_e32 v8, vcc_lo, s4, v6, vcc_lo
	v_add_co_u32 v5, vcc_lo, s18, v5
	v_add_co_ci_u32_e32 v6, vcc_lo, s19, v6, vcc_lo
	global_load_u16 v7, v[7:8], off
	global_load_u16 v5, v[5:6], off
	s_waitcnt vmcnt(1)
	v_fma_mixlo_f16 v6, v3, v7, 0 op_sel_hi:[0,1,0]
	s_waitcnt vmcnt(0)
	s_delay_alu instid0(VALU_DEP_1) | instskip(NEXT) | instid1(VALU_DEP_1)
	v_mul_f16_e32 v5, v5, v6
	v_cvt_f32_f16_e32 v5, v5
	s_delay_alu instid0(VALU_DEP_1) | instskip(SKIP_1) | instid1(VALU_DEP_2)
	v_div_scale_f32 v6, null, v4, v4, v5
	v_div_scale_f32 v9, vcc_lo, v5, v4, v5
	v_rcp_f32_e32 v7, v6
	s_waitcnt_depctr 0xfff
	v_fma_f32 v8, -v6, v7, 1.0
	s_delay_alu instid0(VALU_DEP_1) | instskip(NEXT) | instid1(VALU_DEP_1)
	v_fmac_f32_e32 v7, v8, v7
	v_mul_f32_e32 v8, v9, v7
	s_delay_alu instid0(VALU_DEP_1) | instskip(NEXT) | instid1(VALU_DEP_1)
	v_fma_f32 v10, -v6, v8, v9
	v_fmac_f32_e32 v8, v10, v7
	s_delay_alu instid0(VALU_DEP_1) | instskip(NEXT) | instid1(VALU_DEP_1)
	v_fma_f32 v6, -v6, v8, v9
	v_div_fmas_f32 v6, v6, v7, v8
	v_mov_b32_e32 v7, 0x80
	s_delay_alu instid0(VALU_DEP_2) | instskip(NEXT) | instid1(VALU_DEP_1)
	v_div_fixup_f32 v5, v6, v4, v5
	v_minmax_f32 v5, v5, s9, 0xc3600000
	s_delay_alu instid0(VALU_DEP_1) | instskip(NEXT) | instid1(VALU_DEP_1)
	v_and_b32_e32 v6, 0x7fffffff, v5
	v_cmpx_gt_u32_e32 0x43800000, v6
	s_cbranch_execz .LBB10_30
; %bb.32:                               ;   in Loop: Header=BB10_31 Depth=1
	v_cmp_lt_u32_e32 vcc_lo, 0x3bffffff, v6
	s_mov_b32 s11, 0
                                        ; implicit-def: $vgpr6
	s_and_saveexec_b32 s23, vcc_lo
	s_delay_alu instid0(SALU_CYCLE_1)
	s_xor_b32 s23, exec_lo, s23
	s_cbranch_execnz .LBB10_35
; %bb.33:                               ;   in Loop: Header=BB10_31 Depth=1
	s_or_saveexec_b32 s23, s23
                                        ; implicit-def: $sgpr25
	s_delay_alu instid0(SALU_CYCLE_1)
	s_xor_b32 exec_lo, exec_lo, s23
	s_cbranch_execnz .LBB10_36
.LBB10_34:                              ;   in Loop: Header=BB10_31 Depth=1
	s_or_b32 exec_lo, exec_lo, s23
	v_mov_b32_e32 v7, s25
	s_and_saveexec_b32 s23, s11
	s_cbranch_execz .LBB10_29
	s_branch .LBB10_37
.LBB10_35:                              ;   in Loop: Header=BB10_31 Depth=1
	v_bfe_u32 v6, v5, 20, 1
	s_mov_b32 s11, exec_lo
	s_delay_alu instid0(VALU_DEP_1) | instskip(NEXT) | instid1(VALU_DEP_1)
	v_add3_u32 v6, v5, v6, 0x487ffff
	v_lshrrev_b32_e32 v6, 20, v6
	s_or_saveexec_b32 s23, s23
                                        ; implicit-def: $sgpr25
	s_delay_alu instid0(SALU_CYCLE_1)
	s_xor_b32 exec_lo, exec_lo, s23
	s_cbranch_execz .LBB10_34
.LBB10_36:                              ;   in Loop: Header=BB10_31 Depth=1
	v_add_f32_e64 v6, 0x46000000, |v5|
	s_and_not1_b32 s11, s11, exec_lo
	s_mov_b32 s25, 0
	s_delay_alu instid0(VALU_DEP_1) | instskip(NEXT) | instid1(VALU_DEP_1)
	v_and_b32_e32 v6, 0xff, v6
	v_cmp_ne_u32_e32 vcc_lo, 0, v6
	s_and_b32 s28, vcc_lo, exec_lo
	s_delay_alu instid0(SALU_CYCLE_1)
	s_or_b32 s11, s11, s28
	s_or_b32 exec_lo, exec_lo, s23
	v_mov_b32_e32 v7, s25
	s_and_saveexec_b32 s23, s11
	s_cbranch_execz .LBB10_29
.LBB10_37:                              ;   in Loop: Header=BB10_31 Depth=1
	v_lshrrev_b32_e32 v5, 24, v5
	s_delay_alu instid0(VALU_DEP_1)
	v_and_or_b32 v7, 0x80, v5, v6
	s_branch .LBB10_29
.LBB10_38:
	s_or_b32 exec_lo, exec_lo, s3
	s_branch .LBB10_211
.LBB10_39:
	s_cbranch_execz .LBB10_211
; %bb.40:
	s_load_b32 s3, s[0:1], 0x40
	s_ashr_i32 s2, s22, 31
	s_mul_hi_u32 s4, s22, s24
	s_mul_i32 s2, s2, s24
	v_mov_b32_e32 v9, 0
	s_add_i32 s5, s4, s2
	s_mul_i32 s4, s22, s24
	s_mov_b32 s25, 0
	s_lshl_b64 s[4:5], s[4:5], 1
	s_delay_alu instid0(SALU_CYCLE_1)
	s_add_u32 s9, s16, s4
	s_addc_u32 s10, s17, s5
	s_ashr_i32 s11, s21, 2
	s_add_u32 s0, s0, 64
	v_cmp_gt_u32_e64 s2, s11, v0
	s_addc_u32 s1, s1, 0
	s_delay_alu instid0(VALU_DEP_1)
	s_and_saveexec_b32 s4, s2
	s_cbranch_execz .LBB10_50
; %bb.41:
	s_waitcnt lgkmcnt(0)
	s_cmp_lt_u32 s24, s3
	v_dual_mov_b32 v2, 0 :: v_dual_mov_b32 v1, v0
	s_cselect_b32 s5, 12, 18
	s_delay_alu instid0(SALU_CYCLE_1)
	s_add_u32 s6, s0, s5
	s_addc_u32 s7, s1, 0
	s_mov_b32 s5, s25
	global_load_u16 v6, v2, s[6:7]
                                        ; implicit-def: $sgpr6
	v_mov_b32_e32 v9, v2
	s_waitcnt vmcnt(0)
	v_mul_lo_u32 v7, v6, 3
	v_lshlrev_b32_e32 v8, 1, v6
	v_add_nc_u32_e32 v10, v6, v6
	s_branch .LBB10_45
.LBB10_42:                              ;   in Loop: Header=BB10_45 Depth=1
	s_or_b32 exec_lo, exec_lo, s16
	s_delay_alu instid0(SALU_CYCLE_1)
	s_or_not1_b32 s16, s17, exec_lo
.LBB10_43:                              ;   in Loop: Header=BB10_45 Depth=1
	s_or_b32 exec_lo, exec_lo, s8
	s_delay_alu instid0(SALU_CYCLE_1) | instskip(SKIP_1) | instid1(SALU_CYCLE_1)
	s_and_not1_b32 s6, s6, exec_lo
	s_and_b32 s8, s16, exec_lo
	s_or_b32 s6, s6, s8
.LBB10_44:                              ;   in Loop: Header=BB10_45 Depth=1
	s_or_b32 exec_lo, exec_lo, s7
	s_delay_alu instid0(SALU_CYCLE_1) | instskip(NEXT) | instid1(SALU_CYCLE_1)
	s_and_b32 s7, exec_lo, s6
	s_or_b32 s5, s7, s5
	s_delay_alu instid0(SALU_CYCLE_1)
	s_and_not1_b32 exec_lo, exec_lo, s5
	s_cbranch_execz .LBB10_49
.LBB10_45:                              ; =>This Inner Loop Header: Depth=1
	v_lshlrev_b64 v[3:4], 3, v[1:2]
	s_or_b32 s6, s6, exec_lo
	s_mov_b32 s7, exec_lo
	s_delay_alu instid0(VALU_DEP_1) | instskip(NEXT) | instid1(VALU_DEP_2)
	v_add_co_u32 v3, vcc_lo, s9, v3
	v_add_co_ci_u32_e32 v4, vcc_lo, s10, v4, vcc_lo
	global_load_b64 v[3:4], v[3:4], off
	s_waitcnt vmcnt(0)
	v_fma_mix_f32 v5, v3, v3, v9 op_sel_hi:[1,1,0]
	s_delay_alu instid0(VALU_DEP_1) | instskip(NEXT) | instid1(VALU_DEP_1)
	v_fma_mix_f32 v3, v3, v3, v5 op_sel:[1,1,0] op_sel_hi:[1,1,0]
	v_fma_mix_f32 v5, v4, v4, v3 op_sel_hi:[1,1,0]
	v_add_nc_u32_e32 v3, v1, v6
	s_delay_alu instid0(VALU_DEP_2) | instskip(NEXT) | instid1(VALU_DEP_2)
	v_fma_mix_f32 v9, v4, v4, v5 op_sel:[1,1,0] op_sel_hi:[1,1,0]
	v_cmpx_gt_u32_e64 s11, v3
	s_cbranch_execz .LBB10_44
; %bb.46:                               ;   in Loop: Header=BB10_45 Depth=1
	v_mov_b32_e32 v4, v2
	s_mov_b32 s16, -1
	s_mov_b32 s8, exec_lo
	s_delay_alu instid0(VALU_DEP_1) | instskip(NEXT) | instid1(VALU_DEP_1)
	v_lshlrev_b64 v[4:5], 3, v[3:4]
	v_add_co_u32 v4, vcc_lo, s9, v4
	s_delay_alu instid0(VALU_DEP_2) | instskip(SKIP_3) | instid1(VALU_DEP_1)
	v_add_co_ci_u32_e32 v5, vcc_lo, s10, v5, vcc_lo
	global_load_b64 v[4:5], v[4:5], off
	s_waitcnt vmcnt(0)
	v_fma_mix_f32 v9, v4, v4, v9 op_sel_hi:[1,1,0]
	v_fma_mix_f32 v4, v4, v4, v9 op_sel:[1,1,0] op_sel_hi:[1,1,0]
	s_delay_alu instid0(VALU_DEP_1) | instskip(SKIP_1) | instid1(VALU_DEP_2)
	v_fma_mix_f32 v9, v5, v5, v4 op_sel_hi:[1,1,0]
	v_add_nc_u32_e32 v4, v8, v1
	v_fma_mix_f32 v9, v5, v5, v9 op_sel:[1,1,0] op_sel_hi:[1,1,0]
	s_delay_alu instid0(VALU_DEP_2)
	v_cmpx_gt_u32_e64 s11, v4
	s_cbranch_execz .LBB10_43
; %bb.47:                               ;   in Loop: Header=BB10_45 Depth=1
	v_mov_b32_e32 v5, v2
	v_add_nc_u32_e32 v1, v7, v1
	s_mov_b32 s17, -1
	s_mov_b32 s16, exec_lo
	s_delay_alu instid0(VALU_DEP_2) | instskip(NEXT) | instid1(VALU_DEP_1)
	v_lshlrev_b64 v[4:5], 3, v[4:5]
	v_add_co_u32 v4, vcc_lo, s9, v4
	s_delay_alu instid0(VALU_DEP_2) | instskip(SKIP_3) | instid1(VALU_DEP_1)
	v_add_co_ci_u32_e32 v5, vcc_lo, s10, v5, vcc_lo
	global_load_b64 v[4:5], v[4:5], off
	s_waitcnt vmcnt(0)
	v_fma_mix_f32 v9, v4, v4, v9 op_sel_hi:[1,1,0]
	v_fma_mix_f32 v4, v4, v4, v9 op_sel:[1,1,0] op_sel_hi:[1,1,0]
	s_delay_alu instid0(VALU_DEP_1) | instskip(NEXT) | instid1(VALU_DEP_1)
	v_fma_mix_f32 v4, v5, v5, v4 op_sel_hi:[1,1,0]
	v_fma_mix_f32 v9, v5, v5, v4 op_sel:[1,1,0] op_sel_hi:[1,1,0]
	v_cmpx_gt_u32_e64 s11, v1
	s_xor_b32 s16, exec_lo, s16
	s_cbranch_execz .LBB10_42
; %bb.48:                               ;   in Loop: Header=BB10_45 Depth=1
	v_lshlrev_b64 v[4:5], 3, v[1:2]
	s_delay_alu instid0(VALU_DEP_1) | instskip(NEXT) | instid1(VALU_DEP_2)
	v_add_co_u32 v4, vcc_lo, s9, v4
	v_add_co_ci_u32_e32 v5, vcc_lo, s10, v5, vcc_lo
	global_load_b64 v[4:5], v[4:5], off
	s_waitcnt vmcnt(0)
	v_fma_mix_f32 v1, v4, v4, v9 op_sel_hi:[1,1,0]
	s_delay_alu instid0(VALU_DEP_1) | instskip(SKIP_1) | instid1(VALU_DEP_2)
	v_fma_mix_f32 v4, v4, v4, v1 op_sel:[1,1,0] op_sel_hi:[1,1,0]
	v_add3_u32 v1, v10, v6, v3
	v_fma_mix_f32 v3, v5, v5, v4 op_sel_hi:[1,1,0]
	s_delay_alu instid0(VALU_DEP_2) | instskip(NEXT) | instid1(VALU_DEP_2)
	v_cmp_le_u32_e32 vcc_lo, s11, v1
	v_fma_mix_f32 v9, v5, v5, v3 op_sel:[1,1,0] op_sel_hi:[1,1,0]
	s_or_not1_b32 s17, vcc_lo, exec_lo
	s_branch .LBB10_42
.LBB10_49:
	s_or_b32 exec_lo, exec_lo, s5
.LBB10_50:
	s_delay_alu instid0(SALU_CYCLE_1)
	s_or_b32 exec_lo, exec_lo, s4
	s_waitcnt lgkmcnt(0)
	s_cmp_lt_u32 s24, s3
	v_dual_mov_b32 v1, 0 :: v_dual_and_b32 v4, 0x3e0, v0
	s_cselect_b32 s3, 12, 18
	v_mbcnt_lo_u32_b32 v6, -1, 0
	s_add_u32 s0, s0, s3
	s_addc_u32 s1, s1, 0
	global_load_u16 v1, v1, s[0:1]
	v_cmp_ne_u32_e32 vcc_lo, 31, v6
	v_add_nc_u32_e32 v8, 1, v6
	v_add_nc_u32_e32 v12, 2, v6
	;; [unrolled: 1-line block ×4, first 2 shown]
	v_add_co_ci_u32_e32 v2, vcc_lo, 0, v6, vcc_lo
	v_cmp_gt_u32_e32 vcc_lo, 30, v6
	v_add_nc_u32_e32 v17, 16, v6
	v_cmp_eq_u32_e64 s6, 0, v6
	s_delay_alu instid0(VALU_DEP_4)
	v_lshlrev_b32_e32 v7, 2, v2
	v_cndmask_b32_e64 v3, 0, 1, vcc_lo
	v_cmp_gt_u32_e32 vcc_lo, 28, v6
	ds_bpermute_b32 v2, v7, v9
	v_lshlrev_b32_e32 v3, 1, v3
	v_cndmask_b32_e64 v5, 0, 1, vcc_lo
	v_cmp_gt_u32_e32 vcc_lo, 24, v6
	s_delay_alu instid0(VALU_DEP_2) | instskip(NEXT) | instid1(VALU_DEP_1)
	v_lshlrev_b32_e32 v5, 2, v5
	v_add_lshl_u32 v11, v5, v6, 2
	v_cndmask_b32_e64 v5, 0, 1, vcc_lo
	v_cmp_gt_u32_e32 vcc_lo, 16, v6
	s_waitcnt lgkmcnt(0)
	s_delay_alu instid0(VALU_DEP_2) | instskip(SKIP_1) | instid1(VALU_DEP_2)
	v_dual_add_f32 v2, v9, v2 :: v_dual_lshlrev_b32 v5, 3, v5
	v_add_lshl_u32 v10, v3, v6, 2
	v_add_lshl_u32 v13, v5, v6, 2
	v_cndmask_b32_e64 v5, 0, 1, vcc_lo
	s_delay_alu instid0(VALU_DEP_1) | instskip(NEXT) | instid1(VALU_DEP_1)
	v_lshlrev_b32_e32 v5, 4, v5
	v_add_lshl_u32 v15, v5, v6, 2
	s_waitcnt vmcnt(0)
	v_sub_nc_u32_e64 v4, v1, v4 clamp
	v_readfirstlane_b32 s16, v1
	s_delay_alu instid0(VALU_DEP_2)
	v_cmp_lt_u32_e64 s0, v8, v4
	v_cmp_lt_u32_e64 s1, v12, v4
	;; [unrolled: 1-line block ×5, first 2 shown]
	v_cndmask_b32_e64 v2, v9, v2, s0
	ds_bpermute_b32 v3, v10, v2
	s_waitcnt lgkmcnt(0)
	v_add_f32_e32 v3, v2, v3
	s_delay_alu instid0(VALU_DEP_1) | instskip(SKIP_3) | instid1(VALU_DEP_1)
	v_cndmask_b32_e64 v2, v2, v3, s1
	ds_bpermute_b32 v3, v11, v2
	s_waitcnt lgkmcnt(0)
	v_add_f32_e32 v3, v2, v3
	v_cndmask_b32_e64 v2, v2, v3, s3
	ds_bpermute_b32 v3, v13, v2
	s_waitcnt lgkmcnt(0)
	v_add_f32_e32 v3, v2, v3
	s_delay_alu instid0(VALU_DEP_1) | instskip(SKIP_3) | instid1(VALU_DEP_1)
	v_cndmask_b32_e64 v2, v2, v3, s5
	ds_bpermute_b32 v3, v15, v2
	s_waitcnt lgkmcnt(0)
	v_add_f32_e32 v3, v2, v3
	v_cndmask_b32_e64 v1, v2, v3, s8
	s_and_saveexec_b32 s4, s6
	s_cbranch_execz .LBB10_52
; %bb.51:
	v_lshrrev_b32_e32 v2, 3, v0
	s_delay_alu instid0(VALU_DEP_1)
	v_and_b32_e32 v2, 0x7c, v2
	ds_store_b32 v2, v1
.LBB10_52:
	s_or_b32 exec_lo, exec_lo, s4
	v_cmp_gt_u32_e64 s7, 32, v0
	s_waitcnt lgkmcnt(0)
	s_waitcnt_vscnt null, 0x0
	s_barrier
	buffer_gl0_inv
	s_and_saveexec_b32 s4, s7
	s_cbranch_execz .LBB10_54
; %bb.53:
	v_lshlrev_b32_e32 v1, 2, v6
	s_add_i32 s17, s16, 31
	s_delay_alu instid0(SALU_CYCLE_1) | instskip(NEXT) | instid1(SALU_CYCLE_1)
	s_lshr_b32 s17, s17, 5
	v_cmp_gt_u32_e32 vcc_lo, s17, v8
	ds_load_b32 v1, v1
	s_waitcnt lgkmcnt(0)
	ds_bpermute_b32 v2, v7, v1
	s_waitcnt lgkmcnt(0)
	v_add_f32_e32 v2, v1, v2
	s_delay_alu instid0(VALU_DEP_1) | instskip(SKIP_4) | instid1(VALU_DEP_1)
	v_cndmask_b32_e32 v1, v1, v2, vcc_lo
	v_cmp_gt_u32_e32 vcc_lo, s17, v12
	ds_bpermute_b32 v2, v10, v1
	s_waitcnt lgkmcnt(0)
	v_add_f32_e32 v2, v1, v2
	v_cndmask_b32_e32 v1, v1, v2, vcc_lo
	v_cmp_gt_u32_e32 vcc_lo, s17, v14
	ds_bpermute_b32 v2, v11, v1
	s_waitcnt lgkmcnt(0)
	v_add_f32_e32 v2, v1, v2
	s_delay_alu instid0(VALU_DEP_1) | instskip(SKIP_4) | instid1(VALU_DEP_1)
	v_cndmask_b32_e32 v1, v1, v2, vcc_lo
	v_cmp_gt_u32_e32 vcc_lo, s17, v16
	ds_bpermute_b32 v2, v13, v1
	s_waitcnt lgkmcnt(0)
	v_add_f32_e32 v2, v1, v2
	v_cndmask_b32_e32 v1, v1, v2, vcc_lo
	v_cmp_gt_u32_e32 vcc_lo, s17, v17
	ds_bpermute_b32 v2, v15, v1
	s_waitcnt lgkmcnt(0)
	v_add_f32_e32 v2, v1, v2
	s_delay_alu instid0(VALU_DEP_1)
	v_cndmask_b32_e32 v1, v1, v2, vcc_lo
.LBB10_54:
	s_or_b32 exec_lo, exec_lo, s4
	v_cmp_eq_u32_e64 s4, 0, v0
	s_delay_alu instid0(VALU_DEP_1)
	s_and_saveexec_b32 s17, s4
	s_cbranch_execz .LBB10_56
; %bb.55:
	v_cvt_f32_i32_e32 v2, s21
	s_delay_alu instid0(VALU_DEP_1) | instskip(SKIP_1) | instid1(VALU_DEP_2)
	v_div_scale_f32 v3, null, v2, v2, v1
	v_div_scale_f32 v9, vcc_lo, v1, v2, v1
	v_rcp_f32_e32 v4, v3
	s_waitcnt_depctr 0xfff
	v_fma_f32 v5, -v3, v4, 1.0
	s_delay_alu instid0(VALU_DEP_1) | instskip(NEXT) | instid1(VALU_DEP_1)
	v_fmac_f32_e32 v4, v5, v4
	v_mul_f32_e32 v5, v9, v4
	s_delay_alu instid0(VALU_DEP_1) | instskip(NEXT) | instid1(VALU_DEP_1)
	v_fma_f32 v18, -v3, v5, v9
	v_fmac_f32_e32 v5, v18, v4
	s_delay_alu instid0(VALU_DEP_1) | instskip(NEXT) | instid1(VALU_DEP_1)
	v_fma_f32 v3, -v3, v5, v9
	v_div_fmas_f32 v3, v3, v4, v5
	s_delay_alu instid0(VALU_DEP_1) | instskip(NEXT) | instid1(VALU_DEP_1)
	v_div_fixup_f32 v1, v3, v2, v1
	v_add_f32_e32 v1, s20, v1
	s_delay_alu instid0(VALU_DEP_1) | instskip(SKIP_1) | instid1(VALU_DEP_2)
	v_mul_f32_e32 v2, 0x4b800000, v1
	v_cmp_gt_f32_e32 vcc_lo, 0x800000, v1
	v_cndmask_b32_e32 v1, v1, v2, vcc_lo
	s_delay_alu instid0(VALU_DEP_1) | instskip(SKIP_2) | instid1(VALU_DEP_1)
	v_rsq_f32_e32 v1, v1
	s_waitcnt_depctr 0xfff
	v_mul_f32_e32 v2, 0x45800000, v1
	v_dual_cndmask_b32 v1, v1, v2 :: v_dual_mov_b32 v2, 0
	ds_store_b32 v2, v1 offset:512
.LBB10_56:
	s_or_b32 exec_lo, exec_lo, s17
	v_mov_b32_e32 v18, 0
	s_waitcnt lgkmcnt(0)
	s_barrier
	buffer_gl0_inv
	ds_load_b32 v9, v18 offset:512
	s_and_saveexec_b32 s17, s2
	s_cbranch_execz .LBB10_66
; %bb.57:
	v_dual_mov_b32 v2, 0 :: v_dual_mov_b32 v1, v0
	v_mov_b32_e32 v18, 0
	s_mul_i32 s20, s16, 3
	s_lshl_b32 s23, s16, 1
	s_mov_b32 s22, 0
	s_add_i32 s28, s16, s16
                                        ; implicit-def: $sgpr29
	s_branch .LBB10_61
.LBB10_58:                              ;   in Loop: Header=BB10_61 Depth=1
	s_or_b32 exec_lo, exec_lo, s33
	s_delay_alu instid0(SALU_CYCLE_1)
	s_or_not1_b32 s33, s34, exec_lo
.LBB10_59:                              ;   in Loop: Header=BB10_61 Depth=1
	s_or_b32 exec_lo, exec_lo, s31
	s_delay_alu instid0(SALU_CYCLE_1) | instskip(SKIP_1) | instid1(SALU_CYCLE_1)
	s_and_not1_b32 s29, s29, exec_lo
	s_and_b32 s31, s33, exec_lo
	s_or_b32 s29, s29, s31
.LBB10_60:                              ;   in Loop: Header=BB10_61 Depth=1
	s_or_b32 exec_lo, exec_lo, s30
	s_delay_alu instid0(SALU_CYCLE_1) | instskip(NEXT) | instid1(SALU_CYCLE_1)
	s_and_b32 s30, exec_lo, s29
	s_or_b32 s22, s30, s22
	s_delay_alu instid0(SALU_CYCLE_1)
	s_and_not1_b32 exec_lo, exec_lo, s22
	s_cbranch_execz .LBB10_65
.LBB10_61:                              ; =>This Inner Loop Header: Depth=1
	v_lshlrev_b64 v[3:4], 3, v[1:2]
	s_or_b32 s29, s29, exec_lo
	s_mov_b32 s30, exec_lo
	s_delay_alu instid0(VALU_DEP_1) | instskip(NEXT) | instid1(VALU_DEP_2)
	v_add_co_u32 v19, vcc_lo, s18, v3
	v_add_co_ci_u32_e32 v20, vcc_lo, s19, v4, vcc_lo
	v_add_co_u32 v3, vcc_lo, s9, v3
	v_add_co_ci_u32_e32 v4, vcc_lo, s10, v4, vcc_lo
	global_load_b64 v[19:20], v[19:20], off
	global_load_b64 v[3:4], v[3:4], off
	s_waitcnt vmcnt(1)
	v_lshrrev_b32_e32 v5, 16, v19
	s_waitcnt vmcnt(0) lgkmcnt(0)
	v_fma_mixlo_f16 v21, v9, v3, 0 op_sel_hi:[0,1,0]
	v_fma_mixlo_f16 v3, v9, v3, 0 op_sel:[0,1,0] op_sel_hi:[0,1,0]
	v_lshrrev_b32_e32 v22, 16, v20
	v_fma_mixlo_f16 v23, v9, v4, 0 op_sel_hi:[0,1,0]
	v_fma_mixlo_f16 v4, v9, v4, 0 op_sel:[0,1,0] op_sel_hi:[0,1,0]
	v_mul_f16_e32 v19, v19, v21
	v_mul_f16_e32 v3, v5, v3
	s_delay_alu instid0(VALU_DEP_4) | instskip(NEXT) | instid1(VALU_DEP_4)
	v_mul_f16_e32 v5, v20, v23
	v_mul_f16_e32 v4, v22, v4
	s_delay_alu instid0(VALU_DEP_4) | instskip(NEXT) | instid1(VALU_DEP_4)
	v_cvt_f32_f16_e64 v19, |v19|
	v_cvt_f32_f16_e64 v3, |v3|
	s_delay_alu instid0(VALU_DEP_4) | instskip(NEXT) | instid1(VALU_DEP_4)
	v_cvt_f32_f16_e64 v5, |v5|
	v_cvt_f32_f16_e64 v4, |v4|
	s_delay_alu instid0(VALU_DEP_3) | instskip(SKIP_1) | instid1(VALU_DEP_2)
	v_max3_f32 v18, v18, v19, v3
	v_add_nc_u32_e32 v3, s16, v1
	v_max3_f32 v18, v18, v5, v4
	s_delay_alu instid0(VALU_DEP_2)
	v_cmpx_gt_u32_e64 s11, v3
	s_cbranch_execz .LBB10_60
; %bb.62:                               ;   in Loop: Header=BB10_61 Depth=1
	v_mov_b32_e32 v4, v2
	s_mov_b32 s33, -1
	s_mov_b32 s31, exec_lo
	s_delay_alu instid0(VALU_DEP_1) | instskip(NEXT) | instid1(VALU_DEP_1)
	v_lshlrev_b64 v[4:5], 3, v[3:4]
	v_add_co_u32 v19, vcc_lo, s18, v4
	s_delay_alu instid0(VALU_DEP_2)
	v_add_co_ci_u32_e32 v20, vcc_lo, s19, v5, vcc_lo
	v_add_co_u32 v4, vcc_lo, s9, v4
	v_add_co_ci_u32_e32 v5, vcc_lo, s10, v5, vcc_lo
	global_load_b64 v[19:20], v[19:20], off
	global_load_b64 v[4:5], v[4:5], off
	s_waitcnt vmcnt(1)
	v_lshrrev_b32_e32 v21, 16, v19
	s_waitcnt vmcnt(0)
	v_fma_mixlo_f16 v22, v9, v4, 0 op_sel_hi:[0,1,0]
	v_fma_mixlo_f16 v4, v9, v4, 0 op_sel:[0,1,0] op_sel_hi:[0,1,0]
	v_lshrrev_b32_e32 v23, 16, v20
	v_fma_mixlo_f16 v24, v9, v5, 0 op_sel_hi:[0,1,0]
	v_fma_mixlo_f16 v5, v9, v5, 0 op_sel:[0,1,0] op_sel_hi:[0,1,0]
	v_mul_f16_e32 v19, v19, v22
	v_mul_f16_e32 v4, v21, v4
	s_delay_alu instid0(VALU_DEP_4) | instskip(NEXT) | instid1(VALU_DEP_4)
	v_mul_f16_e32 v20, v20, v24
	v_mul_f16_e32 v5, v23, v5
	s_delay_alu instid0(VALU_DEP_4) | instskip(NEXT) | instid1(VALU_DEP_4)
	v_cvt_f32_f16_e64 v19, |v19|
	v_cvt_f32_f16_e64 v4, |v4|
	s_delay_alu instid0(VALU_DEP_4) | instskip(NEXT) | instid1(VALU_DEP_4)
	v_cvt_f32_f16_e64 v20, |v20|
	v_cvt_f32_f16_e64 v5, |v5|
	s_delay_alu instid0(VALU_DEP_3) | instskip(SKIP_1) | instid1(VALU_DEP_2)
	v_max3_f32 v18, v18, v19, v4
	v_add_nc_u32_e32 v4, s23, v1
	v_max3_f32 v18, v18, v20, v5
	s_delay_alu instid0(VALU_DEP_2)
	v_cmpx_gt_u32_e64 s11, v4
	s_cbranch_execz .LBB10_59
; %bb.63:                               ;   in Loop: Header=BB10_61 Depth=1
	v_mov_b32_e32 v5, v2
	v_add_nc_u32_e32 v1, s20, v1
	s_mov_b32 s34, -1
	s_mov_b32 s33, exec_lo
	s_delay_alu instid0(VALU_DEP_2) | instskip(NEXT) | instid1(VALU_DEP_1)
	v_lshlrev_b64 v[4:5], 3, v[4:5]
	v_add_co_u32 v19, vcc_lo, s18, v4
	s_delay_alu instid0(VALU_DEP_2)
	v_add_co_ci_u32_e32 v20, vcc_lo, s19, v5, vcc_lo
	v_add_co_u32 v4, vcc_lo, s9, v4
	v_add_co_ci_u32_e32 v5, vcc_lo, s10, v5, vcc_lo
	global_load_b64 v[19:20], v[19:20], off
	global_load_b64 v[4:5], v[4:5], off
	s_waitcnt vmcnt(1)
	v_lshrrev_b32_e32 v21, 16, v19
	s_waitcnt vmcnt(0)
	v_fma_mixlo_f16 v22, v9, v4, 0 op_sel_hi:[0,1,0]
	v_fma_mixlo_f16 v4, v9, v4, 0 op_sel:[0,1,0] op_sel_hi:[0,1,0]
	v_lshrrev_b32_e32 v23, 16, v20
	v_fma_mixlo_f16 v24, v9, v5, 0 op_sel_hi:[0,1,0]
	v_fma_mixlo_f16 v5, v9, v5, 0 op_sel:[0,1,0] op_sel_hi:[0,1,0]
	v_mul_f16_e32 v19, v19, v22
	v_mul_f16_e32 v4, v21, v4
	s_delay_alu instid0(VALU_DEP_4) | instskip(NEXT) | instid1(VALU_DEP_4)
	v_mul_f16_e32 v20, v20, v24
	v_mul_f16_e32 v5, v23, v5
	s_delay_alu instid0(VALU_DEP_4) | instskip(NEXT) | instid1(VALU_DEP_4)
	v_cvt_f32_f16_e64 v19, |v19|
	v_cvt_f32_f16_e64 v4, |v4|
	s_delay_alu instid0(VALU_DEP_4) | instskip(NEXT) | instid1(VALU_DEP_4)
	v_cvt_f32_f16_e64 v20, |v20|
	v_cvt_f32_f16_e64 v5, |v5|
	s_delay_alu instid0(VALU_DEP_3) | instskip(NEXT) | instid1(VALU_DEP_1)
	v_max3_f32 v4, v18, v19, v4
	v_max3_f32 v18, v4, v20, v5
	v_cmpx_gt_u32_e64 s11, v1
	s_xor_b32 s33, exec_lo, s33
	s_cbranch_execz .LBB10_58
; %bb.64:                               ;   in Loop: Header=BB10_61 Depth=1
	v_lshlrev_b64 v[4:5], 3, v[1:2]
	s_delay_alu instid0(VALU_DEP_1) | instskip(NEXT) | instid1(VALU_DEP_2)
	v_add_co_u32 v19, vcc_lo, s18, v4
	v_add_co_ci_u32_e32 v20, vcc_lo, s19, v5, vcc_lo
	v_add_co_u32 v4, vcc_lo, s9, v4
	v_add_co_ci_u32_e32 v5, vcc_lo, s10, v5, vcc_lo
	global_load_b64 v[19:20], v[19:20], off
	global_load_b64 v[4:5], v[4:5], off
	s_waitcnt vmcnt(1)
	v_lshrrev_b32_e32 v1, 16, v19
	s_waitcnt vmcnt(0)
	v_fma_mixlo_f16 v21, v9, v4, 0 op_sel_hi:[0,1,0]
	v_fma_mixlo_f16 v4, v9, v4, 0 op_sel:[0,1,0] op_sel_hi:[0,1,0]
	v_lshrrev_b32_e32 v22, 16, v20
	v_fma_mixlo_f16 v23, v9, v5, 0 op_sel_hi:[0,1,0]
	s_delay_alu instid0(VALU_DEP_4) | instskip(NEXT) | instid1(VALU_DEP_4)
	v_mul_f16_e32 v19, v19, v21
	v_mul_f16_e32 v1, v1, v4
	v_fma_mixlo_f16 v4, v9, v5, 0 op_sel:[0,1,0] op_sel_hi:[0,1,0]
	s_delay_alu instid0(VALU_DEP_4) | instskip(NEXT) | instid1(VALU_DEP_4)
	v_mul_f16_e32 v5, v20, v23
	v_cvt_f32_f16_e64 v19, |v19|
	s_delay_alu instid0(VALU_DEP_4) | instskip(NEXT) | instid1(VALU_DEP_4)
	v_cvt_f32_f16_e64 v20, |v1|
	v_mul_f16_e32 v4, v22, v4
	v_add3_u32 v1, s28, s16, v3
	v_cvt_f32_f16_e64 v3, |v5|
	s_delay_alu instid0(VALU_DEP_4) | instskip(NEXT) | instid1(VALU_DEP_4)
	v_max3_f32 v5, v18, v19, v20
	v_cvt_f32_f16_e64 v4, |v4|
	s_delay_alu instid0(VALU_DEP_4) | instskip(NEXT) | instid1(VALU_DEP_2)
	v_cmp_le_u32_e32 vcc_lo, s11, v1
	v_max3_f32 v18, v5, v3, v4
	s_or_not1_b32 s34, vcc_lo, exec_lo
	s_branch .LBB10_58
.LBB10_65:
	s_or_b32 exec_lo, exec_lo, s22
.LBB10_66:
	s_delay_alu instid0(SALU_CYCLE_1) | instskip(SKIP_4) | instid1(VALU_DEP_1)
	s_or_b32 exec_lo, exec_lo, s17
	ds_bpermute_b32 v1, v7, v18
	s_waitcnt lgkmcnt(0)
	v_cmp_lt_f32_e32 vcc_lo, v18, v1
	v_cndmask_b32_e32 v1, v18, v1, vcc_lo
	v_cndmask_b32_e64 v1, v18, v1, s0
	s_or_b32 s0, s0, s1
	s_delay_alu instid0(SALU_CYCLE_1) | instskip(NEXT) | instid1(SALU_CYCLE_1)
	s_or_b32 s0, s3, s0
	s_or_b32 s0, s5, s0
	ds_bpermute_b32 v2, v10, v1
	s_waitcnt lgkmcnt(0)
	v_cmp_lt_f32_e32 vcc_lo, v1, v2
	v_cndmask_b32_e32 v2, v1, v2, vcc_lo
	s_delay_alu instid0(VALU_DEP_1) | instskip(SKIP_4) | instid1(VALU_DEP_1)
	v_cndmask_b32_e64 v1, v1, v2, s1
	ds_bpermute_b32 v2, v11, v1
	s_waitcnt lgkmcnt(0)
	v_cmp_lt_f32_e32 vcc_lo, v1, v2
	v_cndmask_b32_e32 v2, v1, v2, vcc_lo
	v_cndmask_b32_e64 v1, v1, v2, s3
	ds_bpermute_b32 v2, v13, v1
	s_waitcnt lgkmcnt(0)
	v_cmp_lt_f32_e32 vcc_lo, v1, v2
	v_cndmask_b32_e32 v2, v1, v2, vcc_lo
	s_delay_alu instid0(VALU_DEP_1)
	v_cndmask_b32_e64 v1, v1, v2, s5
	ds_bpermute_b32 v2, v15, v1
	s_waitcnt lgkmcnt(0)
	v_cmp_lt_f32_e32 vcc_lo, v1, v2
	s_and_b32 vcc_lo, s8, vcc_lo
	v_cndmask_b32_e32 v1, v1, v2, vcc_lo
	s_or_b32 vcc_lo, s8, s0
	s_delay_alu instid0(VALU_DEP_1)
	v_cndmask_b32_e32 v1, v18, v1, vcc_lo
	s_and_saveexec_b32 s0, s6
	s_cbranch_execz .LBB10_68
; %bb.67:
	v_lshrrev_b32_e32 v2, 3, v0
	s_delay_alu instid0(VALU_DEP_1)
	v_and_b32_e32 v2, 0x7c, v2
	ds_store_b32 v2, v1 offset:128
.LBB10_68:
	s_or_b32 exec_lo, exec_lo, s0
	s_waitcnt lgkmcnt(0)
	s_barrier
	buffer_gl0_inv
	s_and_saveexec_b32 s8, s7
	s_cbranch_execz .LBB10_70
; %bb.69:
	v_lshlrev_b32_e32 v1, 2, v6
	s_add_i32 s0, s16, 31
	s_delay_alu instid0(SALU_CYCLE_1)
	s_lshr_b32 s5, s0, 5
	ds_load_b32 v1, v1 offset:128
	s_waitcnt lgkmcnt(0)
	ds_bpermute_b32 v2, v7, v1
	s_waitcnt lgkmcnt(0)
	v_cmp_lt_f32_e32 vcc_lo, v1, v2
	v_cndmask_b32_e32 v2, v1, v2, vcc_lo
	v_cmp_gt_u32_e32 vcc_lo, s5, v8
	s_delay_alu instid0(VALU_DEP_2) | instskip(SKIP_3) | instid1(VALU_DEP_1)
	v_cndmask_b32_e32 v2, v1, v2, vcc_lo
	ds_bpermute_b32 v3, v10, v2
	s_waitcnt lgkmcnt(0)
	v_cmp_lt_f32_e64 s0, v2, v3
	v_cndmask_b32_e64 v3, v2, v3, s0
	v_cmp_gt_u32_e64 s0, s5, v12
	s_delay_alu instid0(VALU_DEP_1) | instskip(SKIP_4) | instid1(VALU_DEP_1)
	v_cndmask_b32_e64 v2, v2, v3, s0
	s_or_b32 s0, vcc_lo, s0
	ds_bpermute_b32 v3, v11, v2
	s_waitcnt lgkmcnt(0)
	v_cmp_lt_f32_e64 s1, v2, v3
	v_cndmask_b32_e64 v3, v2, v3, s1
	v_cmp_gt_u32_e64 s1, s5, v14
	s_delay_alu instid0(VALU_DEP_1) | instskip(SKIP_4) | instid1(VALU_DEP_1)
	v_cndmask_b32_e64 v2, v2, v3, s1
	s_or_b32 s0, s1, s0
	ds_bpermute_b32 v3, v13, v2
	s_waitcnt lgkmcnt(0)
	v_cmp_lt_f32_e64 s3, v2, v3
	v_cndmask_b32_e64 v3, v2, v3, s3
	v_cmp_gt_u32_e64 s3, s5, v16
	v_cmp_gt_u32_e64 s5, s5, v17
	s_delay_alu instid0(VALU_DEP_2) | instskip(SKIP_4) | instid1(VALU_DEP_1)
	v_cndmask_b32_e64 v2, v2, v3, s3
	s_or_b32 s0, s3, s0
	ds_bpermute_b32 v3, v15, v2
	s_waitcnt lgkmcnt(0)
	v_cmp_lt_f32_e64 s6, v2, v3
	s_and_b32 vcc_lo, s5, s6
	v_cndmask_b32_e32 v2, v2, v3, vcc_lo
	s_or_b32 vcc_lo, s5, s0
	s_delay_alu instid0(VALU_DEP_1)
	v_cndmask_b32_e32 v1, v1, v2, vcc_lo
.LBB10_70:
	s_or_b32 exec_lo, exec_lo, s8
	s_and_saveexec_b32 s0, s4
	s_cbranch_execz .LBB10_74
; %bb.71:
	s_cmp_eq_u64 s[26:27], 0
	s_cbranch_scc1 .LBB10_73
; %bb.72:
	s_load_b32 s1, s[26:27], 0x0
	v_max_f32_e32 v1, v1, v1
	s_waitcnt lgkmcnt(0)
	v_max_f32_e64 v2, s1, s1
	s_delay_alu instid0(VALU_DEP_1)
	v_min_f32_e32 v1, v1, v2
.LBB10_73:
	s_delay_alu instid0(VALU_DEP_1) | instskip(SKIP_2) | instid1(VALU_DEP_2)
	v_div_scale_f32 v2, null, 0x43600000, 0x43600000, v1
	v_div_scale_f32 v5, vcc_lo, v1, 0x43600000, v1
	s_lshl_b64 s[4:5], s[24:25], 2
	v_rcp_f32_e32 v3, v2
	s_add_u32 s4, s14, s4
	s_addc_u32 s5, s15, s5
	s_waitcnt_depctr 0xfff
	v_fma_f32 v4, -v2, v3, 1.0
	s_delay_alu instid0(VALU_DEP_1) | instskip(NEXT) | instid1(VALU_DEP_1)
	v_fmac_f32_e32 v3, v4, v3
	v_mul_f32_e32 v4, v5, v3
	s_delay_alu instid0(VALU_DEP_1) | instskip(NEXT) | instid1(VALU_DEP_1)
	v_fma_f32 v6, -v2, v4, v5
	v_fmac_f32_e32 v4, v6, v3
	s_delay_alu instid0(VALU_DEP_1) | instskip(NEXT) | instid1(VALU_DEP_1)
	v_fma_f32 v2, -v2, v4, v5
	v_div_fmas_f32 v2, v2, v3, v4
	s_delay_alu instid0(VALU_DEP_1) | instskip(NEXT) | instid1(VALU_DEP_1)
	v_div_fixup_f32 v1, v2, 0x43600000, v1
	v_dual_mov_b32 v2, 0 :: v_dual_max_f32 v1, 0x37124925, v1
	ds_store_b32 v2, v1 offset:516
	global_store_b32 v2, v1, s[4:5]
.LBB10_74:
	s_or_b32 exec_lo, exec_lo, s0
	s_waitcnt lgkmcnt(0)
	s_waitcnt_vscnt null, 0x0
	s_barrier
	buffer_gl0_inv
	s_and_saveexec_b32 s0, s2
	s_cbranch_execz .LBB10_211
; %bb.75:
	v_mov_b32_e32 v1, 0
	s_ashr_i32 s0, s21, 31
	s_mul_hi_u32 s1, s21, s24
	s_mul_i32 s0, s0, s24
	s_mul_i32 s2, s21, s24
	ds_load_b32 v10, v1 offset:516
	s_add_i32 s1, s1, s0
	s_add_u32 s0, s12, s2
	s_addc_u32 s1, s13, s1
	s_mul_i32 s2, s16, 3
	s_lshl_b32 s3, s16, 1
	s_mov_b32 s4, 0
	s_mov_b32 s5, 0x43600000
	s_branch .LBB10_81
.LBB10_76:                              ;   in Loop: Header=BB10_81 Depth=1
	s_or_b32 exec_lo, exec_lo, s14
.LBB10_77:                              ;   in Loop: Header=BB10_81 Depth=1
	s_delay_alu instid0(SALU_CYCLE_1)
	s_or_b32 exec_lo, exec_lo, s12
	v_lshlrev_b32_e32 v6, 16, v5
	v_lshlrev_b64 v[4:5], 2, v[0:1]
	v_lshlrev_b32_e32 v8, 8, v8
	s_add_i32 s12, s16, s16
	v_and_b32_e32 v7, 0xff, v7
	v_add3_u32 v0, s12, s16, v2
	v_perm_b32 v6, v3, v6, 0x4020c0c
	v_and_b32_e32 v8, 0xff00, v8
	v_add_co_u32 v2, vcc_lo, s0, v4
	v_add_co_ci_u32_e32 v3, vcc_lo, s1, v5, vcc_lo
	v_cmp_le_u32_e32 vcc_lo, s11, v0
	s_delay_alu instid0(VALU_DEP_4)
	v_or3_b32 v4, v6, v8, v7
	s_or_not1_b32 s12, vcc_lo, exec_lo
	global_store_b32 v[2:3], v4, off
.LBB10_78:                              ;   in Loop: Header=BB10_81 Depth=1
	s_or_b32 exec_lo, exec_lo, s8
	s_delay_alu instid0(SALU_CYCLE_1)
	s_or_not1_b32 s8, s12, exec_lo
.LBB10_79:                              ;   in Loop: Header=BB10_81 Depth=1
	s_or_b32 exec_lo, exec_lo, s7
	s_delay_alu instid0(SALU_CYCLE_1)
	s_or_not1_b32 s7, s8, exec_lo
.LBB10_80:                              ;   in Loop: Header=BB10_81 Depth=1
	s_or_b32 exec_lo, exec_lo, s6
	s_delay_alu instid0(SALU_CYCLE_1) | instskip(NEXT) | instid1(SALU_CYCLE_1)
	s_and_b32 s6, exec_lo, s7
	s_or_b32 s4, s6, s4
	s_delay_alu instid0(SALU_CYCLE_1)
	s_and_not1_b32 exec_lo, exec_lo, s4
	s_cbranch_execz .LBB10_211
.LBB10_81:                              ; =>This Inner Loop Header: Depth=1
	v_lshlrev_b64 v[2:3], 3, v[0:1]
	s_mov_b32 s6, exec_lo
	s_delay_alu instid0(VALU_DEP_1) | instskip(NEXT) | instid1(VALU_DEP_2)
	v_add_co_u32 v4, vcc_lo, s9, v2
	v_add_co_ci_u32_e32 v5, vcc_lo, s10, v3, vcc_lo
	v_add_co_u32 v6, vcc_lo, s18, v2
	v_add_co_ci_u32_e32 v7, vcc_lo, s19, v3, vcc_lo
	global_load_b64 v[2:3], v[4:5], off
	global_load_b64 v[4:5], v[6:7], off
	s_waitcnt vmcnt(1)
	v_fma_mixlo_f16 v6, v9, v2, 0 op_sel_hi:[0,1,0]
	s_waitcnt vmcnt(0)
	s_delay_alu instid0(VALU_DEP_1) | instskip(NEXT) | instid1(VALU_DEP_1)
	v_mul_f16_e32 v6, v4, v6
	v_cvt_f32_f16_e32 v6, v6
	s_waitcnt lgkmcnt(0)
	s_delay_alu instid0(VALU_DEP_1) | instskip(SKIP_1) | instid1(VALU_DEP_2)
	v_div_scale_f32 v7, null, v10, v10, v6
	v_div_scale_f32 v12, vcc_lo, v6, v10, v6
	v_rcp_f32_e32 v8, v7
	s_waitcnt_depctr 0xfff
	v_fma_f32 v11, -v7, v8, 1.0
	s_delay_alu instid0(VALU_DEP_1) | instskip(NEXT) | instid1(VALU_DEP_1)
	v_fmac_f32_e32 v8, v11, v8
	v_mul_f32_e32 v11, v12, v8
	s_delay_alu instid0(VALU_DEP_1) | instskip(NEXT) | instid1(VALU_DEP_1)
	v_fma_f32 v13, -v7, v11, v12
	v_fmac_f32_e32 v11, v13, v8
	s_delay_alu instid0(VALU_DEP_1) | instskip(NEXT) | instid1(VALU_DEP_1)
	v_fma_f32 v7, -v7, v11, v12
	v_div_fmas_f32 v7, v7, v8, v11
	s_delay_alu instid0(VALU_DEP_1) | instskip(SKIP_1) | instid1(VALU_DEP_2)
	v_div_fixup_f32 v6, v7, v10, v6
	v_mov_b32_e32 v7, 0x80
	v_minmax_f32 v8, v6, s5, 0xc3600000
	v_mov_b32_e32 v6, 0x80
	s_delay_alu instid0(VALU_DEP_2) | instskip(NEXT) | instid1(VALU_DEP_1)
	v_and_b32_e32 v11, 0x7fffffff, v8
	v_cmpx_gt_u32_e32 0x43800000, v11
	s_cbranch_execz .LBB10_87
; %bb.82:                               ;   in Loop: Header=BB10_81 Depth=1
	v_cmp_lt_u32_e32 vcc_lo, 0x3bffffff, v11
	s_mov_b32 s7, 0
                                        ; implicit-def: $vgpr11
	s_and_saveexec_b32 s8, vcc_lo
	s_delay_alu instid0(SALU_CYCLE_1)
	s_xor_b32 s8, exec_lo, s8
	s_cbranch_execnz .LBB10_178
; %bb.83:                               ;   in Loop: Header=BB10_81 Depth=1
	s_or_saveexec_b32 s8, s8
                                        ; implicit-def: $sgpr12
	s_delay_alu instid0(SALU_CYCLE_1)
	s_xor_b32 exec_lo, exec_lo, s8
	s_cbranch_execnz .LBB10_179
.LBB10_84:                              ;   in Loop: Header=BB10_81 Depth=1
	s_or_b32 exec_lo, exec_lo, s8
	v_mov_b32_e32 v7, s12
	s_and_saveexec_b32 s8, s7
.LBB10_85:                              ;   in Loop: Header=BB10_81 Depth=1
	v_lshrrev_b32_e32 v7, 24, v8
	s_delay_alu instid0(VALU_DEP_1)
	v_and_or_b32 v7, 0x80, v7, v11
.LBB10_86:                              ;   in Loop: Header=BB10_81 Depth=1
	s_or_b32 exec_lo, exec_lo, s8
.LBB10_87:                              ;   in Loop: Header=BB10_81 Depth=1
	s_delay_alu instid0(SALU_CYCLE_1) | instskip(SKIP_3) | instid1(VALU_DEP_1)
	s_or_b32 exec_lo, exec_lo, s6
	v_lshrrev_b32_e32 v4, 16, v4
	v_fma_mixlo_f16 v2, v9, v2, 0 op_sel:[0,1,0] op_sel_hi:[0,1,0]
	s_mov_b32 s6, exec_lo
	v_mul_f16_e32 v2, v4, v2
	s_delay_alu instid0(VALU_DEP_1) | instskip(NEXT) | instid1(VALU_DEP_1)
	v_cvt_f32_f16_e32 v2, v2
	v_div_scale_f32 v4, null, v10, v10, v2
	s_delay_alu instid0(VALU_DEP_1) | instskip(SKIP_2) | instid1(VALU_DEP_1)
	v_rcp_f32_e32 v8, v4
	s_waitcnt_depctr 0xfff
	v_fma_f32 v11, -v4, v8, 1.0
	v_fmac_f32_e32 v8, v11, v8
	v_div_scale_f32 v11, vcc_lo, v2, v10, v2
	s_delay_alu instid0(VALU_DEP_1) | instskip(NEXT) | instid1(VALU_DEP_1)
	v_mul_f32_e32 v12, v11, v8
	v_fma_f32 v13, -v4, v12, v11
	s_delay_alu instid0(VALU_DEP_1) | instskip(NEXT) | instid1(VALU_DEP_1)
	v_fmac_f32_e32 v12, v13, v8
	v_fma_f32 v4, -v4, v12, v11
	s_delay_alu instid0(VALU_DEP_1) | instskip(NEXT) | instid1(VALU_DEP_1)
	v_div_fmas_f32 v4, v4, v8, v12
	v_div_fixup_f32 v2, v4, v10, v2
	s_delay_alu instid0(VALU_DEP_1) | instskip(NEXT) | instid1(VALU_DEP_1)
	v_minmax_f32 v2, v2, s5, 0xc3600000
	v_and_b32_e32 v4, 0x7fffffff, v2
	s_delay_alu instid0(VALU_DEP_1)
	v_cmpx_gt_u32_e32 0x43800000, v4
	s_cbranch_execz .LBB10_93
; %bb.88:                               ;   in Loop: Header=BB10_81 Depth=1
	v_cmp_lt_u32_e32 vcc_lo, 0x3bffffff, v4
	s_mov_b32 s7, 0
                                        ; implicit-def: $vgpr4
	s_and_saveexec_b32 s8, vcc_lo
	s_delay_alu instid0(SALU_CYCLE_1)
	s_xor_b32 s8, exec_lo, s8
	s_cbranch_execnz .LBB10_180
; %bb.89:                               ;   in Loop: Header=BB10_81 Depth=1
	s_or_saveexec_b32 s8, s8
                                        ; implicit-def: $sgpr12
	s_delay_alu instid0(SALU_CYCLE_1)
	s_xor_b32 exec_lo, exec_lo, s8
	s_cbranch_execnz .LBB10_181
.LBB10_90:                              ;   in Loop: Header=BB10_81 Depth=1
	s_or_b32 exec_lo, exec_lo, s8
	v_mov_b32_e32 v6, s12
	s_and_saveexec_b32 s8, s7
.LBB10_91:                              ;   in Loop: Header=BB10_81 Depth=1
	v_lshrrev_b32_e32 v2, 24, v2
	s_delay_alu instid0(VALU_DEP_1)
	v_and_or_b32 v6, 0x80, v2, v4
.LBB10_92:                              ;   in Loop: Header=BB10_81 Depth=1
	s_or_b32 exec_lo, exec_lo, s8
.LBB10_93:                              ;   in Loop: Header=BB10_81 Depth=1
	s_delay_alu instid0(SALU_CYCLE_1) | instskip(SKIP_2) | instid1(VALU_DEP_1)
	s_or_b32 exec_lo, exec_lo, s6
	v_fma_mixlo_f16 v2, v9, v3, 0 op_sel_hi:[0,1,0]
	s_mov_b32 s6, exec_lo
	v_mul_f16_e32 v2, v5, v2
	s_delay_alu instid0(VALU_DEP_1) | instskip(NEXT) | instid1(VALU_DEP_1)
	v_cvt_f32_f16_e32 v2, v2
	v_div_scale_f32 v4, null, v10, v10, v2
	v_div_scale_f32 v12, vcc_lo, v2, v10, v2
	s_delay_alu instid0(VALU_DEP_2) | instskip(SKIP_2) | instid1(VALU_DEP_1)
	v_rcp_f32_e32 v8, v4
	s_waitcnt_depctr 0xfff
	v_fma_f32 v11, -v4, v8, 1.0
	v_fmac_f32_e32 v8, v11, v8
	s_delay_alu instid0(VALU_DEP_1) | instskip(NEXT) | instid1(VALU_DEP_1)
	v_mul_f32_e32 v11, v12, v8
	v_fma_f32 v13, -v4, v11, v12
	s_delay_alu instid0(VALU_DEP_1) | instskip(NEXT) | instid1(VALU_DEP_1)
	v_fmac_f32_e32 v11, v13, v8
	v_fma_f32 v4, -v4, v11, v12
	s_delay_alu instid0(VALU_DEP_1) | instskip(NEXT) | instid1(VALU_DEP_1)
	v_div_fmas_f32 v4, v4, v8, v11
	v_div_fixup_f32 v2, v4, v10, v2
	v_mov_b32_e32 v4, 0x80
	s_delay_alu instid0(VALU_DEP_2) | instskip(SKIP_1) | instid1(VALU_DEP_2)
	v_minmax_f32 v8, v2, s5, 0xc3600000
	v_mov_b32_e32 v2, 0x80
	v_and_b32_e32 v11, 0x7fffffff, v8
	s_delay_alu instid0(VALU_DEP_1)
	v_cmpx_gt_u32_e32 0x43800000, v11
	s_cbranch_execz .LBB10_99
; %bb.94:                               ;   in Loop: Header=BB10_81 Depth=1
	v_cmp_lt_u32_e32 vcc_lo, 0x3bffffff, v11
	s_mov_b32 s7, 0
                                        ; implicit-def: $vgpr11
	s_and_saveexec_b32 s8, vcc_lo
	s_delay_alu instid0(SALU_CYCLE_1)
	s_xor_b32 s8, exec_lo, s8
	s_cbranch_execnz .LBB10_182
; %bb.95:                               ;   in Loop: Header=BB10_81 Depth=1
	s_or_saveexec_b32 s8, s8
                                        ; implicit-def: $sgpr12
	s_delay_alu instid0(SALU_CYCLE_1)
	s_xor_b32 exec_lo, exec_lo, s8
	s_cbranch_execnz .LBB10_183
.LBB10_96:                              ;   in Loop: Header=BB10_81 Depth=1
	s_or_b32 exec_lo, exec_lo, s8
	v_mov_b32_e32 v4, s12
	s_and_saveexec_b32 s8, s7
.LBB10_97:                              ;   in Loop: Header=BB10_81 Depth=1
	v_lshrrev_b32_e32 v4, 24, v8
	s_delay_alu instid0(VALU_DEP_1)
	v_and_or_b32 v4, 0x80, v4, v11
.LBB10_98:                              ;   in Loop: Header=BB10_81 Depth=1
	s_or_b32 exec_lo, exec_lo, s8
.LBB10_99:                              ;   in Loop: Header=BB10_81 Depth=1
	s_delay_alu instid0(SALU_CYCLE_1) | instskip(SKIP_3) | instid1(VALU_DEP_1)
	s_or_b32 exec_lo, exec_lo, s6
	v_lshrrev_b32_e32 v5, 16, v5
	v_fma_mixlo_f16 v3, v9, v3, 0 op_sel:[0,1,0] op_sel_hi:[0,1,0]
	s_mov_b32 s6, exec_lo
	v_mul_f16_e32 v3, v5, v3
	s_delay_alu instid0(VALU_DEP_1) | instskip(NEXT) | instid1(VALU_DEP_1)
	v_cvt_f32_f16_e32 v3, v3
	v_div_scale_f32 v5, null, v10, v10, v3
	s_delay_alu instid0(VALU_DEP_1) | instskip(SKIP_2) | instid1(VALU_DEP_1)
	v_rcp_f32_e32 v8, v5
	s_waitcnt_depctr 0xfff
	v_fma_f32 v11, -v5, v8, 1.0
	v_fmac_f32_e32 v8, v11, v8
	v_div_scale_f32 v11, vcc_lo, v3, v10, v3
	s_delay_alu instid0(VALU_DEP_1) | instskip(NEXT) | instid1(VALU_DEP_1)
	v_mul_f32_e32 v12, v11, v8
	v_fma_f32 v13, -v5, v12, v11
	s_delay_alu instid0(VALU_DEP_1) | instskip(NEXT) | instid1(VALU_DEP_1)
	v_fmac_f32_e32 v12, v13, v8
	v_fma_f32 v5, -v5, v12, v11
	s_delay_alu instid0(VALU_DEP_1) | instskip(NEXT) | instid1(VALU_DEP_1)
	v_div_fmas_f32 v5, v5, v8, v12
	v_div_fixup_f32 v3, v5, v10, v3
	s_delay_alu instid0(VALU_DEP_1) | instskip(NEXT) | instid1(VALU_DEP_1)
	v_minmax_f32 v3, v3, s5, 0xc3600000
	v_and_b32_e32 v5, 0x7fffffff, v3
	s_delay_alu instid0(VALU_DEP_1)
	v_cmpx_gt_u32_e32 0x43800000, v5
	s_cbranch_execz .LBB10_105
; %bb.100:                              ;   in Loop: Header=BB10_81 Depth=1
	v_cmp_lt_u32_e32 vcc_lo, 0x3bffffff, v5
	s_mov_b32 s7, 0
                                        ; implicit-def: $vgpr5
	s_and_saveexec_b32 s8, vcc_lo
	s_delay_alu instid0(SALU_CYCLE_1)
	s_xor_b32 s8, exec_lo, s8
	s_cbranch_execnz .LBB10_184
; %bb.101:                              ;   in Loop: Header=BB10_81 Depth=1
	s_or_saveexec_b32 s8, s8
                                        ; implicit-def: $sgpr12
	s_delay_alu instid0(SALU_CYCLE_1)
	s_xor_b32 exec_lo, exec_lo, s8
	s_cbranch_execnz .LBB10_185
.LBB10_102:                             ;   in Loop: Header=BB10_81 Depth=1
	s_or_b32 exec_lo, exec_lo, s8
	v_mov_b32_e32 v2, s12
	s_and_saveexec_b32 s8, s7
.LBB10_103:                             ;   in Loop: Header=BB10_81 Depth=1
	v_lshrrev_b32_e32 v2, 24, v3
	s_delay_alu instid0(VALU_DEP_1)
	v_and_or_b32 v2, 0x80, v2, v5
.LBB10_104:                             ;   in Loop: Header=BB10_81 Depth=1
	s_or_b32 exec_lo, exec_lo, s8
.LBB10_105:                             ;   in Loop: Header=BB10_81 Depth=1
	s_delay_alu instid0(SALU_CYCLE_1)
	s_or_b32 exec_lo, exec_lo, s6
	v_lshlrev_b32_e32 v5, 16, v4
	v_lshlrev_b32_e32 v6, 8, v6
	v_lshlrev_b64 v[3:4], 2, v[0:1]
	v_and_b32_e32 v7, 0xff, v7
	s_mov_b32 s7, -1
	v_perm_b32 v5, v2, v5, 0x4020c0c
	v_and_b32_e32 v6, 0xff00, v6
	v_add_nc_u32_e32 v2, s16, v0
	v_add_co_u32 v3, vcc_lo, s0, v3
	v_add_co_ci_u32_e32 v4, vcc_lo, s1, v4, vcc_lo
	s_delay_alu instid0(VALU_DEP_4)
	v_or3_b32 v5, v5, v6, v7
	s_mov_b32 s6, exec_lo
	global_store_b32 v[3:4], v5, off
	v_cmpx_gt_u32_e64 s11, v2
	s_cbranch_execz .LBB10_80
; %bb.106:                              ;   in Loop: Header=BB10_81 Depth=1
	v_mov_b32_e32 v3, v1
	s_mov_b32 s7, exec_lo
	s_delay_alu instid0(VALU_DEP_1) | instskip(NEXT) | instid1(VALU_DEP_1)
	v_lshlrev_b64 v[4:5], 3, v[2:3]
	v_add_co_u32 v6, vcc_lo, s9, v4
	s_delay_alu instid0(VALU_DEP_2)
	v_add_co_ci_u32_e32 v7, vcc_lo, s10, v5, vcc_lo
	v_add_co_u32 v11, vcc_lo, s18, v4
	v_add_co_ci_u32_e32 v12, vcc_lo, s19, v5, vcc_lo
	global_load_b64 v[4:5], v[6:7], off
	global_load_b64 v[6:7], v[11:12], off
	s_waitcnt vmcnt(1)
	v_fma_mixlo_f16 v8, v9, v4, 0 op_sel_hi:[0,1,0]
	s_waitcnt vmcnt(0)
	s_delay_alu instid0(VALU_DEP_1) | instskip(NEXT) | instid1(VALU_DEP_1)
	v_mul_f16_e32 v8, v6, v8
	v_cvt_f32_f16_e32 v8, v8
	s_delay_alu instid0(VALU_DEP_1) | instskip(SKIP_1) | instid1(VALU_DEP_2)
	v_div_scale_f32 v11, null, v10, v10, v8
	v_div_scale_f32 v14, vcc_lo, v8, v10, v8
	v_rcp_f32_e32 v12, v11
	s_waitcnt_depctr 0xfff
	v_fma_f32 v13, -v11, v12, 1.0
	s_delay_alu instid0(VALU_DEP_1) | instskip(NEXT) | instid1(VALU_DEP_1)
	v_fmac_f32_e32 v12, v13, v12
	v_mul_f32_e32 v13, v14, v12
	s_delay_alu instid0(VALU_DEP_1) | instskip(NEXT) | instid1(VALU_DEP_1)
	v_fma_f32 v15, -v11, v13, v14
	v_fmac_f32_e32 v13, v15, v12
	s_delay_alu instid0(VALU_DEP_1) | instskip(NEXT) | instid1(VALU_DEP_1)
	v_fma_f32 v11, -v11, v13, v14
	v_div_fmas_f32 v11, v11, v12, v13
	s_delay_alu instid0(VALU_DEP_1) | instskip(SKIP_1) | instid1(VALU_DEP_2)
	v_div_fixup_f32 v8, v11, v10, v8
	v_mov_b32_e32 v11, 0x80
	v_minmax_f32 v12, v8, s5, 0xc3600000
	v_mov_b32_e32 v8, 0x80
	s_delay_alu instid0(VALU_DEP_2) | instskip(NEXT) | instid1(VALU_DEP_1)
	v_and_b32_e32 v13, 0x7fffffff, v12
	v_cmpx_gt_u32_e32 0x43800000, v13
	s_cbranch_execz .LBB10_112
; %bb.107:                              ;   in Loop: Header=BB10_81 Depth=1
	v_cmp_lt_u32_e32 vcc_lo, 0x3bffffff, v13
	s_mov_b32 s8, 0
                                        ; implicit-def: $vgpr13
	s_and_saveexec_b32 s12, vcc_lo
	s_delay_alu instid0(SALU_CYCLE_1)
	s_xor_b32 s12, exec_lo, s12
	s_cbranch_execnz .LBB10_186
; %bb.108:                              ;   in Loop: Header=BB10_81 Depth=1
	s_or_saveexec_b32 s12, s12
                                        ; implicit-def: $sgpr13
	s_delay_alu instid0(SALU_CYCLE_1)
	s_xor_b32 exec_lo, exec_lo, s12
	s_cbranch_execnz .LBB10_187
.LBB10_109:                             ;   in Loop: Header=BB10_81 Depth=1
	s_or_b32 exec_lo, exec_lo, s12
	v_mov_b32_e32 v8, s13
	s_and_saveexec_b32 s12, s8
.LBB10_110:                             ;   in Loop: Header=BB10_81 Depth=1
	v_lshrrev_b32_e32 v8, 24, v12
	s_delay_alu instid0(VALU_DEP_1)
	v_and_or_b32 v8, 0x80, v8, v13
.LBB10_111:                             ;   in Loop: Header=BB10_81 Depth=1
	s_or_b32 exec_lo, exec_lo, s12
.LBB10_112:                             ;   in Loop: Header=BB10_81 Depth=1
	s_delay_alu instid0(SALU_CYCLE_1) | instskip(SKIP_3) | instid1(VALU_DEP_1)
	s_or_b32 exec_lo, exec_lo, s7
	v_lshrrev_b32_e32 v6, 16, v6
	v_fma_mixlo_f16 v4, v9, v4, 0 op_sel:[0,1,0] op_sel_hi:[0,1,0]
	s_mov_b32 s7, exec_lo
	v_mul_f16_e32 v4, v6, v4
	s_delay_alu instid0(VALU_DEP_1) | instskip(NEXT) | instid1(VALU_DEP_1)
	v_cvt_f32_f16_e32 v4, v4
	v_div_scale_f32 v6, null, v10, v10, v4
	s_delay_alu instid0(VALU_DEP_1) | instskip(SKIP_2) | instid1(VALU_DEP_1)
	v_rcp_f32_e32 v12, v6
	s_waitcnt_depctr 0xfff
	v_fma_f32 v13, -v6, v12, 1.0
	v_fmac_f32_e32 v12, v13, v12
	v_div_scale_f32 v13, vcc_lo, v4, v10, v4
	s_delay_alu instid0(VALU_DEP_1) | instskip(NEXT) | instid1(VALU_DEP_1)
	v_mul_f32_e32 v14, v13, v12
	v_fma_f32 v15, -v6, v14, v13
	s_delay_alu instid0(VALU_DEP_1) | instskip(NEXT) | instid1(VALU_DEP_1)
	v_fmac_f32_e32 v14, v15, v12
	v_fma_f32 v6, -v6, v14, v13
	s_delay_alu instid0(VALU_DEP_1) | instskip(NEXT) | instid1(VALU_DEP_1)
	v_div_fmas_f32 v6, v6, v12, v14
	v_div_fixup_f32 v4, v6, v10, v4
	s_delay_alu instid0(VALU_DEP_1) | instskip(NEXT) | instid1(VALU_DEP_1)
	v_minmax_f32 v4, v4, s5, 0xc3600000
	v_and_b32_e32 v6, 0x7fffffff, v4
	s_delay_alu instid0(VALU_DEP_1)
	v_cmpx_gt_u32_e32 0x43800000, v6
	s_cbranch_execz .LBB10_118
; %bb.113:                              ;   in Loop: Header=BB10_81 Depth=1
	v_cmp_lt_u32_e32 vcc_lo, 0x3bffffff, v6
	s_mov_b32 s8, 0
                                        ; implicit-def: $vgpr6
	s_and_saveexec_b32 s12, vcc_lo
	s_delay_alu instid0(SALU_CYCLE_1)
	s_xor_b32 s12, exec_lo, s12
	s_cbranch_execnz .LBB10_188
; %bb.114:                              ;   in Loop: Header=BB10_81 Depth=1
	s_or_saveexec_b32 s12, s12
                                        ; implicit-def: $sgpr13
	s_delay_alu instid0(SALU_CYCLE_1)
	s_xor_b32 exec_lo, exec_lo, s12
	s_cbranch_execnz .LBB10_189
.LBB10_115:                             ;   in Loop: Header=BB10_81 Depth=1
	s_or_b32 exec_lo, exec_lo, s12
	v_mov_b32_e32 v11, s13
	s_and_saveexec_b32 s12, s8
.LBB10_116:                             ;   in Loop: Header=BB10_81 Depth=1
	v_lshrrev_b32_e32 v4, 24, v4
	s_delay_alu instid0(VALU_DEP_1)
	v_and_or_b32 v11, 0x80, v4, v6
.LBB10_117:                             ;   in Loop: Header=BB10_81 Depth=1
	s_or_b32 exec_lo, exec_lo, s12
.LBB10_118:                             ;   in Loop: Header=BB10_81 Depth=1
	s_delay_alu instid0(SALU_CYCLE_1) | instskip(SKIP_2) | instid1(VALU_DEP_1)
	s_or_b32 exec_lo, exec_lo, s7
	v_fma_mixlo_f16 v4, v9, v5, 0 op_sel_hi:[0,1,0]
	s_mov_b32 s7, exec_lo
	v_mul_f16_e32 v4, v7, v4
	s_delay_alu instid0(VALU_DEP_1) | instskip(NEXT) | instid1(VALU_DEP_1)
	v_cvt_f32_f16_e32 v4, v4
	v_div_scale_f32 v6, null, v10, v10, v4
	v_div_scale_f32 v14, vcc_lo, v4, v10, v4
	s_delay_alu instid0(VALU_DEP_2) | instskip(SKIP_2) | instid1(VALU_DEP_1)
	v_rcp_f32_e32 v12, v6
	s_waitcnt_depctr 0xfff
	v_fma_f32 v13, -v6, v12, 1.0
	v_fmac_f32_e32 v12, v13, v12
	s_delay_alu instid0(VALU_DEP_1) | instskip(NEXT) | instid1(VALU_DEP_1)
	v_mul_f32_e32 v13, v14, v12
	v_fma_f32 v15, -v6, v13, v14
	s_delay_alu instid0(VALU_DEP_1) | instskip(NEXT) | instid1(VALU_DEP_1)
	v_fmac_f32_e32 v13, v15, v12
	v_fma_f32 v6, -v6, v13, v14
	s_delay_alu instid0(VALU_DEP_1) | instskip(NEXT) | instid1(VALU_DEP_1)
	v_div_fmas_f32 v6, v6, v12, v13
	v_div_fixup_f32 v4, v6, v10, v4
	v_mov_b32_e32 v6, 0x80
	s_delay_alu instid0(VALU_DEP_2) | instskip(SKIP_1) | instid1(VALU_DEP_2)
	v_minmax_f32 v12, v4, s5, 0xc3600000
	v_mov_b32_e32 v4, 0x80
	v_and_b32_e32 v13, 0x7fffffff, v12
	s_delay_alu instid0(VALU_DEP_1)
	v_cmpx_gt_u32_e32 0x43800000, v13
	s_cbranch_execz .LBB10_124
; %bb.119:                              ;   in Loop: Header=BB10_81 Depth=1
	v_cmp_lt_u32_e32 vcc_lo, 0x3bffffff, v13
	s_mov_b32 s8, 0
                                        ; implicit-def: $vgpr13
	s_and_saveexec_b32 s12, vcc_lo
	s_delay_alu instid0(SALU_CYCLE_1)
	s_xor_b32 s12, exec_lo, s12
	s_cbranch_execnz .LBB10_190
; %bb.120:                              ;   in Loop: Header=BB10_81 Depth=1
	s_or_saveexec_b32 s12, s12
                                        ; implicit-def: $sgpr13
	s_delay_alu instid0(SALU_CYCLE_1)
	s_xor_b32 exec_lo, exec_lo, s12
	s_cbranch_execnz .LBB10_191
.LBB10_121:                             ;   in Loop: Header=BB10_81 Depth=1
	s_or_b32 exec_lo, exec_lo, s12
	v_mov_b32_e32 v6, s13
	s_and_saveexec_b32 s12, s8
.LBB10_122:                             ;   in Loop: Header=BB10_81 Depth=1
	v_lshrrev_b32_e32 v6, 24, v12
	s_delay_alu instid0(VALU_DEP_1)
	v_and_or_b32 v6, 0x80, v6, v13
.LBB10_123:                             ;   in Loop: Header=BB10_81 Depth=1
	s_or_b32 exec_lo, exec_lo, s12
.LBB10_124:                             ;   in Loop: Header=BB10_81 Depth=1
	s_delay_alu instid0(SALU_CYCLE_1) | instskip(SKIP_3) | instid1(VALU_DEP_1)
	s_or_b32 exec_lo, exec_lo, s7
	v_lshrrev_b32_e32 v7, 16, v7
	v_fma_mixlo_f16 v5, v9, v5, 0 op_sel:[0,1,0] op_sel_hi:[0,1,0]
	s_mov_b32 s7, exec_lo
	v_mul_f16_e32 v5, v7, v5
	s_delay_alu instid0(VALU_DEP_1) | instskip(NEXT) | instid1(VALU_DEP_1)
	v_cvt_f32_f16_e32 v5, v5
	v_div_scale_f32 v7, null, v10, v10, v5
	s_delay_alu instid0(VALU_DEP_1) | instskip(SKIP_2) | instid1(VALU_DEP_1)
	v_rcp_f32_e32 v12, v7
	s_waitcnt_depctr 0xfff
	v_fma_f32 v13, -v7, v12, 1.0
	v_fmac_f32_e32 v12, v13, v12
	v_div_scale_f32 v13, vcc_lo, v5, v10, v5
	s_delay_alu instid0(VALU_DEP_1) | instskip(NEXT) | instid1(VALU_DEP_1)
	v_mul_f32_e32 v14, v13, v12
	v_fma_f32 v15, -v7, v14, v13
	s_delay_alu instid0(VALU_DEP_1) | instskip(NEXT) | instid1(VALU_DEP_1)
	v_fmac_f32_e32 v14, v15, v12
	v_fma_f32 v7, -v7, v14, v13
	s_delay_alu instid0(VALU_DEP_1) | instskip(NEXT) | instid1(VALU_DEP_1)
	v_div_fmas_f32 v7, v7, v12, v14
	v_div_fixup_f32 v5, v7, v10, v5
	s_delay_alu instid0(VALU_DEP_1) | instskip(NEXT) | instid1(VALU_DEP_1)
	v_minmax_f32 v5, v5, s5, 0xc3600000
	v_and_b32_e32 v7, 0x7fffffff, v5
	s_delay_alu instid0(VALU_DEP_1)
	v_cmpx_gt_u32_e32 0x43800000, v7
	s_cbranch_execz .LBB10_130
; %bb.125:                              ;   in Loop: Header=BB10_81 Depth=1
	v_cmp_lt_u32_e32 vcc_lo, 0x3bffffff, v7
	s_mov_b32 s8, 0
                                        ; implicit-def: $vgpr7
	s_and_saveexec_b32 s12, vcc_lo
	s_delay_alu instid0(SALU_CYCLE_1)
	s_xor_b32 s12, exec_lo, s12
	s_cbranch_execnz .LBB10_192
; %bb.126:                              ;   in Loop: Header=BB10_81 Depth=1
	s_or_saveexec_b32 s12, s12
                                        ; implicit-def: $sgpr13
	s_delay_alu instid0(SALU_CYCLE_1)
	s_xor_b32 exec_lo, exec_lo, s12
	s_cbranch_execnz .LBB10_193
.LBB10_127:                             ;   in Loop: Header=BB10_81 Depth=1
	s_or_b32 exec_lo, exec_lo, s12
	v_mov_b32_e32 v4, s13
	s_and_saveexec_b32 s12, s8
.LBB10_128:                             ;   in Loop: Header=BB10_81 Depth=1
	v_lshrrev_b32_e32 v4, 24, v5
	s_delay_alu instid0(VALU_DEP_1)
	v_and_or_b32 v4, 0x80, v4, v7
.LBB10_129:                             ;   in Loop: Header=BB10_81 Depth=1
	s_or_b32 exec_lo, exec_lo, s12
.LBB10_130:                             ;   in Loop: Header=BB10_81 Depth=1
	s_delay_alu instid0(SALU_CYCLE_1)
	s_or_b32 exec_lo, exec_lo, s7
	v_lshlrev_b32_e32 v7, 16, v6
	v_lshlrev_b32_e32 v11, 8, v11
	v_lshlrev_b64 v[5:6], 2, v[2:3]
	v_and_b32_e32 v8, 0xff, v8
	v_add_nc_u32_e32 v3, s3, v0
	v_perm_b32 v7, v4, v7, 0x4020c0c
	v_and_b32_e32 v11, 0xff00, v11
	s_mov_b32 s8, -1
	v_add_co_u32 v4, vcc_lo, s0, v5
	v_add_co_ci_u32_e32 v5, vcc_lo, s1, v6, vcc_lo
	s_delay_alu instid0(VALU_DEP_3)
	v_or3_b32 v6, v7, v11, v8
	s_mov_b32 s7, exec_lo
	global_store_b32 v[4:5], v6, off
	v_cmpx_gt_u32_e64 s11, v3
	s_cbranch_execz .LBB10_79
; %bb.131:                              ;   in Loop: Header=BB10_81 Depth=1
	v_mov_b32_e32 v4, v1
	s_mov_b32 s8, exec_lo
	s_delay_alu instid0(VALU_DEP_1) | instskip(NEXT) | instid1(VALU_DEP_1)
	v_lshlrev_b64 v[5:6], 3, v[3:4]
	v_add_co_u32 v7, vcc_lo, s9, v5
	s_delay_alu instid0(VALU_DEP_2)
	v_add_co_ci_u32_e32 v8, vcc_lo, s10, v6, vcc_lo
	v_add_co_u32 v11, vcc_lo, s18, v5
	v_add_co_ci_u32_e32 v12, vcc_lo, s19, v6, vcc_lo
	global_load_b64 v[5:6], v[7:8], off
	global_load_b64 v[7:8], v[11:12], off
	s_waitcnt vmcnt(1)
	v_fma_mixlo_f16 v11, v9, v5, 0 op_sel_hi:[0,1,0]
	s_waitcnt vmcnt(0)
	s_delay_alu instid0(VALU_DEP_1) | instskip(NEXT) | instid1(VALU_DEP_1)
	v_mul_f16_e32 v11, v7, v11
	v_cvt_f32_f16_e32 v11, v11
	s_delay_alu instid0(VALU_DEP_1) | instskip(SKIP_1) | instid1(VALU_DEP_2)
	v_div_scale_f32 v12, null, v10, v10, v11
	v_div_scale_f32 v15, vcc_lo, v11, v10, v11
	v_rcp_f32_e32 v13, v12
	s_waitcnt_depctr 0xfff
	v_fma_f32 v14, -v12, v13, 1.0
	s_delay_alu instid0(VALU_DEP_1) | instskip(NEXT) | instid1(VALU_DEP_1)
	v_fmac_f32_e32 v13, v14, v13
	v_mul_f32_e32 v14, v15, v13
	s_delay_alu instid0(VALU_DEP_1) | instskip(NEXT) | instid1(VALU_DEP_1)
	v_fma_f32 v16, -v12, v14, v15
	v_fmac_f32_e32 v14, v16, v13
	s_delay_alu instid0(VALU_DEP_1) | instskip(NEXT) | instid1(VALU_DEP_1)
	v_fma_f32 v12, -v12, v14, v15
	v_div_fmas_f32 v12, v12, v13, v14
	s_delay_alu instid0(VALU_DEP_1) | instskip(SKIP_1) | instid1(VALU_DEP_2)
	v_div_fixup_f32 v11, v12, v10, v11
	v_mov_b32_e32 v12, 0x80
	v_minmax_f32 v13, v11, s5, 0xc3600000
	v_mov_b32_e32 v11, 0x80
	s_delay_alu instid0(VALU_DEP_2) | instskip(NEXT) | instid1(VALU_DEP_1)
	v_and_b32_e32 v14, 0x7fffffff, v13
	v_cmpx_gt_u32_e32 0x43800000, v14
	s_cbranch_execz .LBB10_137
; %bb.132:                              ;   in Loop: Header=BB10_81 Depth=1
	v_cmp_lt_u32_e32 vcc_lo, 0x3bffffff, v14
	s_mov_b32 s12, 0
                                        ; implicit-def: $vgpr14
	s_and_saveexec_b32 s13, vcc_lo
	s_delay_alu instid0(SALU_CYCLE_1)
	s_xor_b32 s13, exec_lo, s13
	s_cbranch_execnz .LBB10_194
; %bb.133:                              ;   in Loop: Header=BB10_81 Depth=1
	s_or_saveexec_b32 s13, s13
                                        ; implicit-def: $sgpr14
	s_delay_alu instid0(SALU_CYCLE_1)
	s_xor_b32 exec_lo, exec_lo, s13
	s_cbranch_execnz .LBB10_195
.LBB10_134:                             ;   in Loop: Header=BB10_81 Depth=1
	s_or_b32 exec_lo, exec_lo, s13
	v_mov_b32_e32 v11, s14
	s_and_saveexec_b32 s13, s12
.LBB10_135:                             ;   in Loop: Header=BB10_81 Depth=1
	v_lshrrev_b32_e32 v11, 24, v13
	s_delay_alu instid0(VALU_DEP_1)
	v_and_or_b32 v11, 0x80, v11, v14
.LBB10_136:                             ;   in Loop: Header=BB10_81 Depth=1
	s_or_b32 exec_lo, exec_lo, s13
.LBB10_137:                             ;   in Loop: Header=BB10_81 Depth=1
	s_delay_alu instid0(SALU_CYCLE_1) | instskip(SKIP_3) | instid1(VALU_DEP_1)
	s_or_b32 exec_lo, exec_lo, s8
	v_lshrrev_b32_e32 v7, 16, v7
	v_fma_mixlo_f16 v5, v9, v5, 0 op_sel:[0,1,0] op_sel_hi:[0,1,0]
	s_mov_b32 s8, exec_lo
	v_mul_f16_e32 v5, v7, v5
	s_delay_alu instid0(VALU_DEP_1) | instskip(NEXT) | instid1(VALU_DEP_1)
	v_cvt_f32_f16_e32 v5, v5
	v_div_scale_f32 v7, null, v10, v10, v5
	s_delay_alu instid0(VALU_DEP_1) | instskip(SKIP_2) | instid1(VALU_DEP_1)
	v_rcp_f32_e32 v13, v7
	s_waitcnt_depctr 0xfff
	v_fma_f32 v14, -v7, v13, 1.0
	v_fmac_f32_e32 v13, v14, v13
	v_div_scale_f32 v14, vcc_lo, v5, v10, v5
	s_delay_alu instid0(VALU_DEP_1) | instskip(NEXT) | instid1(VALU_DEP_1)
	v_mul_f32_e32 v15, v14, v13
	v_fma_f32 v16, -v7, v15, v14
	s_delay_alu instid0(VALU_DEP_1) | instskip(NEXT) | instid1(VALU_DEP_1)
	v_fmac_f32_e32 v15, v16, v13
	v_fma_f32 v7, -v7, v15, v14
	s_delay_alu instid0(VALU_DEP_1) | instskip(NEXT) | instid1(VALU_DEP_1)
	v_div_fmas_f32 v7, v7, v13, v15
	v_div_fixup_f32 v5, v7, v10, v5
	s_delay_alu instid0(VALU_DEP_1) | instskip(NEXT) | instid1(VALU_DEP_1)
	v_minmax_f32 v5, v5, s5, 0xc3600000
	v_and_b32_e32 v7, 0x7fffffff, v5
	s_delay_alu instid0(VALU_DEP_1)
	v_cmpx_gt_u32_e32 0x43800000, v7
	s_cbranch_execz .LBB10_143
; %bb.138:                              ;   in Loop: Header=BB10_81 Depth=1
	v_cmp_lt_u32_e32 vcc_lo, 0x3bffffff, v7
	s_mov_b32 s12, 0
                                        ; implicit-def: $vgpr7
	s_and_saveexec_b32 s13, vcc_lo
	s_delay_alu instid0(SALU_CYCLE_1)
	s_xor_b32 s13, exec_lo, s13
	s_cbranch_execnz .LBB10_196
; %bb.139:                              ;   in Loop: Header=BB10_81 Depth=1
	s_or_saveexec_b32 s13, s13
                                        ; implicit-def: $sgpr14
	s_delay_alu instid0(SALU_CYCLE_1)
	s_xor_b32 exec_lo, exec_lo, s13
	s_cbranch_execnz .LBB10_197
.LBB10_140:                             ;   in Loop: Header=BB10_81 Depth=1
	s_or_b32 exec_lo, exec_lo, s13
	v_mov_b32_e32 v12, s14
	s_and_saveexec_b32 s13, s12
.LBB10_141:                             ;   in Loop: Header=BB10_81 Depth=1
	v_lshrrev_b32_e32 v5, 24, v5
	s_delay_alu instid0(VALU_DEP_1)
	v_and_or_b32 v12, 0x80, v5, v7
.LBB10_142:                             ;   in Loop: Header=BB10_81 Depth=1
	s_or_b32 exec_lo, exec_lo, s13
.LBB10_143:                             ;   in Loop: Header=BB10_81 Depth=1
	s_delay_alu instid0(SALU_CYCLE_1) | instskip(SKIP_2) | instid1(VALU_DEP_1)
	s_or_b32 exec_lo, exec_lo, s8
	v_fma_mixlo_f16 v5, v9, v6, 0 op_sel_hi:[0,1,0]
	s_mov_b32 s8, exec_lo
	v_mul_f16_e32 v5, v8, v5
	s_delay_alu instid0(VALU_DEP_1) | instskip(NEXT) | instid1(VALU_DEP_1)
	v_cvt_f32_f16_e32 v5, v5
	v_div_scale_f32 v7, null, v10, v10, v5
	v_div_scale_f32 v15, vcc_lo, v5, v10, v5
	s_delay_alu instid0(VALU_DEP_2) | instskip(SKIP_2) | instid1(VALU_DEP_1)
	v_rcp_f32_e32 v13, v7
	s_waitcnt_depctr 0xfff
	v_fma_f32 v14, -v7, v13, 1.0
	v_fmac_f32_e32 v13, v14, v13
	s_delay_alu instid0(VALU_DEP_1) | instskip(NEXT) | instid1(VALU_DEP_1)
	v_mul_f32_e32 v14, v15, v13
	v_fma_f32 v16, -v7, v14, v15
	s_delay_alu instid0(VALU_DEP_1) | instskip(NEXT) | instid1(VALU_DEP_1)
	v_fmac_f32_e32 v14, v16, v13
	v_fma_f32 v7, -v7, v14, v15
	s_delay_alu instid0(VALU_DEP_1) | instskip(NEXT) | instid1(VALU_DEP_1)
	v_div_fmas_f32 v7, v7, v13, v14
	v_div_fixup_f32 v5, v7, v10, v5
	v_mov_b32_e32 v7, 0x80
	s_delay_alu instid0(VALU_DEP_2) | instskip(SKIP_1) | instid1(VALU_DEP_2)
	v_minmax_f32 v13, v5, s5, 0xc3600000
	v_mov_b32_e32 v5, 0x80
	v_and_b32_e32 v14, 0x7fffffff, v13
	s_delay_alu instid0(VALU_DEP_1)
	v_cmpx_gt_u32_e32 0x43800000, v14
	s_cbranch_execz .LBB10_149
; %bb.144:                              ;   in Loop: Header=BB10_81 Depth=1
	v_cmp_lt_u32_e32 vcc_lo, 0x3bffffff, v14
	s_mov_b32 s12, 0
                                        ; implicit-def: $vgpr14
	s_and_saveexec_b32 s13, vcc_lo
	s_delay_alu instid0(SALU_CYCLE_1)
	s_xor_b32 s13, exec_lo, s13
	s_cbranch_execnz .LBB10_198
; %bb.145:                              ;   in Loop: Header=BB10_81 Depth=1
	s_or_saveexec_b32 s13, s13
                                        ; implicit-def: $sgpr14
	s_delay_alu instid0(SALU_CYCLE_1)
	s_xor_b32 exec_lo, exec_lo, s13
	s_cbranch_execnz .LBB10_199
.LBB10_146:                             ;   in Loop: Header=BB10_81 Depth=1
	s_or_b32 exec_lo, exec_lo, s13
	v_mov_b32_e32 v7, s14
	s_and_saveexec_b32 s13, s12
.LBB10_147:                             ;   in Loop: Header=BB10_81 Depth=1
	v_lshrrev_b32_e32 v7, 24, v13
	s_delay_alu instid0(VALU_DEP_1)
	v_and_or_b32 v7, 0x80, v7, v14
.LBB10_148:                             ;   in Loop: Header=BB10_81 Depth=1
	s_or_b32 exec_lo, exec_lo, s13
.LBB10_149:                             ;   in Loop: Header=BB10_81 Depth=1
	s_delay_alu instid0(SALU_CYCLE_1) | instskip(SKIP_3) | instid1(VALU_DEP_1)
	s_or_b32 exec_lo, exec_lo, s8
	v_lshrrev_b32_e32 v8, 16, v8
	v_fma_mixlo_f16 v6, v9, v6, 0 op_sel:[0,1,0] op_sel_hi:[0,1,0]
	s_mov_b32 s8, exec_lo
	v_mul_f16_e32 v6, v8, v6
	s_delay_alu instid0(VALU_DEP_1) | instskip(NEXT) | instid1(VALU_DEP_1)
	v_cvt_f32_f16_e32 v6, v6
	v_div_scale_f32 v8, null, v10, v10, v6
	s_delay_alu instid0(VALU_DEP_1) | instskip(SKIP_2) | instid1(VALU_DEP_1)
	v_rcp_f32_e32 v13, v8
	s_waitcnt_depctr 0xfff
	v_fma_f32 v14, -v8, v13, 1.0
	v_fmac_f32_e32 v13, v14, v13
	v_div_scale_f32 v14, vcc_lo, v6, v10, v6
	s_delay_alu instid0(VALU_DEP_1) | instskip(NEXT) | instid1(VALU_DEP_1)
	v_mul_f32_e32 v15, v14, v13
	v_fma_f32 v16, -v8, v15, v14
	s_delay_alu instid0(VALU_DEP_1) | instskip(NEXT) | instid1(VALU_DEP_1)
	v_fmac_f32_e32 v15, v16, v13
	v_fma_f32 v8, -v8, v15, v14
	s_delay_alu instid0(VALU_DEP_1) | instskip(NEXT) | instid1(VALU_DEP_1)
	v_div_fmas_f32 v8, v8, v13, v15
	v_div_fixup_f32 v6, v8, v10, v6
	s_delay_alu instid0(VALU_DEP_1) | instskip(NEXT) | instid1(VALU_DEP_1)
	v_minmax_f32 v6, v6, s5, 0xc3600000
	v_and_b32_e32 v8, 0x7fffffff, v6
	s_delay_alu instid0(VALU_DEP_1)
	v_cmpx_gt_u32_e32 0x43800000, v8
	s_cbranch_execz .LBB10_155
; %bb.150:                              ;   in Loop: Header=BB10_81 Depth=1
	v_cmp_lt_u32_e32 vcc_lo, 0x3bffffff, v8
	s_mov_b32 s12, 0
                                        ; implicit-def: $vgpr8
	s_and_saveexec_b32 s13, vcc_lo
	s_delay_alu instid0(SALU_CYCLE_1)
	s_xor_b32 s13, exec_lo, s13
	s_cbranch_execnz .LBB10_200
; %bb.151:                              ;   in Loop: Header=BB10_81 Depth=1
	s_or_saveexec_b32 s13, s13
                                        ; implicit-def: $sgpr14
	s_delay_alu instid0(SALU_CYCLE_1)
	s_xor_b32 exec_lo, exec_lo, s13
	s_cbranch_execnz .LBB10_201
.LBB10_152:                             ;   in Loop: Header=BB10_81 Depth=1
	s_or_b32 exec_lo, exec_lo, s13
	v_mov_b32_e32 v5, s14
	s_and_saveexec_b32 s13, s12
.LBB10_153:                             ;   in Loop: Header=BB10_81 Depth=1
	v_lshrrev_b32_e32 v5, 24, v6
	s_delay_alu instid0(VALU_DEP_1)
	v_and_or_b32 v5, 0x80, v5, v8
.LBB10_154:                             ;   in Loop: Header=BB10_81 Depth=1
	s_or_b32 exec_lo, exec_lo, s13
.LBB10_155:                             ;   in Loop: Header=BB10_81 Depth=1
	s_delay_alu instid0(SALU_CYCLE_1)
	s_or_b32 exec_lo, exec_lo, s8
	v_lshlrev_b32_e32 v6, 16, v7
	v_lshlrev_b32_e32 v7, 8, v12
	v_lshlrev_b64 v[3:4], 2, v[3:4]
	v_and_b32_e32 v8, 0xff, v11
	v_add_nc_u32_e32 v0, s2, v0
	v_perm_b32 v5, v5, v6, 0x4020c0c
	v_and_b32_e32 v6, 0xff00, v7
	s_mov_b32 s12, -1
	v_add_co_u32 v3, vcc_lo, s0, v3
	v_add_co_ci_u32_e32 v4, vcc_lo, s1, v4, vcc_lo
	s_delay_alu instid0(VALU_DEP_3)
	v_or3_b32 v5, v5, v6, v8
	s_mov_b32 s8, exec_lo
	global_store_b32 v[3:4], v5, off
	v_cmpx_gt_u32_e64 s11, v0
	s_cbranch_execz .LBB10_78
; %bb.156:                              ;   in Loop: Header=BB10_81 Depth=1
	v_lshlrev_b64 v[3:4], 3, v[0:1]
	s_mov_b32 s12, exec_lo
	s_delay_alu instid0(VALU_DEP_1) | instskip(NEXT) | instid1(VALU_DEP_2)
	v_add_co_u32 v5, vcc_lo, s9, v3
	v_add_co_ci_u32_e32 v6, vcc_lo, s10, v4, vcc_lo
	v_add_co_u32 v7, vcc_lo, s18, v3
	v_add_co_ci_u32_e32 v8, vcc_lo, s19, v4, vcc_lo
	global_load_b64 v[3:4], v[5:6], off
	global_load_b64 v[5:6], v[7:8], off
	s_waitcnt vmcnt(1)
	v_fma_mixlo_f16 v7, v9, v3, 0 op_sel_hi:[0,1,0]
	s_waitcnt vmcnt(0)
	s_delay_alu instid0(VALU_DEP_1) | instskip(NEXT) | instid1(VALU_DEP_1)
	v_mul_f16_e32 v7, v5, v7
	v_cvt_f32_f16_e32 v7, v7
	s_delay_alu instid0(VALU_DEP_1) | instskip(SKIP_1) | instid1(VALU_DEP_2)
	v_div_scale_f32 v8, null, v10, v10, v7
	v_div_scale_f32 v13, vcc_lo, v7, v10, v7
	v_rcp_f32_e32 v11, v8
	s_waitcnt_depctr 0xfff
	v_fma_f32 v12, -v8, v11, 1.0
	s_delay_alu instid0(VALU_DEP_1) | instskip(NEXT) | instid1(VALU_DEP_1)
	v_fmac_f32_e32 v11, v12, v11
	v_mul_f32_e32 v12, v13, v11
	s_delay_alu instid0(VALU_DEP_1) | instskip(NEXT) | instid1(VALU_DEP_1)
	v_fma_f32 v14, -v8, v12, v13
	v_fmac_f32_e32 v12, v14, v11
	s_delay_alu instid0(VALU_DEP_1) | instskip(NEXT) | instid1(VALU_DEP_1)
	v_fma_f32 v8, -v8, v12, v13
	v_div_fmas_f32 v8, v8, v11, v12
	s_delay_alu instid0(VALU_DEP_1) | instskip(SKIP_1) | instid1(VALU_DEP_2)
	v_div_fixup_f32 v7, v8, v10, v7
	v_mov_b32_e32 v8, 0x80
	v_minmax_f32 v11, v7, s5, 0xc3600000
	v_mov_b32_e32 v7, 0x80
	s_delay_alu instid0(VALU_DEP_2) | instskip(NEXT) | instid1(VALU_DEP_1)
	v_and_b32_e32 v12, 0x7fffffff, v11
	v_cmpx_gt_u32_e32 0x43800000, v12
	s_cbranch_execz .LBB10_162
; %bb.157:                              ;   in Loop: Header=BB10_81 Depth=1
	v_cmp_lt_u32_e32 vcc_lo, 0x3bffffff, v12
	s_mov_b32 s13, 0
                                        ; implicit-def: $vgpr12
	s_and_saveexec_b32 s14, vcc_lo
	s_delay_alu instid0(SALU_CYCLE_1)
	s_xor_b32 s14, exec_lo, s14
	s_cbranch_execnz .LBB10_202
; %bb.158:                              ;   in Loop: Header=BB10_81 Depth=1
	s_or_saveexec_b32 s14, s14
                                        ; implicit-def: $sgpr15
	s_delay_alu instid0(SALU_CYCLE_1)
	s_xor_b32 exec_lo, exec_lo, s14
	s_cbranch_execnz .LBB10_203
.LBB10_159:                             ;   in Loop: Header=BB10_81 Depth=1
	s_or_b32 exec_lo, exec_lo, s14
	v_mov_b32_e32 v7, s15
	s_and_saveexec_b32 s14, s13
.LBB10_160:                             ;   in Loop: Header=BB10_81 Depth=1
	v_lshrrev_b32_e32 v7, 24, v11
	s_delay_alu instid0(VALU_DEP_1)
	v_and_or_b32 v7, 0x80, v7, v12
.LBB10_161:                             ;   in Loop: Header=BB10_81 Depth=1
	s_or_b32 exec_lo, exec_lo, s14
.LBB10_162:                             ;   in Loop: Header=BB10_81 Depth=1
	s_delay_alu instid0(SALU_CYCLE_1) | instskip(SKIP_3) | instid1(VALU_DEP_1)
	s_or_b32 exec_lo, exec_lo, s12
	v_lshrrev_b32_e32 v5, 16, v5
	v_fma_mixlo_f16 v3, v9, v3, 0 op_sel:[0,1,0] op_sel_hi:[0,1,0]
	s_mov_b32 s12, exec_lo
	v_mul_f16_e32 v3, v5, v3
	s_delay_alu instid0(VALU_DEP_1) | instskip(NEXT) | instid1(VALU_DEP_1)
	v_cvt_f32_f16_e32 v3, v3
	v_div_scale_f32 v5, null, v10, v10, v3
	s_delay_alu instid0(VALU_DEP_1) | instskip(SKIP_2) | instid1(VALU_DEP_1)
	v_rcp_f32_e32 v11, v5
	s_waitcnt_depctr 0xfff
	v_fma_f32 v12, -v5, v11, 1.0
	v_fmac_f32_e32 v11, v12, v11
	v_div_scale_f32 v12, vcc_lo, v3, v10, v3
	s_delay_alu instid0(VALU_DEP_1) | instskip(NEXT) | instid1(VALU_DEP_1)
	v_mul_f32_e32 v13, v12, v11
	v_fma_f32 v14, -v5, v13, v12
	s_delay_alu instid0(VALU_DEP_1) | instskip(NEXT) | instid1(VALU_DEP_1)
	v_fmac_f32_e32 v13, v14, v11
	v_fma_f32 v5, -v5, v13, v12
	s_delay_alu instid0(VALU_DEP_1) | instskip(NEXT) | instid1(VALU_DEP_1)
	v_div_fmas_f32 v5, v5, v11, v13
	v_div_fixup_f32 v3, v5, v10, v3
	s_delay_alu instid0(VALU_DEP_1) | instskip(NEXT) | instid1(VALU_DEP_1)
	v_minmax_f32 v3, v3, s5, 0xc3600000
	v_and_b32_e32 v5, 0x7fffffff, v3
	s_delay_alu instid0(VALU_DEP_1)
	v_cmpx_gt_u32_e32 0x43800000, v5
	s_cbranch_execz .LBB10_168
; %bb.163:                              ;   in Loop: Header=BB10_81 Depth=1
	v_cmp_lt_u32_e32 vcc_lo, 0x3bffffff, v5
	s_mov_b32 s13, 0
                                        ; implicit-def: $vgpr5
	s_and_saveexec_b32 s14, vcc_lo
	s_delay_alu instid0(SALU_CYCLE_1)
	s_xor_b32 s14, exec_lo, s14
	s_cbranch_execnz .LBB10_204
; %bb.164:                              ;   in Loop: Header=BB10_81 Depth=1
	s_or_saveexec_b32 s14, s14
                                        ; implicit-def: $sgpr15
	s_delay_alu instid0(SALU_CYCLE_1)
	s_xor_b32 exec_lo, exec_lo, s14
	s_cbranch_execnz .LBB10_205
.LBB10_165:                             ;   in Loop: Header=BB10_81 Depth=1
	s_or_b32 exec_lo, exec_lo, s14
	v_mov_b32_e32 v8, s15
	s_and_saveexec_b32 s14, s13
.LBB10_166:                             ;   in Loop: Header=BB10_81 Depth=1
	v_lshrrev_b32_e32 v3, 24, v3
	s_delay_alu instid0(VALU_DEP_1)
	v_and_or_b32 v8, 0x80, v3, v5
.LBB10_167:                             ;   in Loop: Header=BB10_81 Depth=1
	s_or_b32 exec_lo, exec_lo, s14
.LBB10_168:                             ;   in Loop: Header=BB10_81 Depth=1
	s_delay_alu instid0(SALU_CYCLE_1) | instskip(SKIP_2) | instid1(VALU_DEP_1)
	s_or_b32 exec_lo, exec_lo, s12
	v_fma_mixlo_f16 v3, v9, v4, 0 op_sel_hi:[0,1,0]
	s_mov_b32 s12, exec_lo
	v_mul_f16_e32 v3, v6, v3
	s_delay_alu instid0(VALU_DEP_1) | instskip(NEXT) | instid1(VALU_DEP_1)
	v_cvt_f32_f16_e32 v3, v3
	v_div_scale_f32 v5, null, v10, v10, v3
	v_div_scale_f32 v13, vcc_lo, v3, v10, v3
	s_delay_alu instid0(VALU_DEP_2) | instskip(SKIP_2) | instid1(VALU_DEP_1)
	v_rcp_f32_e32 v11, v5
	s_waitcnt_depctr 0xfff
	v_fma_f32 v12, -v5, v11, 1.0
	v_fmac_f32_e32 v11, v12, v11
	s_delay_alu instid0(VALU_DEP_1) | instskip(NEXT) | instid1(VALU_DEP_1)
	v_mul_f32_e32 v12, v13, v11
	v_fma_f32 v14, -v5, v12, v13
	s_delay_alu instid0(VALU_DEP_1) | instskip(NEXT) | instid1(VALU_DEP_1)
	v_fmac_f32_e32 v12, v14, v11
	v_fma_f32 v5, -v5, v12, v13
	s_delay_alu instid0(VALU_DEP_1) | instskip(NEXT) | instid1(VALU_DEP_1)
	v_div_fmas_f32 v5, v5, v11, v12
	v_div_fixup_f32 v3, v5, v10, v3
	v_mov_b32_e32 v5, 0x80
	s_delay_alu instid0(VALU_DEP_2) | instskip(SKIP_1) | instid1(VALU_DEP_2)
	v_minmax_f32 v11, v3, s5, 0xc3600000
	v_mov_b32_e32 v3, 0x80
	v_and_b32_e32 v12, 0x7fffffff, v11
	s_delay_alu instid0(VALU_DEP_1)
	v_cmpx_gt_u32_e32 0x43800000, v12
	s_cbranch_execz .LBB10_174
; %bb.169:                              ;   in Loop: Header=BB10_81 Depth=1
	v_cmp_lt_u32_e32 vcc_lo, 0x3bffffff, v12
	s_mov_b32 s13, 0
                                        ; implicit-def: $vgpr12
	s_and_saveexec_b32 s14, vcc_lo
	s_delay_alu instid0(SALU_CYCLE_1)
	s_xor_b32 s14, exec_lo, s14
	s_cbranch_execnz .LBB10_206
; %bb.170:                              ;   in Loop: Header=BB10_81 Depth=1
	s_or_saveexec_b32 s14, s14
                                        ; implicit-def: $sgpr15
	s_delay_alu instid0(SALU_CYCLE_1)
	s_xor_b32 exec_lo, exec_lo, s14
	s_cbranch_execnz .LBB10_207
.LBB10_171:                             ;   in Loop: Header=BB10_81 Depth=1
	s_or_b32 exec_lo, exec_lo, s14
	v_mov_b32_e32 v5, s15
	s_and_saveexec_b32 s14, s13
.LBB10_172:                             ;   in Loop: Header=BB10_81 Depth=1
	v_lshrrev_b32_e32 v5, 24, v11
	s_delay_alu instid0(VALU_DEP_1)
	v_and_or_b32 v5, 0x80, v5, v12
.LBB10_173:                             ;   in Loop: Header=BB10_81 Depth=1
	s_or_b32 exec_lo, exec_lo, s14
.LBB10_174:                             ;   in Loop: Header=BB10_81 Depth=1
	s_delay_alu instid0(SALU_CYCLE_1) | instskip(SKIP_3) | instid1(VALU_DEP_1)
	s_or_b32 exec_lo, exec_lo, s12
	v_lshrrev_b32_e32 v6, 16, v6
	v_fma_mixlo_f16 v4, v9, v4, 0 op_sel:[0,1,0] op_sel_hi:[0,1,0]
	s_mov_b32 s12, exec_lo
	v_mul_f16_e32 v4, v6, v4
	s_delay_alu instid0(VALU_DEP_1) | instskip(NEXT) | instid1(VALU_DEP_1)
	v_cvt_f32_f16_e32 v4, v4
	v_div_scale_f32 v6, null, v10, v10, v4
	s_delay_alu instid0(VALU_DEP_1) | instskip(SKIP_2) | instid1(VALU_DEP_1)
	v_rcp_f32_e32 v11, v6
	s_waitcnt_depctr 0xfff
	v_fma_f32 v12, -v6, v11, 1.0
	v_fmac_f32_e32 v11, v12, v11
	v_div_scale_f32 v12, vcc_lo, v4, v10, v4
	s_delay_alu instid0(VALU_DEP_1) | instskip(NEXT) | instid1(VALU_DEP_1)
	v_mul_f32_e32 v13, v12, v11
	v_fma_f32 v14, -v6, v13, v12
	s_delay_alu instid0(VALU_DEP_1) | instskip(NEXT) | instid1(VALU_DEP_1)
	v_fmac_f32_e32 v13, v14, v11
	v_fma_f32 v6, -v6, v13, v12
	s_delay_alu instid0(VALU_DEP_1) | instskip(NEXT) | instid1(VALU_DEP_1)
	v_div_fmas_f32 v6, v6, v11, v13
	v_div_fixup_f32 v4, v6, v10, v4
	s_delay_alu instid0(VALU_DEP_1) | instskip(NEXT) | instid1(VALU_DEP_1)
	v_minmax_f32 v4, v4, s5, 0xc3600000
	v_and_b32_e32 v6, 0x7fffffff, v4
	s_delay_alu instid0(VALU_DEP_1)
	v_cmpx_gt_u32_e32 0x43800000, v6
	s_cbranch_execz .LBB10_77
; %bb.175:                              ;   in Loop: Header=BB10_81 Depth=1
	v_cmp_lt_u32_e32 vcc_lo, 0x3bffffff, v6
	s_mov_b32 s13, 0
                                        ; implicit-def: $vgpr6
	s_and_saveexec_b32 s14, vcc_lo
	s_delay_alu instid0(SALU_CYCLE_1)
	s_xor_b32 s14, exec_lo, s14
	s_cbranch_execnz .LBB10_208
; %bb.176:                              ;   in Loop: Header=BB10_81 Depth=1
	s_or_saveexec_b32 s14, s14
                                        ; implicit-def: $sgpr15
	s_delay_alu instid0(SALU_CYCLE_1)
	s_xor_b32 exec_lo, exec_lo, s14
	s_cbranch_execnz .LBB10_209
.LBB10_177:                             ;   in Loop: Header=BB10_81 Depth=1
	s_or_b32 exec_lo, exec_lo, s14
	v_mov_b32_e32 v3, s15
	s_and_saveexec_b32 s14, s13
	s_cbranch_execz .LBB10_76
	s_branch .LBB10_210
.LBB10_178:                             ;   in Loop: Header=BB10_81 Depth=1
	v_bfe_u32 v7, v8, 20, 1
	s_mov_b32 s7, exec_lo
	s_delay_alu instid0(VALU_DEP_1) | instskip(NEXT) | instid1(VALU_DEP_1)
	v_add3_u32 v7, v8, v7, 0x487ffff
	v_lshrrev_b32_e32 v11, 20, v7
	s_or_saveexec_b32 s8, s8
                                        ; implicit-def: $sgpr12
	s_delay_alu instid0(SALU_CYCLE_1)
	s_xor_b32 exec_lo, exec_lo, s8
	s_cbranch_execz .LBB10_84
.LBB10_179:                             ;   in Loop: Header=BB10_81 Depth=1
	v_add_f32_e64 v7, 0x46000000, |v8|
	s_and_not1_b32 s7, s7, exec_lo
	s_mov_b32 s12, 0
	s_delay_alu instid0(VALU_DEP_1) | instskip(NEXT) | instid1(VALU_DEP_1)
	v_and_b32_e32 v11, 0xff, v7
	v_cmp_ne_u32_e32 vcc_lo, 0, v11
	s_and_b32 s13, vcc_lo, exec_lo
	s_delay_alu instid0(SALU_CYCLE_1)
	s_or_b32 s7, s7, s13
	s_or_b32 exec_lo, exec_lo, s8
	v_mov_b32_e32 v7, s12
	s_and_saveexec_b32 s8, s7
	s_cbranch_execnz .LBB10_85
	s_branch .LBB10_86
.LBB10_180:                             ;   in Loop: Header=BB10_81 Depth=1
	v_bfe_u32 v4, v2, 20, 1
	s_mov_b32 s7, exec_lo
	s_delay_alu instid0(VALU_DEP_1) | instskip(NEXT) | instid1(VALU_DEP_1)
	v_add3_u32 v4, v2, v4, 0x487ffff
	v_lshrrev_b32_e32 v4, 20, v4
	s_or_saveexec_b32 s8, s8
                                        ; implicit-def: $sgpr12
	s_delay_alu instid0(SALU_CYCLE_1)
	s_xor_b32 exec_lo, exec_lo, s8
	s_cbranch_execz .LBB10_90
.LBB10_181:                             ;   in Loop: Header=BB10_81 Depth=1
	v_add_f32_e64 v4, 0x46000000, |v2|
	s_and_not1_b32 s7, s7, exec_lo
	s_mov_b32 s12, 0
	s_delay_alu instid0(VALU_DEP_1) | instskip(NEXT) | instid1(VALU_DEP_1)
	v_and_b32_e32 v4, 0xff, v4
	v_cmp_ne_u32_e32 vcc_lo, 0, v4
	s_and_b32 s13, vcc_lo, exec_lo
	s_delay_alu instid0(SALU_CYCLE_1)
	s_or_b32 s7, s7, s13
	s_or_b32 exec_lo, exec_lo, s8
	v_mov_b32_e32 v6, s12
	s_and_saveexec_b32 s8, s7
	s_cbranch_execnz .LBB10_91
	s_branch .LBB10_92
.LBB10_182:                             ;   in Loop: Header=BB10_81 Depth=1
	v_bfe_u32 v4, v8, 20, 1
	s_mov_b32 s7, exec_lo
	s_delay_alu instid0(VALU_DEP_1) | instskip(NEXT) | instid1(VALU_DEP_1)
	v_add3_u32 v4, v8, v4, 0x487ffff
	v_lshrrev_b32_e32 v11, 20, v4
	s_or_saveexec_b32 s8, s8
                                        ; implicit-def: $sgpr12
	s_delay_alu instid0(SALU_CYCLE_1)
	s_xor_b32 exec_lo, exec_lo, s8
	s_cbranch_execz .LBB10_96
.LBB10_183:                             ;   in Loop: Header=BB10_81 Depth=1
	v_add_f32_e64 v4, 0x46000000, |v8|
	s_and_not1_b32 s7, s7, exec_lo
	s_mov_b32 s12, 0
	s_delay_alu instid0(VALU_DEP_1) | instskip(NEXT) | instid1(VALU_DEP_1)
	v_and_b32_e32 v11, 0xff, v4
	v_cmp_ne_u32_e32 vcc_lo, 0, v11
	s_and_b32 s13, vcc_lo, exec_lo
	s_delay_alu instid0(SALU_CYCLE_1)
	s_or_b32 s7, s7, s13
	s_or_b32 exec_lo, exec_lo, s8
	v_mov_b32_e32 v4, s12
	s_and_saveexec_b32 s8, s7
	s_cbranch_execnz .LBB10_97
	s_branch .LBB10_98
.LBB10_184:                             ;   in Loop: Header=BB10_81 Depth=1
	v_bfe_u32 v2, v3, 20, 1
	s_mov_b32 s7, exec_lo
	s_delay_alu instid0(VALU_DEP_1) | instskip(NEXT) | instid1(VALU_DEP_1)
	v_add3_u32 v2, v3, v2, 0x487ffff
	v_lshrrev_b32_e32 v5, 20, v2
	s_or_saveexec_b32 s8, s8
                                        ; implicit-def: $sgpr12
	s_delay_alu instid0(SALU_CYCLE_1)
	s_xor_b32 exec_lo, exec_lo, s8
	s_cbranch_execz .LBB10_102
.LBB10_185:                             ;   in Loop: Header=BB10_81 Depth=1
	v_add_f32_e64 v2, 0x46000000, |v3|
	s_and_not1_b32 s7, s7, exec_lo
	s_mov_b32 s12, 0
	s_delay_alu instid0(VALU_DEP_1) | instskip(NEXT) | instid1(VALU_DEP_1)
	v_and_b32_e32 v5, 0xff, v2
	v_cmp_ne_u32_e32 vcc_lo, 0, v5
	s_and_b32 s13, vcc_lo, exec_lo
	s_delay_alu instid0(SALU_CYCLE_1)
	s_or_b32 s7, s7, s13
	s_or_b32 exec_lo, exec_lo, s8
	v_mov_b32_e32 v2, s12
	s_and_saveexec_b32 s8, s7
	s_cbranch_execnz .LBB10_103
	s_branch .LBB10_104
.LBB10_186:                             ;   in Loop: Header=BB10_81 Depth=1
	v_bfe_u32 v8, v12, 20, 1
	s_mov_b32 s8, exec_lo
	s_delay_alu instid0(VALU_DEP_1) | instskip(NEXT) | instid1(VALU_DEP_1)
	v_add3_u32 v8, v12, v8, 0x487ffff
	v_lshrrev_b32_e32 v13, 20, v8
	s_or_saveexec_b32 s12, s12
                                        ; implicit-def: $sgpr13
	s_delay_alu instid0(SALU_CYCLE_1)
	s_xor_b32 exec_lo, exec_lo, s12
	s_cbranch_execz .LBB10_109
.LBB10_187:                             ;   in Loop: Header=BB10_81 Depth=1
	v_add_f32_e64 v8, 0x46000000, |v12|
	s_and_not1_b32 s8, s8, exec_lo
	s_mov_b32 s13, 0
	s_delay_alu instid0(VALU_DEP_1) | instskip(NEXT) | instid1(VALU_DEP_1)
	v_and_b32_e32 v13, 0xff, v8
	v_cmp_ne_u32_e32 vcc_lo, 0, v13
	s_and_b32 s14, vcc_lo, exec_lo
	s_delay_alu instid0(SALU_CYCLE_1)
	s_or_b32 s8, s8, s14
	s_or_b32 exec_lo, exec_lo, s12
	v_mov_b32_e32 v8, s13
	s_and_saveexec_b32 s12, s8
	s_cbranch_execnz .LBB10_110
	s_branch .LBB10_111
.LBB10_188:                             ;   in Loop: Header=BB10_81 Depth=1
	v_bfe_u32 v6, v4, 20, 1
	s_mov_b32 s8, exec_lo
	s_delay_alu instid0(VALU_DEP_1) | instskip(NEXT) | instid1(VALU_DEP_1)
	v_add3_u32 v6, v4, v6, 0x487ffff
	v_lshrrev_b32_e32 v6, 20, v6
	s_or_saveexec_b32 s12, s12
                                        ; implicit-def: $sgpr13
	s_delay_alu instid0(SALU_CYCLE_1)
	s_xor_b32 exec_lo, exec_lo, s12
	s_cbranch_execz .LBB10_115
.LBB10_189:                             ;   in Loop: Header=BB10_81 Depth=1
	v_add_f32_e64 v6, 0x46000000, |v4|
	s_and_not1_b32 s8, s8, exec_lo
	s_mov_b32 s13, 0
	s_delay_alu instid0(VALU_DEP_1) | instskip(NEXT) | instid1(VALU_DEP_1)
	v_and_b32_e32 v6, 0xff, v6
	v_cmp_ne_u32_e32 vcc_lo, 0, v6
	s_and_b32 s14, vcc_lo, exec_lo
	s_delay_alu instid0(SALU_CYCLE_1)
	s_or_b32 s8, s8, s14
	s_or_b32 exec_lo, exec_lo, s12
	v_mov_b32_e32 v11, s13
	s_and_saveexec_b32 s12, s8
	s_cbranch_execnz .LBB10_116
	s_branch .LBB10_117
.LBB10_190:                             ;   in Loop: Header=BB10_81 Depth=1
	v_bfe_u32 v6, v12, 20, 1
	s_mov_b32 s8, exec_lo
	s_delay_alu instid0(VALU_DEP_1) | instskip(NEXT) | instid1(VALU_DEP_1)
	v_add3_u32 v6, v12, v6, 0x487ffff
	v_lshrrev_b32_e32 v13, 20, v6
	s_or_saveexec_b32 s12, s12
                                        ; implicit-def: $sgpr13
	s_delay_alu instid0(SALU_CYCLE_1)
	s_xor_b32 exec_lo, exec_lo, s12
	s_cbranch_execz .LBB10_121
.LBB10_191:                             ;   in Loop: Header=BB10_81 Depth=1
	v_add_f32_e64 v6, 0x46000000, |v12|
	s_and_not1_b32 s8, s8, exec_lo
	s_mov_b32 s13, 0
	s_delay_alu instid0(VALU_DEP_1) | instskip(NEXT) | instid1(VALU_DEP_1)
	v_and_b32_e32 v13, 0xff, v6
	v_cmp_ne_u32_e32 vcc_lo, 0, v13
	s_and_b32 s14, vcc_lo, exec_lo
	s_delay_alu instid0(SALU_CYCLE_1)
	s_or_b32 s8, s8, s14
	s_or_b32 exec_lo, exec_lo, s12
	v_mov_b32_e32 v6, s13
	s_and_saveexec_b32 s12, s8
	s_cbranch_execnz .LBB10_122
	s_branch .LBB10_123
.LBB10_192:                             ;   in Loop: Header=BB10_81 Depth=1
	v_bfe_u32 v4, v5, 20, 1
	s_mov_b32 s8, exec_lo
	s_delay_alu instid0(VALU_DEP_1) | instskip(NEXT) | instid1(VALU_DEP_1)
	v_add3_u32 v4, v5, v4, 0x487ffff
	v_lshrrev_b32_e32 v7, 20, v4
	s_or_saveexec_b32 s12, s12
                                        ; implicit-def: $sgpr13
	s_delay_alu instid0(SALU_CYCLE_1)
	s_xor_b32 exec_lo, exec_lo, s12
	s_cbranch_execz .LBB10_127
.LBB10_193:                             ;   in Loop: Header=BB10_81 Depth=1
	v_add_f32_e64 v4, 0x46000000, |v5|
	s_and_not1_b32 s8, s8, exec_lo
	s_mov_b32 s13, 0
	s_delay_alu instid0(VALU_DEP_1) | instskip(NEXT) | instid1(VALU_DEP_1)
	v_and_b32_e32 v7, 0xff, v4
	v_cmp_ne_u32_e32 vcc_lo, 0, v7
	s_and_b32 s14, vcc_lo, exec_lo
	s_delay_alu instid0(SALU_CYCLE_1)
	s_or_b32 s8, s8, s14
	s_or_b32 exec_lo, exec_lo, s12
	v_mov_b32_e32 v4, s13
	s_and_saveexec_b32 s12, s8
	s_cbranch_execnz .LBB10_128
	s_branch .LBB10_129
.LBB10_194:                             ;   in Loop: Header=BB10_81 Depth=1
	v_bfe_u32 v11, v13, 20, 1
	s_mov_b32 s12, exec_lo
	s_delay_alu instid0(VALU_DEP_1) | instskip(NEXT) | instid1(VALU_DEP_1)
	v_add3_u32 v11, v13, v11, 0x487ffff
	v_lshrrev_b32_e32 v14, 20, v11
	s_or_saveexec_b32 s13, s13
                                        ; implicit-def: $sgpr14
	s_delay_alu instid0(SALU_CYCLE_1)
	s_xor_b32 exec_lo, exec_lo, s13
	s_cbranch_execz .LBB10_134
.LBB10_195:                             ;   in Loop: Header=BB10_81 Depth=1
	v_add_f32_e64 v11, 0x46000000, |v13|
	s_and_not1_b32 s12, s12, exec_lo
	s_mov_b32 s14, 0
	s_delay_alu instid0(VALU_DEP_1) | instskip(NEXT) | instid1(VALU_DEP_1)
	v_and_b32_e32 v14, 0xff, v11
	v_cmp_ne_u32_e32 vcc_lo, 0, v14
	s_and_b32 s15, vcc_lo, exec_lo
	s_delay_alu instid0(SALU_CYCLE_1)
	s_or_b32 s12, s12, s15
	s_or_b32 exec_lo, exec_lo, s13
	v_mov_b32_e32 v11, s14
	s_and_saveexec_b32 s13, s12
	s_cbranch_execnz .LBB10_135
	s_branch .LBB10_136
.LBB10_196:                             ;   in Loop: Header=BB10_81 Depth=1
	v_bfe_u32 v7, v5, 20, 1
	s_mov_b32 s12, exec_lo
	s_delay_alu instid0(VALU_DEP_1) | instskip(NEXT) | instid1(VALU_DEP_1)
	v_add3_u32 v7, v5, v7, 0x487ffff
	v_lshrrev_b32_e32 v7, 20, v7
	s_or_saveexec_b32 s13, s13
                                        ; implicit-def: $sgpr14
	s_delay_alu instid0(SALU_CYCLE_1)
	s_xor_b32 exec_lo, exec_lo, s13
	s_cbranch_execz .LBB10_140
.LBB10_197:                             ;   in Loop: Header=BB10_81 Depth=1
	v_add_f32_e64 v7, 0x46000000, |v5|
	s_and_not1_b32 s12, s12, exec_lo
	s_mov_b32 s14, 0
	s_delay_alu instid0(VALU_DEP_1) | instskip(NEXT) | instid1(VALU_DEP_1)
	v_and_b32_e32 v7, 0xff, v7
	v_cmp_ne_u32_e32 vcc_lo, 0, v7
	s_and_b32 s15, vcc_lo, exec_lo
	s_delay_alu instid0(SALU_CYCLE_1)
	s_or_b32 s12, s12, s15
	s_or_b32 exec_lo, exec_lo, s13
	v_mov_b32_e32 v12, s14
	s_and_saveexec_b32 s13, s12
	s_cbranch_execnz .LBB10_141
	s_branch .LBB10_142
.LBB10_198:                             ;   in Loop: Header=BB10_81 Depth=1
	v_bfe_u32 v7, v13, 20, 1
	s_mov_b32 s12, exec_lo
	s_delay_alu instid0(VALU_DEP_1) | instskip(NEXT) | instid1(VALU_DEP_1)
	v_add3_u32 v7, v13, v7, 0x487ffff
	v_lshrrev_b32_e32 v14, 20, v7
	s_or_saveexec_b32 s13, s13
                                        ; implicit-def: $sgpr14
	s_delay_alu instid0(SALU_CYCLE_1)
	s_xor_b32 exec_lo, exec_lo, s13
	s_cbranch_execz .LBB10_146
.LBB10_199:                             ;   in Loop: Header=BB10_81 Depth=1
	v_add_f32_e64 v7, 0x46000000, |v13|
	s_and_not1_b32 s12, s12, exec_lo
	s_mov_b32 s14, 0
	s_delay_alu instid0(VALU_DEP_1) | instskip(NEXT) | instid1(VALU_DEP_1)
	v_and_b32_e32 v14, 0xff, v7
	v_cmp_ne_u32_e32 vcc_lo, 0, v14
	s_and_b32 s15, vcc_lo, exec_lo
	s_delay_alu instid0(SALU_CYCLE_1)
	s_or_b32 s12, s12, s15
	s_or_b32 exec_lo, exec_lo, s13
	v_mov_b32_e32 v7, s14
	s_and_saveexec_b32 s13, s12
	s_cbranch_execnz .LBB10_147
	s_branch .LBB10_148
.LBB10_200:                             ;   in Loop: Header=BB10_81 Depth=1
	v_bfe_u32 v5, v6, 20, 1
	s_mov_b32 s12, exec_lo
	s_delay_alu instid0(VALU_DEP_1) | instskip(NEXT) | instid1(VALU_DEP_1)
	v_add3_u32 v5, v6, v5, 0x487ffff
	v_lshrrev_b32_e32 v8, 20, v5
	s_or_saveexec_b32 s13, s13
                                        ; implicit-def: $sgpr14
	s_delay_alu instid0(SALU_CYCLE_1)
	s_xor_b32 exec_lo, exec_lo, s13
	s_cbranch_execz .LBB10_152
.LBB10_201:                             ;   in Loop: Header=BB10_81 Depth=1
	v_add_f32_e64 v5, 0x46000000, |v6|
	s_and_not1_b32 s12, s12, exec_lo
	s_mov_b32 s14, 0
	s_delay_alu instid0(VALU_DEP_1) | instskip(NEXT) | instid1(VALU_DEP_1)
	v_and_b32_e32 v8, 0xff, v5
	v_cmp_ne_u32_e32 vcc_lo, 0, v8
	s_and_b32 s15, vcc_lo, exec_lo
	s_delay_alu instid0(SALU_CYCLE_1)
	s_or_b32 s12, s12, s15
	s_or_b32 exec_lo, exec_lo, s13
	v_mov_b32_e32 v5, s14
	s_and_saveexec_b32 s13, s12
	s_cbranch_execnz .LBB10_153
	s_branch .LBB10_154
.LBB10_202:                             ;   in Loop: Header=BB10_81 Depth=1
	v_bfe_u32 v7, v11, 20, 1
	s_mov_b32 s13, exec_lo
	s_delay_alu instid0(VALU_DEP_1) | instskip(NEXT) | instid1(VALU_DEP_1)
	v_add3_u32 v7, v11, v7, 0x487ffff
	v_lshrrev_b32_e32 v12, 20, v7
	s_or_saveexec_b32 s14, s14
                                        ; implicit-def: $sgpr15
	s_delay_alu instid0(SALU_CYCLE_1)
	s_xor_b32 exec_lo, exec_lo, s14
	s_cbranch_execz .LBB10_159
.LBB10_203:                             ;   in Loop: Header=BB10_81 Depth=1
	v_add_f32_e64 v7, 0x46000000, |v11|
	s_and_not1_b32 s13, s13, exec_lo
	s_mov_b32 s15, 0
	s_delay_alu instid0(VALU_DEP_1) | instskip(NEXT) | instid1(VALU_DEP_1)
	v_and_b32_e32 v12, 0xff, v7
	v_cmp_ne_u32_e32 vcc_lo, 0, v12
	s_and_b32 s17, vcc_lo, exec_lo
	s_delay_alu instid0(SALU_CYCLE_1)
	s_or_b32 s13, s13, s17
	s_or_b32 exec_lo, exec_lo, s14
	v_mov_b32_e32 v7, s15
	s_and_saveexec_b32 s14, s13
	s_cbranch_execnz .LBB10_160
	s_branch .LBB10_161
.LBB10_204:                             ;   in Loop: Header=BB10_81 Depth=1
	v_bfe_u32 v5, v3, 20, 1
	s_mov_b32 s13, exec_lo
	s_delay_alu instid0(VALU_DEP_1) | instskip(NEXT) | instid1(VALU_DEP_1)
	v_add3_u32 v5, v3, v5, 0x487ffff
	v_lshrrev_b32_e32 v5, 20, v5
	s_or_saveexec_b32 s14, s14
                                        ; implicit-def: $sgpr15
	s_delay_alu instid0(SALU_CYCLE_1)
	s_xor_b32 exec_lo, exec_lo, s14
	s_cbranch_execz .LBB10_165
.LBB10_205:                             ;   in Loop: Header=BB10_81 Depth=1
	v_add_f32_e64 v5, 0x46000000, |v3|
	s_and_not1_b32 s13, s13, exec_lo
	s_mov_b32 s15, 0
	s_delay_alu instid0(VALU_DEP_1) | instskip(NEXT) | instid1(VALU_DEP_1)
	v_and_b32_e32 v5, 0xff, v5
	v_cmp_ne_u32_e32 vcc_lo, 0, v5
	s_and_b32 s17, vcc_lo, exec_lo
	s_delay_alu instid0(SALU_CYCLE_1)
	s_or_b32 s13, s13, s17
	s_or_b32 exec_lo, exec_lo, s14
	v_mov_b32_e32 v8, s15
	s_and_saveexec_b32 s14, s13
	s_cbranch_execnz .LBB10_166
	s_branch .LBB10_167
.LBB10_206:                             ;   in Loop: Header=BB10_81 Depth=1
	v_bfe_u32 v5, v11, 20, 1
	s_mov_b32 s13, exec_lo
	s_delay_alu instid0(VALU_DEP_1) | instskip(NEXT) | instid1(VALU_DEP_1)
	v_add3_u32 v5, v11, v5, 0x487ffff
	v_lshrrev_b32_e32 v12, 20, v5
	s_or_saveexec_b32 s14, s14
                                        ; implicit-def: $sgpr15
	s_delay_alu instid0(SALU_CYCLE_1)
	s_xor_b32 exec_lo, exec_lo, s14
	s_cbranch_execz .LBB10_171
.LBB10_207:                             ;   in Loop: Header=BB10_81 Depth=1
	v_add_f32_e64 v5, 0x46000000, |v11|
	s_and_not1_b32 s13, s13, exec_lo
	s_mov_b32 s15, 0
	s_delay_alu instid0(VALU_DEP_1) | instskip(NEXT) | instid1(VALU_DEP_1)
	v_and_b32_e32 v12, 0xff, v5
	v_cmp_ne_u32_e32 vcc_lo, 0, v12
	s_and_b32 s17, vcc_lo, exec_lo
	s_delay_alu instid0(SALU_CYCLE_1)
	s_or_b32 s13, s13, s17
	s_or_b32 exec_lo, exec_lo, s14
	v_mov_b32_e32 v5, s15
	s_and_saveexec_b32 s14, s13
	s_cbranch_execnz .LBB10_172
	s_branch .LBB10_173
.LBB10_208:                             ;   in Loop: Header=BB10_81 Depth=1
	v_bfe_u32 v3, v4, 20, 1
	s_mov_b32 s13, exec_lo
	s_delay_alu instid0(VALU_DEP_1) | instskip(NEXT) | instid1(VALU_DEP_1)
	v_add3_u32 v3, v4, v3, 0x487ffff
	v_lshrrev_b32_e32 v6, 20, v3
	s_or_saveexec_b32 s14, s14
                                        ; implicit-def: $sgpr15
	s_delay_alu instid0(SALU_CYCLE_1)
	s_xor_b32 exec_lo, exec_lo, s14
	s_cbranch_execz .LBB10_177
.LBB10_209:                             ;   in Loop: Header=BB10_81 Depth=1
	v_add_f32_e64 v3, 0x46000000, |v4|
	s_and_not1_b32 s13, s13, exec_lo
	s_mov_b32 s15, 0
	s_delay_alu instid0(VALU_DEP_1) | instskip(NEXT) | instid1(VALU_DEP_1)
	v_and_b32_e32 v6, 0xff, v3
	v_cmp_ne_u32_e32 vcc_lo, 0, v6
	s_and_b32 s17, vcc_lo, exec_lo
	s_delay_alu instid0(SALU_CYCLE_1)
	s_or_b32 s13, s13, s17
	s_or_b32 exec_lo, exec_lo, s14
	v_mov_b32_e32 v3, s15
	s_and_saveexec_b32 s14, s13
	s_cbranch_execz .LBB10_76
.LBB10_210:                             ;   in Loop: Header=BB10_81 Depth=1
	v_lshrrev_b32_e32 v3, 24, v4
	s_delay_alu instid0(VALU_DEP_1)
	v_and_or_b32 v3, 0x80, v3, v6
	s_branch .LBB10_76
.LBB10_211:
	s_nop 0
	s_sendmsg sendmsg(MSG_DEALLOC_VGPRS)
	s_endpgm
	.section	.rodata,"a",@progbits
	.p2align	6, 0x0
	.amdhsa_kernel _ZN4vllm39rms_norm_dynamic_per_token_quant_kernelIN3c104HalfENS1_15Float8_e4m3fnuzELb0EEEvPT0_PfPKT_S9_PKffiiPS7_
		.amdhsa_group_segment_fixed_size 528
		.amdhsa_private_segment_fixed_size 0
		.amdhsa_kernarg_size 320
		.amdhsa_user_sgpr_count 15
		.amdhsa_user_sgpr_dispatch_ptr 0
		.amdhsa_user_sgpr_queue_ptr 0
		.amdhsa_user_sgpr_kernarg_segment_ptr 1
		.amdhsa_user_sgpr_dispatch_id 0
		.amdhsa_user_sgpr_private_segment_size 0
		.amdhsa_wavefront_size32 1
		.amdhsa_uses_dynamic_stack 0
		.amdhsa_enable_private_segment 0
		.amdhsa_system_sgpr_workgroup_id_x 1
		.amdhsa_system_sgpr_workgroup_id_y 0
		.amdhsa_system_sgpr_workgroup_id_z 0
		.amdhsa_system_sgpr_workgroup_info 0
		.amdhsa_system_vgpr_workitem_id 0
		.amdhsa_next_free_vgpr 25
		.amdhsa_next_free_sgpr 35
		.amdhsa_reserve_vcc 1
		.amdhsa_float_round_mode_32 0
		.amdhsa_float_round_mode_16_64 0
		.amdhsa_float_denorm_mode_32 3
		.amdhsa_float_denorm_mode_16_64 3
		.amdhsa_dx10_clamp 1
		.amdhsa_ieee_mode 1
		.amdhsa_fp16_overflow 0
		.amdhsa_workgroup_processor_mode 1
		.amdhsa_memory_ordered 1
		.amdhsa_forward_progress 0
		.amdhsa_shared_vgpr_count 0
		.amdhsa_exception_fp_ieee_invalid_op 0
		.amdhsa_exception_fp_denorm_src 0
		.amdhsa_exception_fp_ieee_div_zero 0
		.amdhsa_exception_fp_ieee_overflow 0
		.amdhsa_exception_fp_ieee_underflow 0
		.amdhsa_exception_fp_ieee_inexact 0
		.amdhsa_exception_int_div_zero 0
	.end_amdhsa_kernel
	.section	.text._ZN4vllm39rms_norm_dynamic_per_token_quant_kernelIN3c104HalfENS1_15Float8_e4m3fnuzELb0EEEvPT0_PfPKT_S9_PKffiiPS7_,"axG",@progbits,_ZN4vllm39rms_norm_dynamic_per_token_quant_kernelIN3c104HalfENS1_15Float8_e4m3fnuzELb0EEEvPT0_PfPKT_S9_PKffiiPS7_,comdat
.Lfunc_end10:
	.size	_ZN4vllm39rms_norm_dynamic_per_token_quant_kernelIN3c104HalfENS1_15Float8_e4m3fnuzELb0EEEvPT0_PfPKT_S9_PKffiiPS7_, .Lfunc_end10-_ZN4vllm39rms_norm_dynamic_per_token_quant_kernelIN3c104HalfENS1_15Float8_e4m3fnuzELb0EEEvPT0_PfPKT_S9_PKffiiPS7_
                                        ; -- End function
	.section	.AMDGPU.csdata,"",@progbits
; Kernel info:
; codeLenInByte = 12708
; NumSgprs: 37
; NumVgprs: 25
; ScratchSize: 0
; MemoryBound: 0
; FloatMode: 240
; IeeeMode: 1
; LDSByteSize: 528 bytes/workgroup (compile time only)
; SGPRBlocks: 4
; VGPRBlocks: 3
; NumSGPRsForWavesPerEU: 37
; NumVGPRsForWavesPerEU: 25
; Occupancy: 16
; WaveLimiterHint : 0
; COMPUTE_PGM_RSRC2:SCRATCH_EN: 0
; COMPUTE_PGM_RSRC2:USER_SGPR: 15
; COMPUTE_PGM_RSRC2:TRAP_HANDLER: 0
; COMPUTE_PGM_RSRC2:TGID_X_EN: 1
; COMPUTE_PGM_RSRC2:TGID_Y_EN: 0
; COMPUTE_PGM_RSRC2:TGID_Z_EN: 0
; COMPUTE_PGM_RSRC2:TIDIG_COMP_CNT: 0
	.section	.text._ZN4vllm39rms_norm_dynamic_per_token_quant_kernelIN3c104HalfEaLb0EEEvPT0_PfPKT_S8_PKffiiPS6_,"axG",@progbits,_ZN4vllm39rms_norm_dynamic_per_token_quant_kernelIN3c104HalfEaLb0EEEvPT0_PfPKT_S8_PKffiiPS6_,comdat
	.protected	_ZN4vllm39rms_norm_dynamic_per_token_quant_kernelIN3c104HalfEaLb0EEEvPT0_PfPKT_S8_PKffiiPS6_ ; -- Begin function _ZN4vllm39rms_norm_dynamic_per_token_quant_kernelIN3c104HalfEaLb0EEEvPT0_PfPKT_S8_PKffiiPS6_
	.globl	_ZN4vllm39rms_norm_dynamic_per_token_quant_kernelIN3c104HalfEaLb0EEEvPT0_PfPKT_S8_PKffiiPS6_
	.p2align	8
	.type	_ZN4vllm39rms_norm_dynamic_per_token_quant_kernelIN3c104HalfEaLb0EEEvPT0_PfPKT_S8_PKffiiPS6_,@function
_ZN4vllm39rms_norm_dynamic_per_token_quant_kernelIN3c104HalfEaLb0EEEvPT0_PfPKT_S8_PKffiiPS6_: ; @_ZN4vllm39rms_norm_dynamic_per_token_quant_kernelIN3c104HalfEaLb0EEEvPT0_PfPKT_S8_PKffiiPS6_
; %bb.0:
	s_mov_b32 s24, s15
	s_clause 0x2
	s_load_b128 s[20:23], s[0:1], 0x28
	s_load_b64 s[26:27], s[0:1], 0x20
	s_load_b256 s[12:19], s[0:1], 0x0
	s_waitcnt lgkmcnt(0)
	s_or_b32 s2, s22, s21
	s_delay_alu instid0(SALU_CYCLE_1) | instskip(NEXT) | instid1(SALU_CYCLE_1)
	s_and_b32 s2, s2, 3
	s_cmp_lg_u32 s2, 0
	s_cbranch_scc0 .LBB11_31
; %bb.1:
	v_cmp_gt_u32_e64 s2, s21, v0
	v_cmp_le_u32_e64 s3, s21, v0
                                        ; implicit-def: $sgpr7
                                        ; implicit-def: $sgpr4_sgpr5
	s_delay_alu instid0(VALU_DEP_1) | instskip(NEXT) | instid1(SALU_CYCLE_1)
	s_and_saveexec_b32 s6, s3
	s_xor_b32 s6, exec_lo, s6
; %bb.2:
	s_add_u32 s4, s0, 64
	s_addc_u32 s5, s1, 0
	s_mov_b32 s7, 0
; %bb.3:
	s_or_saveexec_b32 s6, s6
	v_dual_mov_b32 v1, s4 :: v_dual_mov_b32 v4, s24
	v_dual_mov_b32 v3, s7 :: v_dual_mov_b32 v2, s5
	s_xor_b32 exec_lo, exec_lo, s6
	s_cbranch_execz .LBB11_7
; %bb.4:
	s_load_b32 s9, s[0:1], 0x4c
	s_ashr_i32 s5, s22, 31
	s_mul_hi_u32 s7, s22, s24
	s_mul_i32 s5, s5, s24
	s_mul_i32 s4, s22, s24
	s_add_i32 s5, s7, s5
	v_dual_mov_b32 v2, 0 :: v_dual_mov_b32 v3, 0
	s_lshl_b64 s[4:5], s[4:5], 1
	v_mov_b32_e32 v1, v0
	s_add_u32 s7, s16, s4
	s_addc_u32 s8, s17, s5
	s_add_u32 s4, s0, 64
	s_addc_u32 s5, s1, 0
	s_waitcnt lgkmcnt(0)
	s_and_b32 s10, s9, 0xffff
	s_mov_b32 s9, 0
.LBB11_5:                               ; =>This Inner Loop Header: Depth=1
	v_lshlrev_b64 v[4:5], 1, v[1:2]
	v_add_nc_u32_e32 v1, s10, v1
	s_delay_alu instid0(VALU_DEP_2) | instskip(NEXT) | instid1(VALU_DEP_3)
	v_add_co_u32 v4, vcc_lo, s7, v4
	v_add_co_ci_u32_e32 v5, vcc_lo, s8, v5, vcc_lo
	s_delay_alu instid0(VALU_DEP_3)
	v_cmp_le_u32_e32 vcc_lo, s21, v1
	global_load_u16 v4, v[4:5], off
	s_or_b32 s9, vcc_lo, s9
	s_waitcnt vmcnt(0)
	v_fma_mix_f32 v3, v4, v4, v3 op_sel_hi:[1,1,0]
	s_and_not1_b32 exec_lo, exec_lo, s9
	s_cbranch_execnz .LBB11_5
; %bb.6:
	s_or_b32 exec_lo, exec_lo, s9
	v_dual_mov_b32 v1, s4 :: v_dual_mov_b32 v2, s5
	v_mov_b32_e32 v4, s24
.LBB11_7:
	s_or_b32 exec_lo, exec_lo, s6
	global_load_b32 v5, v[1:2], off
	v_and_b32_e32 v14, 0x3e0, v0
	s_waitcnt vmcnt(0)
	v_cmp_lt_u32_e32 vcc_lo, v4, v5
	v_cndmask_b32_e64 v4, 18, 12, vcc_lo
	s_delay_alu instid0(VALU_DEP_1) | instskip(SKIP_3) | instid1(VALU_DEP_1)
	v_add_co_u32 v1, vcc_lo, v1, v4
	v_add_co_ci_u32_e32 v2, vcc_lo, 0, v2, vcc_lo
	global_load_u16 v1, v[1:2], off
	v_mbcnt_lo_u32_b32 v2, -1, 0
	v_cmp_ne_u32_e32 vcc_lo, 31, v2
	v_add_nc_u32_e32 v5, 1, v2
	v_cmp_eq_u32_e64 s5, 0, v2
	v_add_co_ci_u32_e32 v4, vcc_lo, 0, v2, vcc_lo
	v_cmp_gt_u32_e32 vcc_lo, 30, v2
	s_delay_alu instid0(VALU_DEP_2) | instskip(SKIP_4) | instid1(VALU_DEP_1)
	v_lshlrev_b32_e32 v4, 2, v4
	v_cndmask_b32_e64 v7, 0, 1, vcc_lo
	ds_bpermute_b32 v6, v4, v3
	s_waitcnt lgkmcnt(0)
	v_dual_add_f32 v8, v3, v6 :: v_dual_lshlrev_b32 v7, 1, v7
	v_add_lshl_u32 v6, v7, v2, 2
	s_waitcnt vmcnt(0)
	v_sub_nc_u32_e64 v15, v1, v14 clamp
	s_delay_alu instid0(VALU_DEP_1) | instskip(SKIP_3) | instid1(VALU_DEP_1)
	v_cmp_lt_u32_e32 vcc_lo, v5, v15
	v_cndmask_b32_e32 v3, v3, v8, vcc_lo
	v_cmp_gt_u32_e32 vcc_lo, 28, v2
	v_cndmask_b32_e64 v8, 0, 1, vcc_lo
	v_lshlrev_b32_e32 v9, 2, v8
	v_add_nc_u32_e32 v8, 2, v2
	ds_bpermute_b32 v7, v6, v3
	v_cmp_lt_u32_e32 vcc_lo, v8, v15
	s_waitcnt lgkmcnt(0)
	v_add_f32_e32 v10, v3, v7
	v_add_lshl_u32 v7, v9, v2, 2
	s_delay_alu instid0(VALU_DEP_2) | instskip(SKIP_4) | instid1(VALU_DEP_1)
	v_cndmask_b32_e32 v3, v3, v10, vcc_lo
	v_cmp_gt_u32_e32 vcc_lo, 24, v2
	ds_bpermute_b32 v9, v7, v3
	v_cndmask_b32_e64 v10, 0, 1, vcc_lo
	s_waitcnt lgkmcnt(0)
	v_dual_add_f32 v12, v3, v9 :: v_dual_lshlrev_b32 v11, 3, v10
	v_add_nc_u32_e32 v10, 4, v2
	s_delay_alu instid0(VALU_DEP_2) | instskip(NEXT) | instid1(VALU_DEP_2)
	v_add_lshl_u32 v9, v11, v2, 2
	v_cmp_lt_u32_e32 vcc_lo, v10, v15
	s_delay_alu instid0(VALU_DEP_4) | instskip(SKIP_4) | instid1(VALU_DEP_1)
	v_cndmask_b32_e32 v3, v3, v12, vcc_lo
	v_cmp_gt_u32_e32 vcc_lo, 16, v2
	ds_bpermute_b32 v11, v9, v3
	v_cndmask_b32_e64 v12, 0, 1, vcc_lo
	s_waitcnt lgkmcnt(0)
	v_dual_add_f32 v16, v3, v11 :: v_dual_lshlrev_b32 v13, 4, v12
	v_add_nc_u32_e32 v12, 8, v2
	s_delay_alu instid0(VALU_DEP_2) | instskip(NEXT) | instid1(VALU_DEP_2)
	v_add_lshl_u32 v11, v13, v2, 2
	v_cmp_lt_u32_e32 vcc_lo, v12, v15
	s_delay_alu instid0(VALU_DEP_4) | instskip(SKIP_3) | instid1(VALU_DEP_1)
	v_cndmask_b32_e32 v3, v3, v16, vcc_lo
	ds_bpermute_b32 v16, v11, v3
	s_waitcnt lgkmcnt(0)
	v_dual_add_f32 v16, v3, v16 :: v_dual_add_nc_u32 v13, 16, v2
	v_cmp_lt_u32_e32 vcc_lo, v13, v15
	s_delay_alu instid0(VALU_DEP_2)
	v_cndmask_b32_e32 v3, v3, v16, vcc_lo
	s_and_saveexec_b32 s4, s5
	s_cbranch_execz .LBB11_9
; %bb.8:
	v_lshrrev_b32_e32 v15, 3, v0
	s_delay_alu instid0(VALU_DEP_1)
	v_and_b32_e32 v15, 0x7c, v15
	ds_store_b32 v15, v3 offset:256
.LBB11_9:
	s_or_b32 exec_lo, exec_lo, s4
	v_cmp_gt_u32_e64 s6, 32, v0
	v_lshlrev_b32_e32 v15, 2, v2
	s_waitcnt lgkmcnt(0)
	s_barrier
	buffer_gl0_inv
	s_and_saveexec_b32 s4, s6
	s_cbranch_execz .LBB11_11
; %bb.10:
	ds_load_b32 v2, v15 offset:256
	s_waitcnt lgkmcnt(0)
	ds_bpermute_b32 v3, v4, v2
	s_waitcnt lgkmcnt(0)
	v_add_f32_e32 v3, v2, v3
	v_add_nc_u32_e32 v1, 31, v1
	s_delay_alu instid0(VALU_DEP_1) | instskip(NEXT) | instid1(VALU_DEP_1)
	v_lshrrev_b32_e32 v1, 5, v1
	v_cmp_lt_u32_e32 vcc_lo, v5, v1
	s_delay_alu instid0(VALU_DEP_4) | instskip(SKIP_4) | instid1(VALU_DEP_1)
	v_cndmask_b32_e32 v2, v2, v3, vcc_lo
	v_cmp_lt_u32_e32 vcc_lo, v8, v1
	ds_bpermute_b32 v3, v6, v2
	s_waitcnt lgkmcnt(0)
	v_add_f32_e32 v3, v2, v3
	v_cndmask_b32_e32 v2, v2, v3, vcc_lo
	v_cmp_lt_u32_e32 vcc_lo, v10, v1
	ds_bpermute_b32 v3, v7, v2
	s_waitcnt lgkmcnt(0)
	v_add_f32_e32 v3, v2, v3
	s_delay_alu instid0(VALU_DEP_1) | instskip(SKIP_4) | instid1(VALU_DEP_1)
	v_cndmask_b32_e32 v2, v2, v3, vcc_lo
	v_cmp_lt_u32_e32 vcc_lo, v12, v1
	ds_bpermute_b32 v3, v9, v2
	s_waitcnt lgkmcnt(0)
	v_add_f32_e32 v3, v2, v3
	v_cndmask_b32_e32 v2, v2, v3, vcc_lo
	v_cmp_lt_u32_e32 vcc_lo, v13, v1
	ds_bpermute_b32 v3, v11, v2
	s_waitcnt lgkmcnt(0)
	v_add_f32_e32 v3, v2, v3
	s_delay_alu instid0(VALU_DEP_1)
	v_cndmask_b32_e32 v3, v2, v3, vcc_lo
.LBB11_11:
	s_or_b32 exec_lo, exec_lo, s4
	v_cmp_eq_u32_e64 s4, 0, v0
	s_mov_b32 s25, 0
	s_delay_alu instid0(VALU_DEP_1)
	s_and_saveexec_b32 s7, s4
	s_cbranch_execz .LBB11_13
; %bb.12:
	v_cvt_f32_i32_e32 v1, s21
	s_delay_alu instid0(VALU_DEP_1) | instskip(SKIP_1) | instid1(VALU_DEP_2)
	v_div_scale_f32 v2, null, v1, v1, v3
	v_div_scale_f32 v18, vcc_lo, v3, v1, v3
	v_rcp_f32_e32 v16, v2
	s_waitcnt_depctr 0xfff
	v_fma_f32 v17, -v2, v16, 1.0
	s_delay_alu instid0(VALU_DEP_1) | instskip(NEXT) | instid1(VALU_DEP_1)
	v_fmac_f32_e32 v16, v17, v16
	v_mul_f32_e32 v17, v18, v16
	s_delay_alu instid0(VALU_DEP_1) | instskip(NEXT) | instid1(VALU_DEP_1)
	v_fma_f32 v19, -v2, v17, v18
	v_fmac_f32_e32 v17, v19, v16
	s_delay_alu instid0(VALU_DEP_1) | instskip(NEXT) | instid1(VALU_DEP_1)
	v_fma_f32 v2, -v2, v17, v18
	v_div_fmas_f32 v2, v2, v16, v17
	s_delay_alu instid0(VALU_DEP_1) | instskip(NEXT) | instid1(VALU_DEP_1)
	v_div_fixup_f32 v1, v2, v1, v3
	v_add_f32_e32 v1, s20, v1
	s_delay_alu instid0(VALU_DEP_1) | instskip(SKIP_1) | instid1(VALU_DEP_2)
	v_mul_f32_e32 v2, 0x4b800000, v1
	v_cmp_gt_f32_e32 vcc_lo, 0x800000, v1
	v_cndmask_b32_e32 v1, v1, v2, vcc_lo
	s_delay_alu instid0(VALU_DEP_1) | instskip(SKIP_2) | instid1(VALU_DEP_1)
	v_rsq_f32_e32 v1, v1
	s_waitcnt_depctr 0xfff
	v_mul_f32_e32 v2, 0x45800000, v1
	v_dual_cndmask_b32 v1, v1, v2 :: v_dual_mov_b32 v2, 0
	ds_store_b32 v2, v1 offset:520
.LBB11_13:
	s_or_b32 exec_lo, exec_lo, s7
	v_mov_b32_e32 v1, 0
	s_waitcnt lgkmcnt(0)
	s_barrier
	buffer_gl0_inv
                                        ; implicit-def: $sgpr7
                                        ; implicit-def: $sgpr8_sgpr9
	ds_load_b32 v3, v1 offset:520
	s_waitcnt lgkmcnt(0)
	s_barrier
	buffer_gl0_inv
	s_and_saveexec_b32 s10, s3
	s_delay_alu instid0(SALU_CYCLE_1)
	s_xor_b32 s3, exec_lo, s10
; %bb.14:
	s_add_u32 s8, s0, 64
	s_addc_u32 s9, s1, 0
	s_mov_b32 s7, 0
; %bb.15:
	s_or_saveexec_b32 s3, s3
	v_dual_mov_b32 v16, s7 :: v_dual_mov_b32 v1, s8
	v_mov_b32_e32 v2, s9
	s_mul_hi_u32 s11, s22, s24
	s_mul_i32 s28, s22, s24
	s_xor_b32 exec_lo, exec_lo, s3
	s_cbranch_execz .LBB11_19
; %bb.16:
	s_load_b32 s23, s[0:1], 0x4c
	s_ashr_i32 s7, s22, 31
	v_dual_mov_b32 v2, 0 :: v_dual_mov_b32 v1, v0
	s_mul_i32 s7, s7, s24
	v_mov_b32_e32 v16, 0
	s_add_i32 s29, s11, s7
	s_delay_alu instid0(SALU_CYCLE_1) | instskip(NEXT) | instid1(SALU_CYCLE_1)
	s_lshl_b64 s[8:9], s[28:29], 1
	s_add_u32 s7, s16, s8
	s_addc_u32 s10, s17, s9
	s_add_u32 s8, s0, 64
	s_addc_u32 s9, s1, 0
	s_waitcnt lgkmcnt(0)
	s_and_b32 s29, s23, 0xffff
	s_mov_b32 s23, 0
	.p2align	6
.LBB11_17:                              ; =>This Inner Loop Header: Depth=1
	v_lshlrev_b64 v[17:18], 1, v[1:2]
	s_delay_alu instid0(VALU_DEP_2) | instskip(NEXT) | instid1(VALU_DEP_2)
	v_dual_max_f32 v16, v16, v16 :: v_dual_add_nc_u32 v1, s29, v1
	v_add_co_u32 v19, vcc_lo, s7, v17
	s_delay_alu instid0(VALU_DEP_3)
	v_add_co_ci_u32_e32 v20, vcc_lo, s10, v18, vcc_lo
	v_add_co_u32 v17, vcc_lo, s18, v17
	v_add_co_ci_u32_e32 v18, vcc_lo, s19, v18, vcc_lo
	v_cmp_le_u32_e32 vcc_lo, s21, v1
	global_load_u16 v19, v[19:20], off
	global_load_u16 v17, v[17:18], off
	s_or_b32 s23, vcc_lo, s23
	s_waitcnt vmcnt(1)
	v_fma_mixlo_f16 v18, v3, v19, 0 op_sel_hi:[0,1,0]
	s_waitcnt vmcnt(0)
	s_delay_alu instid0(VALU_DEP_1) | instskip(NEXT) | instid1(VALU_DEP_1)
	v_mul_f16_e32 v17, v17, v18
	v_cvt_f32_f16_e64 v17, |v17|
	s_delay_alu instid0(VALU_DEP_1)
	v_max_f32_e32 v16, v16, v17
	s_and_not1_b32 exec_lo, exec_lo, s23
	s_cbranch_execnz .LBB11_17
; %bb.18:
	s_or_b32 exec_lo, exec_lo, s23
	v_dual_mov_b32 v1, s8 :: v_dual_mov_b32 v2, s9
.LBB11_19:
	s_or_b32 exec_lo, exec_lo, s3
	global_load_b32 v17, v[1:2], off
	s_waitcnt vmcnt(0)
	v_cmp_lt_u32_e32 vcc_lo, s24, v17
	v_cndmask_b32_e64 v17, 18, 12, vcc_lo
	s_delay_alu instid0(VALU_DEP_1)
	v_add_co_u32 v1, vcc_lo, v1, v17
	v_add_co_ci_u32_e32 v2, vcc_lo, 0, v2, vcc_lo
	global_load_u16 v1, v[1:2], off
	ds_bpermute_b32 v2, v4, v16
	s_waitcnt lgkmcnt(0)
	v_cmp_lt_f32_e32 vcc_lo, v16, v2
	v_cndmask_b32_e32 v2, v16, v2, vcc_lo
	s_waitcnt vmcnt(0)
	v_sub_nc_u32_e64 v14, v1, v14 clamp
	s_delay_alu instid0(VALU_DEP_1)
	v_cmp_lt_u32_e32 vcc_lo, v5, v14
	v_cmp_lt_u32_e64 s9, v13, v14
	v_cndmask_b32_e32 v2, v16, v2, vcc_lo
	ds_bpermute_b32 v17, v6, v2
	s_waitcnt lgkmcnt(0)
	v_cmp_lt_f32_e64 s3, v2, v17
	s_delay_alu instid0(VALU_DEP_1) | instskip(SKIP_1) | instid1(VALU_DEP_1)
	v_cndmask_b32_e64 v17, v2, v17, s3
	v_cmp_lt_u32_e64 s3, v8, v14
	v_cndmask_b32_e64 v2, v2, v17, s3
	s_or_b32 s3, vcc_lo, s3
	ds_bpermute_b32 v17, v7, v2
	s_waitcnt lgkmcnt(0)
	v_cmp_lt_f32_e64 s7, v2, v17
	s_delay_alu instid0(VALU_DEP_1) | instskip(SKIP_1) | instid1(VALU_DEP_1)
	v_cndmask_b32_e64 v17, v2, v17, s7
	v_cmp_lt_u32_e64 s7, v10, v14
	v_cndmask_b32_e64 v2, v2, v17, s7
	s_or_b32 s3, s7, s3
	ds_bpermute_b32 v17, v9, v2
	s_waitcnt lgkmcnt(0)
	v_cmp_lt_f32_e64 s8, v2, v17
	s_delay_alu instid0(VALU_DEP_1) | instskip(SKIP_1) | instid1(VALU_DEP_1)
	v_cndmask_b32_e64 v17, v2, v17, s8
	v_cmp_lt_u32_e64 s8, v12, v14
	v_cndmask_b32_e64 v2, v2, v17, s8
	s_or_b32 s3, s8, s3
	ds_bpermute_b32 v17, v11, v2
	s_waitcnt lgkmcnt(0)
	v_cmp_lt_f32_e64 s10, v2, v17
	s_delay_alu instid0(VALU_DEP_1) | instskip(SKIP_2) | instid1(VALU_DEP_1)
	s_and_b32 vcc_lo, s9, s10
	v_cndmask_b32_e32 v2, v2, v17, vcc_lo
	s_or_b32 vcc_lo, s9, s3
	v_cndmask_b32_e32 v2, v16, v2, vcc_lo
	s_and_saveexec_b32 s3, s5
	s_cbranch_execz .LBB11_21
; %bb.20:
	v_lshrrev_b32_e32 v14, 3, v0
	s_delay_alu instid0(VALU_DEP_1)
	v_and_b32_e32 v14, 0x7c, v14
	ds_store_b32 v14, v2 offset:384
.LBB11_21:
	s_or_b32 exec_lo, exec_lo, s3
	s_waitcnt lgkmcnt(0)
	s_barrier
	buffer_gl0_inv
	s_and_saveexec_b32 s9, s6
	s_cbranch_execz .LBB11_23
; %bb.22:
	ds_load_b32 v2, v15 offset:384
	s_waitcnt lgkmcnt(0)
	ds_bpermute_b32 v4, v4, v2
	s_waitcnt lgkmcnt(0)
	v_cmp_lt_f32_e32 vcc_lo, v2, v4
	v_dual_cndmask_b32 v4, v2, v4 :: v_dual_add_nc_u32 v1, 31, v1
	s_delay_alu instid0(VALU_DEP_1) | instskip(NEXT) | instid1(VALU_DEP_1)
	v_lshrrev_b32_e32 v1, 5, v1
	v_cmp_lt_u32_e32 vcc_lo, v5, v1
	v_cmp_lt_u32_e64 s7, v13, v1
	s_delay_alu instid0(VALU_DEP_4) | instskip(SKIP_3) | instid1(VALU_DEP_1)
	v_cndmask_b32_e32 v4, v2, v4, vcc_lo
	ds_bpermute_b32 v5, v6, v4
	s_waitcnt lgkmcnt(0)
	v_cmp_lt_f32_e64 s3, v4, v5
	v_cndmask_b32_e64 v5, v4, v5, s3
	v_cmp_lt_u32_e64 s3, v8, v1
	s_delay_alu instid0(VALU_DEP_1) | instskip(SKIP_4) | instid1(VALU_DEP_1)
	v_cndmask_b32_e64 v4, v4, v5, s3
	s_or_b32 s3, vcc_lo, s3
	ds_bpermute_b32 v5, v7, v4
	s_waitcnt lgkmcnt(0)
	v_cmp_lt_f32_e64 s5, v4, v5
	v_cndmask_b32_e64 v5, v4, v5, s5
	v_cmp_lt_u32_e64 s5, v10, v1
	s_delay_alu instid0(VALU_DEP_1) | instskip(SKIP_4) | instid1(VALU_DEP_1)
	v_cndmask_b32_e64 v4, v4, v5, s5
	s_or_b32 s3, s5, s3
	ds_bpermute_b32 v5, v9, v4
	s_waitcnt lgkmcnt(0)
	v_cmp_lt_f32_e64 s6, v4, v5
	v_cndmask_b32_e64 v5, v4, v5, s6
	v_cmp_lt_u32_e64 s6, v12, v1
	s_delay_alu instid0(VALU_DEP_1) | instskip(SKIP_4) | instid1(VALU_DEP_1)
	v_cndmask_b32_e64 v4, v4, v5, s6
	s_or_b32 s3, s6, s3
	ds_bpermute_b32 v5, v11, v4
	s_waitcnt lgkmcnt(0)
	v_cmp_lt_f32_e64 s8, v4, v5
	s_and_b32 vcc_lo, s7, s8
	v_cndmask_b32_e32 v1, v4, v5, vcc_lo
	s_or_b32 vcc_lo, s7, s3
	s_delay_alu instid0(VALU_DEP_1)
	v_cndmask_b32_e32 v2, v2, v1, vcc_lo
.LBB11_23:
	s_or_b32 exec_lo, exec_lo, s9
	s_and_saveexec_b32 s3, s4
	s_cbranch_execz .LBB11_27
; %bb.24:
	s_cmp_eq_u64 s[26:27], 0
	s_cbranch_scc1 .LBB11_26
; %bb.25:
	s_load_b32 s4, s[26:27], 0x0
	v_max_f32_e32 v1, v2, v2
	s_waitcnt lgkmcnt(0)
	v_max_f32_e64 v2, s4, s4
	s_delay_alu instid0(VALU_DEP_1)
	v_min_f32_e32 v2, v1, v2
.LBB11_26:
	s_delay_alu instid0(VALU_DEP_1) | instskip(SKIP_2) | instid1(VALU_DEP_2)
	v_div_scale_f32 v1, null, 0x42fe0000, 0x42fe0000, v2
	v_div_scale_f32 v6, vcc_lo, v2, 0x42fe0000, v2
	s_lshl_b64 s[4:5], s[24:25], 2
	v_rcp_f32_e32 v4, v1
	s_add_u32 s4, s14, s4
	s_addc_u32 s5, s15, s5
	s_waitcnt_depctr 0xfff
	v_fma_f32 v5, -v1, v4, 1.0
	s_delay_alu instid0(VALU_DEP_1) | instskip(NEXT) | instid1(VALU_DEP_1)
	v_fmac_f32_e32 v4, v5, v4
	v_mul_f32_e32 v5, v6, v4
	s_delay_alu instid0(VALU_DEP_1) | instskip(NEXT) | instid1(VALU_DEP_1)
	v_fma_f32 v7, -v1, v5, v6
	v_fmac_f32_e32 v5, v7, v4
	s_delay_alu instid0(VALU_DEP_1) | instskip(NEXT) | instid1(VALU_DEP_1)
	v_fma_f32 v1, -v1, v5, v6
	v_div_fmas_f32 v1, v1, v4, v5
	s_delay_alu instid0(VALU_DEP_1) | instskip(NEXT) | instid1(VALU_DEP_1)
	v_div_fixup_f32 v1, v1, 0x42fe0000, v2
	v_dual_mov_b32 v2, 0 :: v_dual_max_f32 v1, 0x34000000, v1
	ds_store_b32 v2, v1 offset:524
	global_store_b32 v2, v1, s[4:5]
.LBB11_27:
	s_or_b32 exec_lo, exec_lo, s3
	s_waitcnt lgkmcnt(0)
	s_waitcnt_vscnt null, 0x0
	s_barrier
	buffer_gl0_inv
	s_and_saveexec_b32 s4, s2
	s_cbranch_execz .LBB11_30
; %bb.28:
	v_mov_b32_e32 v2, 0
	s_load_b32 s7, s[0:1], 0x4c
	s_ashr_i32 s3, s22, 31
	s_ashr_i32 s2, s21, 31
	s_mul_i32 s3, s3, s24
	ds_load_b32 v1, v2 offset:524
	s_add_i32 s29, s11, s3
	s_mul_hi_u32 s5, s21, s24
	s_mul_i32 s6, s2, s24
	s_lshl_b64 s[2:3], s[28:29], 1
	s_add_i32 s9, s5, s6
	s_mul_i32 s8, s21, s24
	s_add_u32 s5, s16, s2
	s_addc_u32 s6, s17, s3
	s_add_u32 s2, s12, s8
	s_addc_u32 s3, s13, s9
	s_mov_b32 s8, 0
	s_waitcnt lgkmcnt(0)
	s_and_b32 s7, s7, 0xffff
	v_div_scale_f32 v4, null, v1, v1, 1.0
	v_div_scale_f32 v7, vcc_lo, 1.0, v1, 1.0
	s_delay_alu instid0(VALU_DEP_2) | instskip(SKIP_2) | instid1(VALU_DEP_1)
	v_rcp_f32_e32 v5, v4
	s_waitcnt_depctr 0xfff
	v_fma_f32 v6, -v4, v5, 1.0
	v_fmac_f32_e32 v5, v6, v5
	s_delay_alu instid0(VALU_DEP_1) | instskip(NEXT) | instid1(VALU_DEP_1)
	v_mul_f32_e32 v6, v7, v5
	v_fma_f32 v8, -v4, v6, v7
	s_delay_alu instid0(VALU_DEP_1) | instskip(NEXT) | instid1(VALU_DEP_1)
	v_fmac_f32_e32 v6, v8, v5
	v_fma_f32 v4, -v4, v6, v7
	s_delay_alu instid0(VALU_DEP_1) | instskip(NEXT) | instid1(VALU_DEP_1)
	v_div_fmas_f32 v4, v4, v5, v6
	v_div_fixup_f32 v4, v4, v1, 1.0
	v_mov_b32_e32 v1, v0
	s_set_inst_prefetch_distance 0x1
	.p2align	6
.LBB11_29:                              ; =>This Inner Loop Header: Depth=1
	s_delay_alu instid0(VALU_DEP_1) | instskip(NEXT) | instid1(VALU_DEP_1)
	v_lshlrev_b64 v[5:6], 1, v[1:2]
	v_add_co_u32 v7, vcc_lo, s5, v5
	s_delay_alu instid0(VALU_DEP_2)
	v_add_co_ci_u32_e32 v8, vcc_lo, s6, v6, vcc_lo
	v_add_co_u32 v5, vcc_lo, s18, v5
	v_add_co_ci_u32_e32 v6, vcc_lo, s19, v6, vcc_lo
	global_load_u16 v7, v[7:8], off
	global_load_u16 v5, v[5:6], off
	s_waitcnt vmcnt(1)
	v_fma_mixlo_f16 v6, v3, v7, 0 op_sel_hi:[0,1,0]
	s_waitcnt vmcnt(0)
	s_delay_alu instid0(VALU_DEP_1) | instskip(NEXT) | instid1(VALU_DEP_1)
	v_mul_f16_e32 v5, v5, v6
	v_cvt_f32_f16_e32 v5, v5
	s_delay_alu instid0(VALU_DEP_1) | instskip(NEXT) | instid1(VALU_DEP_1)
	v_mul_f32_e32 v5, v4, v5
	v_rndne_f32_e32 v5, v5
	s_delay_alu instid0(VALU_DEP_1) | instskip(SKIP_2) | instid1(VALU_DEP_2)
	v_cmp_nlt_f32_e32 vcc_lo, 0x42fe0000, v5
	v_cndmask_b32_e32 v6, 0x42fe0000, v5, vcc_lo
	v_cmp_ngt_f32_e32 vcc_lo, 0xc3000000, v5
	v_cndmask_b32_e32 v5, 0xc3000000, v6, vcc_lo
	s_delay_alu instid0(VALU_DEP_1) | instskip(SKIP_2) | instid1(VALU_DEP_1)
	v_cvt_i32_f32_e32 v5, v5
	global_store_b8 v1, v5, s[2:3]
	v_add_nc_u32_e32 v1, s7, v1
	v_cmp_le_u32_e32 vcc_lo, s21, v1
	s_or_b32 s8, vcc_lo, s8
	s_delay_alu instid0(SALU_CYCLE_1)
	s_and_not1_b32 exec_lo, exec_lo, s8
	s_cbranch_execnz .LBB11_29
.LBB11_30:
	s_set_inst_prefetch_distance 0x2
	s_or_b32 exec_lo, exec_lo, s4
	s_branch .LBB11_75
.LBB11_31:
	s_cbranch_execz .LBB11_75
; %bb.32:
	s_load_b32 s3, s[0:1], 0x40
	s_ashr_i32 s2, s22, 31
	s_mul_hi_u32 s4, s22, s24
	s_mul_i32 s2, s2, s24
	v_mov_b32_e32 v6, 0
	s_add_i32 s5, s4, s2
	s_mul_i32 s4, s22, s24
	s_mov_b32 s25, 0
	s_lshl_b64 s[4:5], s[4:5], 1
	s_delay_alu instid0(SALU_CYCLE_1)
	s_add_u32 s9, s16, s4
	s_addc_u32 s10, s17, s5
	s_ashr_i32 s11, s21, 2
	s_add_u32 s0, s0, 64
	v_cmp_gt_u32_e64 s2, s11, v0
	s_addc_u32 s1, s1, 0
	s_delay_alu instid0(VALU_DEP_1)
	s_and_saveexec_b32 s4, s2
	s_cbranch_execz .LBB11_42
; %bb.33:
	s_waitcnt lgkmcnt(0)
	s_cmp_lt_u32 s24, s3
	v_mov_b32_e32 v2, 0
	s_cselect_b32 s5, 12, 18
	v_mov_b32_e32 v1, v0
	s_add_u32 s6, s0, s5
	s_addc_u32 s7, s1, 0
	s_mov_b32 s5, s25
	global_load_u16 v7, v2, s[6:7]
                                        ; implicit-def: $sgpr6
	s_waitcnt vmcnt(0)
	v_lshlrev_b32_e32 v9, 1, v7
	v_mul_lo_u32 v8, v7, 3
	v_add_nc_u32_e32 v10, v7, v7
	v_mov_b32_e32 v6, v2
	s_branch .LBB11_37
.LBB11_34:                              ;   in Loop: Header=BB11_37 Depth=1
	s_or_b32 exec_lo, exec_lo, s16
	s_delay_alu instid0(SALU_CYCLE_1)
	s_or_not1_b32 s16, s17, exec_lo
.LBB11_35:                              ;   in Loop: Header=BB11_37 Depth=1
	s_or_b32 exec_lo, exec_lo, s8
	s_delay_alu instid0(SALU_CYCLE_1) | instskip(SKIP_1) | instid1(SALU_CYCLE_1)
	s_and_not1_b32 s6, s6, exec_lo
	s_and_b32 s8, s16, exec_lo
	s_or_b32 s6, s6, s8
.LBB11_36:                              ;   in Loop: Header=BB11_37 Depth=1
	s_or_b32 exec_lo, exec_lo, s7
	s_delay_alu instid0(SALU_CYCLE_1) | instskip(NEXT) | instid1(SALU_CYCLE_1)
	s_and_b32 s7, exec_lo, s6
	s_or_b32 s5, s7, s5
	s_delay_alu instid0(SALU_CYCLE_1)
	s_and_not1_b32 exec_lo, exec_lo, s5
	s_cbranch_execz .LBB11_41
.LBB11_37:                              ; =>This Inner Loop Header: Depth=1
	v_lshlrev_b64 v[3:4], 3, v[1:2]
	s_or_b32 s6, s6, exec_lo
	s_mov_b32 s7, exec_lo
	s_delay_alu instid0(VALU_DEP_1) | instskip(NEXT) | instid1(VALU_DEP_2)
	v_add_co_u32 v3, vcc_lo, s9, v3
	v_add_co_ci_u32_e32 v4, vcc_lo, s10, v4, vcc_lo
	global_load_b64 v[3:4], v[3:4], off
	s_waitcnt vmcnt(0)
	v_fma_mix_f32 v5, v3, v3, v6 op_sel_hi:[1,1,0]
	s_delay_alu instid0(VALU_DEP_1) | instskip(NEXT) | instid1(VALU_DEP_1)
	v_fma_mix_f32 v3, v3, v3, v5 op_sel:[1,1,0] op_sel_hi:[1,1,0]
	v_fma_mix_f32 v5, v4, v4, v3 op_sel_hi:[1,1,0]
	v_add_nc_u32_e32 v3, v1, v7
	s_delay_alu instid0(VALU_DEP_2) | instskip(NEXT) | instid1(VALU_DEP_2)
	v_fma_mix_f32 v6, v4, v4, v5 op_sel:[1,1,0] op_sel_hi:[1,1,0]
	v_cmpx_gt_u32_e64 s11, v3
	s_cbranch_execz .LBB11_36
; %bb.38:                               ;   in Loop: Header=BB11_37 Depth=1
	v_mov_b32_e32 v4, v2
	s_mov_b32 s16, -1
	s_mov_b32 s8, exec_lo
	s_delay_alu instid0(VALU_DEP_1) | instskip(NEXT) | instid1(VALU_DEP_1)
	v_lshlrev_b64 v[4:5], 3, v[3:4]
	v_add_co_u32 v4, vcc_lo, s9, v4
	s_delay_alu instid0(VALU_DEP_2) | instskip(SKIP_3) | instid1(VALU_DEP_1)
	v_add_co_ci_u32_e32 v5, vcc_lo, s10, v5, vcc_lo
	global_load_b64 v[4:5], v[4:5], off
	s_waitcnt vmcnt(0)
	v_fma_mix_f32 v6, v4, v4, v6 op_sel_hi:[1,1,0]
	v_fma_mix_f32 v4, v4, v4, v6 op_sel:[1,1,0] op_sel_hi:[1,1,0]
	s_delay_alu instid0(VALU_DEP_1) | instskip(SKIP_1) | instid1(VALU_DEP_2)
	v_fma_mix_f32 v6, v5, v5, v4 op_sel_hi:[1,1,0]
	v_add_nc_u32_e32 v4, v9, v1
	v_fma_mix_f32 v6, v5, v5, v6 op_sel:[1,1,0] op_sel_hi:[1,1,0]
	s_delay_alu instid0(VALU_DEP_2)
	v_cmpx_gt_u32_e64 s11, v4
	s_cbranch_execz .LBB11_35
; %bb.39:                               ;   in Loop: Header=BB11_37 Depth=1
	v_mov_b32_e32 v5, v2
	v_add_nc_u32_e32 v1, v8, v1
	s_mov_b32 s17, -1
	s_mov_b32 s16, exec_lo
	s_delay_alu instid0(VALU_DEP_2) | instskip(NEXT) | instid1(VALU_DEP_1)
	v_lshlrev_b64 v[4:5], 3, v[4:5]
	v_add_co_u32 v4, vcc_lo, s9, v4
	s_delay_alu instid0(VALU_DEP_2) | instskip(SKIP_3) | instid1(VALU_DEP_1)
	v_add_co_ci_u32_e32 v5, vcc_lo, s10, v5, vcc_lo
	global_load_b64 v[4:5], v[4:5], off
	s_waitcnt vmcnt(0)
	v_fma_mix_f32 v6, v4, v4, v6 op_sel_hi:[1,1,0]
	v_fma_mix_f32 v4, v4, v4, v6 op_sel:[1,1,0] op_sel_hi:[1,1,0]
	s_delay_alu instid0(VALU_DEP_1) | instskip(NEXT) | instid1(VALU_DEP_1)
	v_fma_mix_f32 v4, v5, v5, v4 op_sel_hi:[1,1,0]
	v_fma_mix_f32 v6, v5, v5, v4 op_sel:[1,1,0] op_sel_hi:[1,1,0]
	v_cmpx_gt_u32_e64 s11, v1
	s_xor_b32 s16, exec_lo, s16
	s_cbranch_execz .LBB11_34
; %bb.40:                               ;   in Loop: Header=BB11_37 Depth=1
	v_lshlrev_b64 v[4:5], 3, v[1:2]
	s_delay_alu instid0(VALU_DEP_1) | instskip(NEXT) | instid1(VALU_DEP_2)
	v_add_co_u32 v4, vcc_lo, s9, v4
	v_add_co_ci_u32_e32 v5, vcc_lo, s10, v5, vcc_lo
	global_load_b64 v[4:5], v[4:5], off
	s_waitcnt vmcnt(0)
	v_fma_mix_f32 v1, v4, v4, v6 op_sel_hi:[1,1,0]
	s_delay_alu instid0(VALU_DEP_1) | instskip(SKIP_1) | instid1(VALU_DEP_2)
	v_fma_mix_f32 v4, v4, v4, v1 op_sel:[1,1,0] op_sel_hi:[1,1,0]
	v_add3_u32 v1, v10, v7, v3
	v_fma_mix_f32 v3, v5, v5, v4 op_sel_hi:[1,1,0]
	s_delay_alu instid0(VALU_DEP_2) | instskip(NEXT) | instid1(VALU_DEP_2)
	v_cmp_le_u32_e32 vcc_lo, s11, v1
	v_fma_mix_f32 v6, v5, v5, v3 op_sel:[1,1,0] op_sel_hi:[1,1,0]
	s_or_not1_b32 s17, vcc_lo, exec_lo
	s_branch .LBB11_34
.LBB11_41:
	s_or_b32 exec_lo, exec_lo, s5
.LBB11_42:
	s_delay_alu instid0(SALU_CYCLE_1)
	s_or_b32 exec_lo, exec_lo, s4
	v_mbcnt_lo_u32_b32 v7, -1, 0
	s_waitcnt lgkmcnt(0)
	s_cmp_lt_u32 s24, s3
	v_and_b32_e32 v4, 0x3e0, v0
	s_cselect_b32 s3, 12, 18
	s_delay_alu instid0(SALU_CYCLE_1)
	s_add_u32 s0, s0, s3
	v_cmp_ne_u32_e32 vcc_lo, 31, v7
	s_addc_u32 s1, s1, 0
	v_add_nc_u32_e32 v12, 2, v7
	v_add_nc_u32_e32 v14, 4, v7
	;; [unrolled: 1-line block ×3, first 2 shown]
	v_add_co_ci_u32_e32 v2, vcc_lo, 0, v7, vcc_lo
	v_mov_b32_e32 v1, 0
	v_cmp_gt_u32_e32 vcc_lo, 30, v7
	v_add_nc_u32_e32 v17, 16, v7
	s_delay_alu instid0(VALU_DEP_4)
	v_lshlrev_b32_e32 v8, 2, v2
	v_cmp_eq_u32_e64 s6, 0, v7
	global_load_u16 v1, v1, s[0:1]
	v_cndmask_b32_e64 v3, 0, 1, vcc_lo
	v_cmp_gt_u32_e32 vcc_lo, 28, v7
	ds_bpermute_b32 v2, v8, v6
	v_add_nc_u32_e32 v9, 1, v7
	v_lshlrev_b32_e32 v3, 1, v3
	v_cndmask_b32_e64 v5, 0, 1, vcc_lo
	v_cmp_gt_u32_e32 vcc_lo, 24, v7
	s_delay_alu instid0(VALU_DEP_3) | instskip(NEXT) | instid1(VALU_DEP_3)
	v_add_lshl_u32 v10, v3, v7, 2
	v_lshlrev_b32_e32 v5, 2, v5
	s_delay_alu instid0(VALU_DEP_1) | instskip(SKIP_3) | instid1(VALU_DEP_2)
	v_add_lshl_u32 v11, v5, v7, 2
	v_cndmask_b32_e64 v5, 0, 1, vcc_lo
	v_cmp_gt_u32_e32 vcc_lo, 16, v7
	s_waitcnt lgkmcnt(0)
	v_dual_add_f32 v2, v6, v2 :: v_dual_lshlrev_b32 v5, 3, v5
	s_delay_alu instid0(VALU_DEP_1) | instskip(SKIP_1) | instid1(VALU_DEP_1)
	v_add_lshl_u32 v13, v5, v7, 2
	v_cndmask_b32_e64 v5, 0, 1, vcc_lo
	v_lshlrev_b32_e32 v5, 4, v5
	s_delay_alu instid0(VALU_DEP_1) | instskip(SKIP_3) | instid1(VALU_DEP_2)
	v_add_lshl_u32 v15, v5, v7, 2
	s_waitcnt vmcnt(0)
	v_sub_nc_u32_e64 v4, v1, v4 clamp
	v_readfirstlane_b32 s16, v1
	v_cmp_lt_u32_e64 s0, v9, v4
	v_cmp_lt_u32_e64 s1, v12, v4
	;; [unrolled: 1-line block ×5, first 2 shown]
	v_cndmask_b32_e64 v2, v6, v2, s0
	ds_bpermute_b32 v3, v10, v2
	s_waitcnt lgkmcnt(0)
	v_add_f32_e32 v3, v2, v3
	s_delay_alu instid0(VALU_DEP_1) | instskip(SKIP_3) | instid1(VALU_DEP_1)
	v_cndmask_b32_e64 v2, v2, v3, s1
	ds_bpermute_b32 v3, v11, v2
	s_waitcnt lgkmcnt(0)
	v_add_f32_e32 v3, v2, v3
	v_cndmask_b32_e64 v2, v2, v3, s3
	ds_bpermute_b32 v3, v13, v2
	s_waitcnt lgkmcnt(0)
	v_add_f32_e32 v3, v2, v3
	s_delay_alu instid0(VALU_DEP_1) | instskip(SKIP_3) | instid1(VALU_DEP_1)
	v_cndmask_b32_e64 v2, v2, v3, s5
	ds_bpermute_b32 v3, v15, v2
	s_waitcnt lgkmcnt(0)
	v_add_f32_e32 v3, v2, v3
	v_cndmask_b32_e64 v1, v2, v3, s8
	s_and_saveexec_b32 s4, s6
	s_cbranch_execz .LBB11_44
; %bb.43:
	v_lshrrev_b32_e32 v2, 3, v0
	s_delay_alu instid0(VALU_DEP_1)
	v_and_b32_e32 v2, 0x7c, v2
	ds_store_b32 v2, v1
.LBB11_44:
	s_or_b32 exec_lo, exec_lo, s4
	v_cmp_gt_u32_e64 s7, 32, v0
	s_waitcnt lgkmcnt(0)
	s_waitcnt_vscnt null, 0x0
	s_barrier
	buffer_gl0_inv
	s_and_saveexec_b32 s4, s7
	s_cbranch_execz .LBB11_46
; %bb.45:
	v_lshlrev_b32_e32 v1, 2, v7
	s_add_i32 s17, s16, 31
	s_delay_alu instid0(SALU_CYCLE_1) | instskip(NEXT) | instid1(SALU_CYCLE_1)
	s_lshr_b32 s17, s17, 5
	v_cmp_gt_u32_e32 vcc_lo, s17, v9
	ds_load_b32 v1, v1
	s_waitcnt lgkmcnt(0)
	ds_bpermute_b32 v2, v8, v1
	s_waitcnt lgkmcnt(0)
	v_add_f32_e32 v2, v1, v2
	s_delay_alu instid0(VALU_DEP_1) | instskip(SKIP_4) | instid1(VALU_DEP_1)
	v_cndmask_b32_e32 v1, v1, v2, vcc_lo
	v_cmp_gt_u32_e32 vcc_lo, s17, v12
	ds_bpermute_b32 v2, v10, v1
	s_waitcnt lgkmcnt(0)
	v_add_f32_e32 v2, v1, v2
	v_cndmask_b32_e32 v1, v1, v2, vcc_lo
	v_cmp_gt_u32_e32 vcc_lo, s17, v14
	ds_bpermute_b32 v2, v11, v1
	s_waitcnt lgkmcnt(0)
	v_add_f32_e32 v2, v1, v2
	s_delay_alu instid0(VALU_DEP_1) | instskip(SKIP_4) | instid1(VALU_DEP_1)
	v_cndmask_b32_e32 v1, v1, v2, vcc_lo
	v_cmp_gt_u32_e32 vcc_lo, s17, v16
	ds_bpermute_b32 v2, v13, v1
	s_waitcnt lgkmcnt(0)
	v_add_f32_e32 v2, v1, v2
	v_cndmask_b32_e32 v1, v1, v2, vcc_lo
	v_cmp_gt_u32_e32 vcc_lo, s17, v17
	ds_bpermute_b32 v2, v15, v1
	s_waitcnt lgkmcnt(0)
	v_add_f32_e32 v2, v1, v2
	s_delay_alu instid0(VALU_DEP_1)
	v_cndmask_b32_e32 v1, v1, v2, vcc_lo
.LBB11_46:
	s_or_b32 exec_lo, exec_lo, s4
	v_cmp_eq_u32_e64 s4, 0, v0
	s_delay_alu instid0(VALU_DEP_1)
	s_and_saveexec_b32 s17, s4
	s_cbranch_execz .LBB11_48
; %bb.47:
	v_cvt_f32_i32_e32 v2, s21
	s_delay_alu instid0(VALU_DEP_1) | instskip(SKIP_1) | instid1(VALU_DEP_2)
	v_div_scale_f32 v3, null, v2, v2, v1
	v_div_scale_f32 v6, vcc_lo, v1, v2, v1
	v_rcp_f32_e32 v4, v3
	s_waitcnt_depctr 0xfff
	v_fma_f32 v5, -v3, v4, 1.0
	s_delay_alu instid0(VALU_DEP_1) | instskip(NEXT) | instid1(VALU_DEP_1)
	v_fmac_f32_e32 v4, v5, v4
	v_mul_f32_e32 v5, v6, v4
	s_delay_alu instid0(VALU_DEP_1) | instskip(NEXT) | instid1(VALU_DEP_1)
	v_fma_f32 v18, -v3, v5, v6
	v_fmac_f32_e32 v5, v18, v4
	s_delay_alu instid0(VALU_DEP_1) | instskip(NEXT) | instid1(VALU_DEP_1)
	v_fma_f32 v3, -v3, v5, v6
	v_div_fmas_f32 v3, v3, v4, v5
	s_delay_alu instid0(VALU_DEP_1) | instskip(NEXT) | instid1(VALU_DEP_1)
	v_div_fixup_f32 v1, v3, v2, v1
	v_add_f32_e32 v1, s20, v1
	s_delay_alu instid0(VALU_DEP_1) | instskip(SKIP_1) | instid1(VALU_DEP_2)
	v_mul_f32_e32 v2, 0x4b800000, v1
	v_cmp_gt_f32_e32 vcc_lo, 0x800000, v1
	v_cndmask_b32_e32 v1, v1, v2, vcc_lo
	s_delay_alu instid0(VALU_DEP_1) | instskip(SKIP_2) | instid1(VALU_DEP_1)
	v_rsq_f32_e32 v1, v1
	s_waitcnt_depctr 0xfff
	v_mul_f32_e32 v2, 0x45800000, v1
	v_dual_cndmask_b32 v1, v1, v2 :: v_dual_mov_b32 v2, 0
	ds_store_b32 v2, v1 offset:512
.LBB11_48:
	s_or_b32 exec_lo, exec_lo, s17
	v_mov_b32_e32 v18, 0
	s_waitcnt lgkmcnt(0)
	s_barrier
	buffer_gl0_inv
	ds_load_b32 v6, v18 offset:512
	s_and_saveexec_b32 s17, s2
	s_cbranch_execz .LBB11_58
; %bb.49:
	v_dual_mov_b32 v2, 0 :: v_dual_mov_b32 v1, v0
	s_mul_i32 s20, s16, 3
	s_lshl_b32 s23, s16, 1
	s_mov_b32 s22, 0
	s_delay_alu instid0(VALU_DEP_1)
	v_mov_b32_e32 v18, v2
	s_add_i32 s28, s16, s16
                                        ; implicit-def: $sgpr29
	s_branch .LBB11_53
.LBB11_50:                              ;   in Loop: Header=BB11_53 Depth=1
	s_or_b32 exec_lo, exec_lo, s33
	s_delay_alu instid0(SALU_CYCLE_1)
	s_or_not1_b32 s33, s34, exec_lo
.LBB11_51:                              ;   in Loop: Header=BB11_53 Depth=1
	s_or_b32 exec_lo, exec_lo, s31
	s_delay_alu instid0(SALU_CYCLE_1) | instskip(SKIP_1) | instid1(SALU_CYCLE_1)
	s_and_not1_b32 s29, s29, exec_lo
	s_and_b32 s31, s33, exec_lo
	s_or_b32 s29, s29, s31
.LBB11_52:                              ;   in Loop: Header=BB11_53 Depth=1
	s_or_b32 exec_lo, exec_lo, s30
	s_delay_alu instid0(SALU_CYCLE_1) | instskip(NEXT) | instid1(SALU_CYCLE_1)
	s_and_b32 s30, exec_lo, s29
	s_or_b32 s22, s30, s22
	s_delay_alu instid0(SALU_CYCLE_1)
	s_and_not1_b32 exec_lo, exec_lo, s22
	s_cbranch_execz .LBB11_57
.LBB11_53:                              ; =>This Inner Loop Header: Depth=1
	v_lshlrev_b64 v[3:4], 3, v[1:2]
	s_or_b32 s29, s29, exec_lo
	s_mov_b32 s30, exec_lo
	s_delay_alu instid0(VALU_DEP_1) | instskip(NEXT) | instid1(VALU_DEP_2)
	v_add_co_u32 v19, vcc_lo, s18, v3
	v_add_co_ci_u32_e32 v20, vcc_lo, s19, v4, vcc_lo
	v_add_co_u32 v3, vcc_lo, s9, v3
	v_add_co_ci_u32_e32 v4, vcc_lo, s10, v4, vcc_lo
	global_load_b64 v[19:20], v[19:20], off
	global_load_b64 v[3:4], v[3:4], off
	s_waitcnt vmcnt(1)
	v_lshrrev_b32_e32 v5, 16, v19
	s_waitcnt vmcnt(0) lgkmcnt(0)
	v_fma_mixlo_f16 v21, v6, v3, 0 op_sel_hi:[0,1,0]
	v_fma_mixlo_f16 v3, v6, v3, 0 op_sel:[0,1,0] op_sel_hi:[0,1,0]
	v_lshrrev_b32_e32 v22, 16, v20
	v_fma_mixlo_f16 v23, v6, v4, 0 op_sel_hi:[0,1,0]
	v_fma_mixlo_f16 v4, v6, v4, 0 op_sel:[0,1,0] op_sel_hi:[0,1,0]
	v_mul_f16_e32 v19, v19, v21
	v_mul_f16_e32 v3, v5, v3
	s_delay_alu instid0(VALU_DEP_4) | instskip(NEXT) | instid1(VALU_DEP_4)
	v_mul_f16_e32 v5, v20, v23
	v_mul_f16_e32 v4, v22, v4
	s_delay_alu instid0(VALU_DEP_4) | instskip(NEXT) | instid1(VALU_DEP_4)
	v_cvt_f32_f16_e64 v19, |v19|
	v_cvt_f32_f16_e64 v3, |v3|
	s_delay_alu instid0(VALU_DEP_4) | instskip(NEXT) | instid1(VALU_DEP_4)
	v_cvt_f32_f16_e64 v5, |v5|
	v_cvt_f32_f16_e64 v4, |v4|
	s_delay_alu instid0(VALU_DEP_3) | instskip(SKIP_1) | instid1(VALU_DEP_2)
	v_max3_f32 v18, v18, v19, v3
	v_add_nc_u32_e32 v3, s16, v1
	v_max3_f32 v18, v18, v5, v4
	s_delay_alu instid0(VALU_DEP_2)
	v_cmpx_gt_u32_e64 s11, v3
	s_cbranch_execz .LBB11_52
; %bb.54:                               ;   in Loop: Header=BB11_53 Depth=1
	v_mov_b32_e32 v4, v2
	s_mov_b32 s33, -1
	s_mov_b32 s31, exec_lo
	s_delay_alu instid0(VALU_DEP_1) | instskip(NEXT) | instid1(VALU_DEP_1)
	v_lshlrev_b64 v[4:5], 3, v[3:4]
	v_add_co_u32 v19, vcc_lo, s18, v4
	s_delay_alu instid0(VALU_DEP_2)
	v_add_co_ci_u32_e32 v20, vcc_lo, s19, v5, vcc_lo
	v_add_co_u32 v4, vcc_lo, s9, v4
	v_add_co_ci_u32_e32 v5, vcc_lo, s10, v5, vcc_lo
	global_load_b64 v[19:20], v[19:20], off
	global_load_b64 v[4:5], v[4:5], off
	s_waitcnt vmcnt(1)
	v_lshrrev_b32_e32 v21, 16, v19
	s_waitcnt vmcnt(0)
	v_fma_mixlo_f16 v22, v6, v4, 0 op_sel_hi:[0,1,0]
	v_fma_mixlo_f16 v4, v6, v4, 0 op_sel:[0,1,0] op_sel_hi:[0,1,0]
	v_lshrrev_b32_e32 v23, 16, v20
	v_fma_mixlo_f16 v24, v6, v5, 0 op_sel_hi:[0,1,0]
	v_fma_mixlo_f16 v5, v6, v5, 0 op_sel:[0,1,0] op_sel_hi:[0,1,0]
	v_mul_f16_e32 v19, v19, v22
	v_mul_f16_e32 v4, v21, v4
	s_delay_alu instid0(VALU_DEP_4) | instskip(NEXT) | instid1(VALU_DEP_4)
	v_mul_f16_e32 v20, v20, v24
	v_mul_f16_e32 v5, v23, v5
	s_delay_alu instid0(VALU_DEP_4) | instskip(NEXT) | instid1(VALU_DEP_4)
	v_cvt_f32_f16_e64 v19, |v19|
	v_cvt_f32_f16_e64 v4, |v4|
	s_delay_alu instid0(VALU_DEP_4) | instskip(NEXT) | instid1(VALU_DEP_4)
	v_cvt_f32_f16_e64 v20, |v20|
	v_cvt_f32_f16_e64 v5, |v5|
	s_delay_alu instid0(VALU_DEP_3) | instskip(SKIP_1) | instid1(VALU_DEP_2)
	v_max3_f32 v18, v18, v19, v4
	v_add_nc_u32_e32 v4, s23, v1
	v_max3_f32 v18, v18, v20, v5
	s_delay_alu instid0(VALU_DEP_2)
	v_cmpx_gt_u32_e64 s11, v4
	s_cbranch_execz .LBB11_51
; %bb.55:                               ;   in Loop: Header=BB11_53 Depth=1
	v_mov_b32_e32 v5, v2
	v_add_nc_u32_e32 v1, s20, v1
	s_mov_b32 s34, -1
	s_mov_b32 s33, exec_lo
	s_delay_alu instid0(VALU_DEP_2) | instskip(NEXT) | instid1(VALU_DEP_1)
	v_lshlrev_b64 v[4:5], 3, v[4:5]
	v_add_co_u32 v19, vcc_lo, s18, v4
	s_delay_alu instid0(VALU_DEP_2)
	v_add_co_ci_u32_e32 v20, vcc_lo, s19, v5, vcc_lo
	v_add_co_u32 v4, vcc_lo, s9, v4
	v_add_co_ci_u32_e32 v5, vcc_lo, s10, v5, vcc_lo
	global_load_b64 v[19:20], v[19:20], off
	global_load_b64 v[4:5], v[4:5], off
	s_waitcnt vmcnt(1)
	v_lshrrev_b32_e32 v21, 16, v19
	s_waitcnt vmcnt(0)
	v_fma_mixlo_f16 v22, v6, v4, 0 op_sel_hi:[0,1,0]
	v_fma_mixlo_f16 v4, v6, v4, 0 op_sel:[0,1,0] op_sel_hi:[0,1,0]
	v_lshrrev_b32_e32 v23, 16, v20
	v_fma_mixlo_f16 v24, v6, v5, 0 op_sel_hi:[0,1,0]
	v_fma_mixlo_f16 v5, v6, v5, 0 op_sel:[0,1,0] op_sel_hi:[0,1,0]
	v_mul_f16_e32 v19, v19, v22
	v_mul_f16_e32 v4, v21, v4
	s_delay_alu instid0(VALU_DEP_4) | instskip(NEXT) | instid1(VALU_DEP_4)
	v_mul_f16_e32 v20, v20, v24
	v_mul_f16_e32 v5, v23, v5
	s_delay_alu instid0(VALU_DEP_4) | instskip(NEXT) | instid1(VALU_DEP_4)
	v_cvt_f32_f16_e64 v19, |v19|
	v_cvt_f32_f16_e64 v4, |v4|
	s_delay_alu instid0(VALU_DEP_4) | instskip(NEXT) | instid1(VALU_DEP_4)
	v_cvt_f32_f16_e64 v20, |v20|
	v_cvt_f32_f16_e64 v5, |v5|
	s_delay_alu instid0(VALU_DEP_3) | instskip(NEXT) | instid1(VALU_DEP_1)
	v_max3_f32 v4, v18, v19, v4
	v_max3_f32 v18, v4, v20, v5
	v_cmpx_gt_u32_e64 s11, v1
	s_xor_b32 s33, exec_lo, s33
	s_cbranch_execz .LBB11_50
; %bb.56:                               ;   in Loop: Header=BB11_53 Depth=1
	v_lshlrev_b64 v[4:5], 3, v[1:2]
	s_delay_alu instid0(VALU_DEP_1) | instskip(NEXT) | instid1(VALU_DEP_2)
	v_add_co_u32 v19, vcc_lo, s18, v4
	v_add_co_ci_u32_e32 v20, vcc_lo, s19, v5, vcc_lo
	v_add_co_u32 v4, vcc_lo, s9, v4
	v_add_co_ci_u32_e32 v5, vcc_lo, s10, v5, vcc_lo
	global_load_b64 v[19:20], v[19:20], off
	global_load_b64 v[4:5], v[4:5], off
	s_waitcnt vmcnt(1)
	v_lshrrev_b32_e32 v1, 16, v19
	s_waitcnt vmcnt(0)
	v_fma_mixlo_f16 v21, v6, v4, 0 op_sel_hi:[0,1,0]
	v_fma_mixlo_f16 v4, v6, v4, 0 op_sel:[0,1,0] op_sel_hi:[0,1,0]
	v_lshrrev_b32_e32 v22, 16, v20
	v_fma_mixlo_f16 v23, v6, v5, 0 op_sel_hi:[0,1,0]
	s_delay_alu instid0(VALU_DEP_4) | instskip(NEXT) | instid1(VALU_DEP_4)
	v_mul_f16_e32 v19, v19, v21
	v_mul_f16_e32 v1, v1, v4
	v_fma_mixlo_f16 v4, v6, v5, 0 op_sel:[0,1,0] op_sel_hi:[0,1,0]
	s_delay_alu instid0(VALU_DEP_4) | instskip(NEXT) | instid1(VALU_DEP_4)
	v_mul_f16_e32 v5, v20, v23
	v_cvt_f32_f16_e64 v19, |v19|
	s_delay_alu instid0(VALU_DEP_4) | instskip(NEXT) | instid1(VALU_DEP_4)
	v_cvt_f32_f16_e64 v20, |v1|
	v_mul_f16_e32 v4, v22, v4
	v_add3_u32 v1, s28, s16, v3
	v_cvt_f32_f16_e64 v3, |v5|
	s_delay_alu instid0(VALU_DEP_4) | instskip(NEXT) | instid1(VALU_DEP_4)
	v_max3_f32 v5, v18, v19, v20
	v_cvt_f32_f16_e64 v4, |v4|
	s_delay_alu instid0(VALU_DEP_4) | instskip(NEXT) | instid1(VALU_DEP_2)
	v_cmp_le_u32_e32 vcc_lo, s11, v1
	v_max3_f32 v18, v5, v3, v4
	s_or_not1_b32 s34, vcc_lo, exec_lo
	s_branch .LBB11_50
.LBB11_57:
	s_or_b32 exec_lo, exec_lo, s22
.LBB11_58:
	s_delay_alu instid0(SALU_CYCLE_1) | instskip(SKIP_4) | instid1(VALU_DEP_1)
	s_or_b32 exec_lo, exec_lo, s17
	ds_bpermute_b32 v1, v8, v18
	s_waitcnt lgkmcnt(0)
	v_cmp_lt_f32_e32 vcc_lo, v18, v1
	v_cndmask_b32_e32 v1, v18, v1, vcc_lo
	v_cndmask_b32_e64 v1, v18, v1, s0
	s_or_b32 s0, s0, s1
	s_delay_alu instid0(SALU_CYCLE_1) | instskip(NEXT) | instid1(SALU_CYCLE_1)
	s_or_b32 s0, s3, s0
	s_or_b32 s0, s5, s0
	ds_bpermute_b32 v2, v10, v1
	s_waitcnt lgkmcnt(0)
	v_cmp_lt_f32_e32 vcc_lo, v1, v2
	v_cndmask_b32_e32 v2, v1, v2, vcc_lo
	s_delay_alu instid0(VALU_DEP_1) | instskip(SKIP_4) | instid1(VALU_DEP_1)
	v_cndmask_b32_e64 v1, v1, v2, s1
	ds_bpermute_b32 v2, v11, v1
	s_waitcnt lgkmcnt(0)
	v_cmp_lt_f32_e32 vcc_lo, v1, v2
	v_cndmask_b32_e32 v2, v1, v2, vcc_lo
	v_cndmask_b32_e64 v1, v1, v2, s3
	ds_bpermute_b32 v2, v13, v1
	s_waitcnt lgkmcnt(0)
	v_cmp_lt_f32_e32 vcc_lo, v1, v2
	v_cndmask_b32_e32 v2, v1, v2, vcc_lo
	s_delay_alu instid0(VALU_DEP_1)
	v_cndmask_b32_e64 v1, v1, v2, s5
	ds_bpermute_b32 v2, v15, v1
	s_waitcnt lgkmcnt(0)
	v_cmp_lt_f32_e32 vcc_lo, v1, v2
	s_and_b32 vcc_lo, s8, vcc_lo
	v_cndmask_b32_e32 v1, v1, v2, vcc_lo
	s_or_b32 vcc_lo, s8, s0
	s_delay_alu instid0(VALU_DEP_1)
	v_cndmask_b32_e32 v1, v18, v1, vcc_lo
	s_and_saveexec_b32 s0, s6
	s_cbranch_execz .LBB11_60
; %bb.59:
	v_lshrrev_b32_e32 v2, 3, v0
	s_delay_alu instid0(VALU_DEP_1)
	v_and_b32_e32 v2, 0x7c, v2
	ds_store_b32 v2, v1 offset:128
.LBB11_60:
	s_or_b32 exec_lo, exec_lo, s0
	s_waitcnt lgkmcnt(0)
	s_barrier
	buffer_gl0_inv
	s_and_saveexec_b32 s8, s7
	s_cbranch_execz .LBB11_62
; %bb.61:
	v_lshlrev_b32_e32 v1, 2, v7
	s_add_i32 s0, s16, 31
	s_delay_alu instid0(SALU_CYCLE_1)
	s_lshr_b32 s5, s0, 5
	ds_load_b32 v1, v1 offset:128
	s_waitcnt lgkmcnt(0)
	ds_bpermute_b32 v2, v8, v1
	s_waitcnt lgkmcnt(0)
	v_cmp_lt_f32_e32 vcc_lo, v1, v2
	v_cndmask_b32_e32 v2, v1, v2, vcc_lo
	v_cmp_gt_u32_e32 vcc_lo, s5, v9
	s_delay_alu instid0(VALU_DEP_2) | instskip(SKIP_3) | instid1(VALU_DEP_1)
	v_cndmask_b32_e32 v2, v1, v2, vcc_lo
	ds_bpermute_b32 v3, v10, v2
	s_waitcnt lgkmcnt(0)
	v_cmp_lt_f32_e64 s0, v2, v3
	v_cndmask_b32_e64 v3, v2, v3, s0
	v_cmp_gt_u32_e64 s0, s5, v12
	s_delay_alu instid0(VALU_DEP_1) | instskip(SKIP_4) | instid1(VALU_DEP_1)
	v_cndmask_b32_e64 v2, v2, v3, s0
	s_or_b32 s0, vcc_lo, s0
	ds_bpermute_b32 v3, v11, v2
	s_waitcnt lgkmcnt(0)
	v_cmp_lt_f32_e64 s1, v2, v3
	v_cndmask_b32_e64 v3, v2, v3, s1
	v_cmp_gt_u32_e64 s1, s5, v14
	s_delay_alu instid0(VALU_DEP_1) | instskip(SKIP_4) | instid1(VALU_DEP_1)
	v_cndmask_b32_e64 v2, v2, v3, s1
	s_or_b32 s0, s1, s0
	ds_bpermute_b32 v3, v13, v2
	s_waitcnt lgkmcnt(0)
	v_cmp_lt_f32_e64 s3, v2, v3
	v_cndmask_b32_e64 v3, v2, v3, s3
	v_cmp_gt_u32_e64 s3, s5, v16
	v_cmp_gt_u32_e64 s5, s5, v17
	s_delay_alu instid0(VALU_DEP_2) | instskip(SKIP_4) | instid1(VALU_DEP_1)
	v_cndmask_b32_e64 v2, v2, v3, s3
	s_or_b32 s0, s3, s0
	ds_bpermute_b32 v3, v15, v2
	s_waitcnt lgkmcnt(0)
	v_cmp_lt_f32_e64 s6, v2, v3
	s_and_b32 vcc_lo, s5, s6
	v_cndmask_b32_e32 v2, v2, v3, vcc_lo
	s_or_b32 vcc_lo, s5, s0
	s_delay_alu instid0(VALU_DEP_1)
	v_cndmask_b32_e32 v1, v1, v2, vcc_lo
.LBB11_62:
	s_or_b32 exec_lo, exec_lo, s8
	s_and_saveexec_b32 s0, s4
	s_cbranch_execz .LBB11_66
; %bb.63:
	s_cmp_eq_u64 s[26:27], 0
	s_cbranch_scc1 .LBB11_65
; %bb.64:
	s_load_b32 s1, s[26:27], 0x0
	v_max_f32_e32 v1, v1, v1
	s_waitcnt lgkmcnt(0)
	v_max_f32_e64 v2, s1, s1
	s_delay_alu instid0(VALU_DEP_1)
	v_min_f32_e32 v1, v1, v2
.LBB11_65:
	s_delay_alu instid0(VALU_DEP_1) | instskip(SKIP_2) | instid1(VALU_DEP_2)
	v_div_scale_f32 v2, null, 0x42fe0000, 0x42fe0000, v1
	v_div_scale_f32 v5, vcc_lo, v1, 0x42fe0000, v1
	s_lshl_b64 s[4:5], s[24:25], 2
	v_rcp_f32_e32 v3, v2
	s_add_u32 s4, s14, s4
	s_addc_u32 s5, s15, s5
	s_waitcnt_depctr 0xfff
	v_fma_f32 v4, -v2, v3, 1.0
	s_delay_alu instid0(VALU_DEP_1) | instskip(NEXT) | instid1(VALU_DEP_1)
	v_fmac_f32_e32 v3, v4, v3
	v_mul_f32_e32 v4, v5, v3
	s_delay_alu instid0(VALU_DEP_1) | instskip(NEXT) | instid1(VALU_DEP_1)
	v_fma_f32 v7, -v2, v4, v5
	v_fmac_f32_e32 v4, v7, v3
	s_delay_alu instid0(VALU_DEP_1) | instskip(NEXT) | instid1(VALU_DEP_1)
	v_fma_f32 v2, -v2, v4, v5
	v_div_fmas_f32 v2, v2, v3, v4
	s_delay_alu instid0(VALU_DEP_1) | instskip(NEXT) | instid1(VALU_DEP_1)
	v_div_fixup_f32 v1, v2, 0x42fe0000, v1
	v_dual_mov_b32 v2, 0 :: v_dual_max_f32 v1, 0x34000000, v1
	ds_store_b32 v2, v1 offset:516
	global_store_b32 v2, v1, s[4:5]
.LBB11_66:
	s_or_b32 exec_lo, exec_lo, s0
	s_waitcnt lgkmcnt(0)
	s_waitcnt_vscnt null, 0x0
	s_barrier
	buffer_gl0_inv
	s_and_saveexec_b32 s0, s2
	s_cbranch_execz .LBB11_75
; %bb.67:
	v_mov_b32_e32 v1, 0
	s_ashr_i32 s0, s21, 31
	s_mul_hi_u32 s1, s21, s24
	s_mul_i32 s0, s0, s24
	s_mul_i32 s2, s21, s24
	ds_load_b32 v2, v1 offset:516
	s_add_i32 s1, s1, s0
	s_add_u32 s0, s12, s2
	s_addc_u32 s1, s13, s1
	s_mul_i32 s2, s16, 3
	s_lshl_b32 s3, s16, 1
	s_mov_b32 s4, 0
	s_add_i32 s5, s16, s16
                                        ; implicit-def: $sgpr6
	s_waitcnt lgkmcnt(0)
	v_div_scale_f32 v3, null, v2, v2, 1.0
	v_div_scale_f32 v7, vcc_lo, 1.0, v2, 1.0
	s_delay_alu instid0(VALU_DEP_2) | instskip(SKIP_2) | instid1(VALU_DEP_1)
	v_rcp_f32_e32 v4, v3
	s_waitcnt_depctr 0xfff
	v_fma_f32 v5, -v3, v4, 1.0
	v_fmac_f32_e32 v4, v5, v4
	s_delay_alu instid0(VALU_DEP_1) | instskip(NEXT) | instid1(VALU_DEP_1)
	v_mul_f32_e32 v5, v7, v4
	v_fma_f32 v8, -v3, v5, v7
	s_delay_alu instid0(VALU_DEP_1) | instskip(NEXT) | instid1(VALU_DEP_1)
	v_fmac_f32_e32 v5, v8, v4
	v_fma_f32 v3, -v3, v5, v7
	s_delay_alu instid0(VALU_DEP_1) | instskip(NEXT) | instid1(VALU_DEP_1)
	v_div_fmas_f32 v3, v3, v4, v5
	v_div_fixup_f32 v5, v3, v2, 1.0
	s_branch .LBB11_71
.LBB11_68:                              ;   in Loop: Header=BB11_71 Depth=1
	s_or_b32 exec_lo, exec_lo, s12
	s_delay_alu instid0(SALU_CYCLE_1)
	s_or_not1_b32 s12, s13, exec_lo
.LBB11_69:                              ;   in Loop: Header=BB11_71 Depth=1
	s_or_b32 exec_lo, exec_lo, s8
	s_delay_alu instid0(SALU_CYCLE_1) | instskip(SKIP_1) | instid1(SALU_CYCLE_1)
	s_and_not1_b32 s6, s6, exec_lo
	s_and_b32 s8, s12, exec_lo
	s_or_b32 s6, s6, s8
.LBB11_70:                              ;   in Loop: Header=BB11_71 Depth=1
	s_or_b32 exec_lo, exec_lo, s7
	s_delay_alu instid0(SALU_CYCLE_1) | instskip(NEXT) | instid1(SALU_CYCLE_1)
	s_and_b32 s7, exec_lo, s6
	s_or_b32 s4, s7, s4
	s_delay_alu instid0(SALU_CYCLE_1)
	s_and_not1_b32 exec_lo, exec_lo, s4
	s_cbranch_execz .LBB11_75
.LBB11_71:                              ; =>This Inner Loop Header: Depth=1
	v_lshlrev_b64 v[2:3], 3, v[0:1]
	s_or_b32 s6, s6, exec_lo
	s_mov_b32 s7, exec_lo
	s_delay_alu instid0(VALU_DEP_1) | instskip(NEXT) | instid1(VALU_DEP_2)
	v_add_co_u32 v7, vcc_lo, s18, v2
	v_add_co_ci_u32_e32 v8, vcc_lo, s19, v3, vcc_lo
	v_add_co_u32 v2, vcc_lo, s9, v2
	v_add_co_ci_u32_e32 v3, vcc_lo, s10, v3, vcc_lo
	global_load_b64 v[7:8], v[7:8], off
	global_load_b64 v[2:3], v[2:3], off
	s_waitcnt vmcnt(1)
	v_lshrrev_b32_e32 v4, 16, v7
	s_waitcnt vmcnt(0)
	v_fma_mixlo_f16 v11, v6, v2, 0 op_sel_hi:[0,1,0]
	v_fma_mixlo_f16 v9, v6, v3, 0 op_sel_hi:[0,1,0]
	v_lshrrev_b32_e32 v10, 16, v8
	v_fma_mixlo_f16 v2, v6, v2, 0 op_sel:[0,1,0] op_sel_hi:[0,1,0]
	v_fma_mixlo_f16 v3, v6, v3, 0 op_sel:[0,1,0] op_sel_hi:[0,1,0]
	v_mul_f16_e32 v7, v7, v11
	v_mul_f16_e32 v8, v8, v9
	s_delay_alu instid0(VALU_DEP_4) | instskip(NEXT) | instid1(VALU_DEP_4)
	v_mul_f16_e32 v2, v4, v2
	v_mul_f16_e32 v3, v10, v3
	s_delay_alu instid0(VALU_DEP_4) | instskip(NEXT) | instid1(VALU_DEP_4)
	v_cvt_f32_f16_e32 v7, v7
	v_cvt_f32_f16_e32 v4, v8
	s_delay_alu instid0(VALU_DEP_4) | instskip(NEXT) | instid1(VALU_DEP_4)
	v_cvt_f32_f16_e32 v2, v2
	v_cvt_f32_f16_e32 v3, v3
	s_delay_alu instid0(VALU_DEP_4) | instskip(NEXT) | instid1(VALU_DEP_1)
	v_mul_f32_e32 v7, v5, v7
	v_rndne_f32_e32 v7, v7
	v_mul_f32_e32 v4, v5, v4
	s_delay_alu instid0(VALU_DEP_1) | instskip(NEXT) | instid1(VALU_DEP_1)
	v_rndne_f32_e32 v4, v4
	v_cmp_nlt_f32_e32 vcc_lo, 0x42fe0000, v4
	v_cndmask_b32_e32 v8, 0x42fe0000, v4, vcc_lo
	v_cmp_nlt_f32_e32 vcc_lo, 0x42fe0000, v7
	v_dual_cndmask_b32 v9, 0x42fe0000, v7 :: v_dual_mul_f32 v2, v5, v2
	s_delay_alu instid0(VALU_DEP_1) | instskip(NEXT) | instid1(VALU_DEP_1)
	v_rndne_f32_e32 v2, v2
	v_cmp_nlt_f32_e32 vcc_lo, 0x42fe0000, v2
	v_dual_mul_f32 v3, v5, v3 :: v_dual_cndmask_b32 v10, 0x42fe0000, v2
	v_cmp_ngt_f32_e32 vcc_lo, 0xc3000000, v4
	s_delay_alu instid0(VALU_DEP_2) | instskip(SKIP_1) | instid1(VALU_DEP_2)
	v_rndne_f32_e32 v3, v3
	v_cndmask_b32_e32 v4, 0xc3000000, v8, vcc_lo
	v_cmp_nlt_f32_e32 vcc_lo, 0x42fe0000, v3
	s_delay_alu instid0(VALU_DEP_2) | instskip(NEXT) | instid1(VALU_DEP_1)
	v_cvt_i32_f32_e32 v4, v4
	v_and_b32_e32 v4, 0xff, v4
	v_cndmask_b32_e32 v8, 0x42fe0000, v3, vcc_lo
	v_cmp_ngt_f32_e32 vcc_lo, 0xc3000000, v2
	v_cndmask_b32_e32 v2, 0xc3000000, v10, vcc_lo
	v_cmp_ngt_f32_e32 vcc_lo, 0xc3000000, v7
	s_delay_alu instid0(VALU_DEP_2) | instskip(SKIP_3) | instid1(VALU_DEP_4)
	v_cvt_i32_f32_e32 v2, v2
	v_cndmask_b32_e32 v7, 0xc3000000, v9, vcc_lo
	v_lshlrev_b32_e32 v9, 16, v4
	v_cmp_ngt_f32_e32 vcc_lo, 0xc3000000, v3
	v_and_b32_e32 v2, 0xff, v2
	s_delay_alu instid0(VALU_DEP_4) | instskip(NEXT) | instid1(VALU_DEP_2)
	v_cvt_i32_f32_e32 v7, v7
	v_dual_cndmask_b32 v3, 0xc3000000, v8 :: v_dual_lshlrev_b32 v10, 8, v2
	s_delay_alu instid0(VALU_DEP_2) | instskip(SKIP_1) | instid1(VALU_DEP_3)
	v_and_b32_e32 v7, 0xff, v7
	v_add_nc_u32_e32 v2, s16, v0
	v_cvt_i32_f32_e32 v8, v3
	v_lshlrev_b64 v[3:4], 2, v[0:1]
	s_delay_alu instid0(VALU_DEP_2) | instskip(NEXT) | instid1(VALU_DEP_2)
	v_lshl_or_b32 v8, v8, 24, v9
	v_add_co_u32 v3, vcc_lo, s0, v3
	s_delay_alu instid0(VALU_DEP_3) | instskip(NEXT) | instid1(VALU_DEP_3)
	v_add_co_ci_u32_e32 v4, vcc_lo, s1, v4, vcc_lo
	v_or3_b32 v7, v8, v10, v7
	global_store_b32 v[3:4], v7, off
	v_cmpx_gt_u32_e64 s11, v2
	s_cbranch_execz .LBB11_70
; %bb.72:                               ;   in Loop: Header=BB11_71 Depth=1
	v_mov_b32_e32 v3, v1
	s_mov_b32 s12, -1
	s_mov_b32 s8, exec_lo
	s_delay_alu instid0(VALU_DEP_1) | instskip(NEXT) | instid1(VALU_DEP_1)
	v_lshlrev_b64 v[7:8], 3, v[2:3]
	v_add_co_u32 v9, vcc_lo, s18, v7
	s_delay_alu instid0(VALU_DEP_2)
	v_add_co_ci_u32_e32 v10, vcc_lo, s19, v8, vcc_lo
	v_add_co_u32 v7, vcc_lo, s9, v7
	v_add_co_ci_u32_e32 v8, vcc_lo, s10, v8, vcc_lo
	global_load_b64 v[9:10], v[9:10], off
	global_load_b64 v[7:8], v[7:8], off
	s_waitcnt vmcnt(1)
	v_lshrrev_b32_e32 v4, 16, v9
	s_waitcnt vmcnt(0)
	v_fma_mixlo_f16 v13, v6, v7, 0 op_sel_hi:[0,1,0]
	v_fma_mixlo_f16 v7, v6, v7, 0 op_sel:[0,1,0] op_sel_hi:[0,1,0]
	v_fma_mixlo_f16 v11, v6, v8, 0 op_sel_hi:[0,1,0]
	v_lshrrev_b32_e32 v12, 16, v10
	v_fma_mixlo_f16 v8, v6, v8, 0 op_sel:[0,1,0] op_sel_hi:[0,1,0]
	v_mul_f16_e32 v9, v9, v13
	v_mul_f16_e32 v4, v4, v7
	;; [unrolled: 1-line block ×3, first 2 shown]
	s_delay_alu instid0(VALU_DEP_4) | instskip(NEXT) | instid1(VALU_DEP_4)
	v_mul_f16_e32 v7, v12, v8
	v_cvt_f32_f16_e32 v9, v9
	s_delay_alu instid0(VALU_DEP_4) | instskip(NEXT) | instid1(VALU_DEP_4)
	v_cvt_f32_f16_e32 v4, v4
	v_cvt_f32_f16_e32 v8, v10
	s_delay_alu instid0(VALU_DEP_4) | instskip(NEXT) | instid1(VALU_DEP_3)
	v_cvt_f32_f16_e32 v7, v7
	v_mul_f32_e32 v4, v5, v4
	s_delay_alu instid0(VALU_DEP_1) | instskip(SKIP_1) | instid1(VALU_DEP_1)
	v_rndne_f32_e32 v4, v4
	v_mul_f32_e32 v9, v5, v9
	v_rndne_f32_e32 v9, v9
	v_mul_f32_e32 v8, v5, v8
	s_delay_alu instid0(VALU_DEP_1) | instskip(NEXT) | instid1(VALU_DEP_1)
	v_rndne_f32_e32 v8, v8
	v_cmp_nlt_f32_e32 vcc_lo, 0x42fe0000, v8
	v_cndmask_b32_e32 v10, 0x42fe0000, v8, vcc_lo
	v_cmp_nlt_f32_e32 vcc_lo, 0x42fe0000, v9
	v_cndmask_b32_e32 v11, 0x42fe0000, v9, vcc_lo
	v_cmp_nlt_f32_e32 vcc_lo, 0x42fe0000, v4
	v_cndmask_b32_e32 v12, 0x42fe0000, v4, vcc_lo
	v_cmp_ngt_f32_e32 vcc_lo, 0xc3000000, v8
	v_dual_mul_f32 v7, v5, v7 :: v_dual_cndmask_b32 v8, 0xc3000000, v10
	s_delay_alu instid0(VALU_DEP_1) | instskip(NEXT) | instid1(VALU_DEP_2)
	v_rndne_f32_e32 v7, v7
	v_cvt_i32_f32_e32 v8, v8
	s_delay_alu instid0(VALU_DEP_2) | instskip(NEXT) | instid1(VALU_DEP_2)
	v_cmp_nlt_f32_e32 vcc_lo, 0x42fe0000, v7
	v_and_b32_e32 v8, 0xff, v8
	v_cndmask_b32_e32 v10, 0x42fe0000, v7, vcc_lo
	v_cmp_ngt_f32_e32 vcc_lo, 0xc3000000, v4
	v_cndmask_b32_e32 v4, 0xc3000000, v12, vcc_lo
	v_cmp_ngt_f32_e32 vcc_lo, 0xc3000000, v9
	s_delay_alu instid0(VALU_DEP_2) | instskip(SKIP_3) | instid1(VALU_DEP_4)
	v_cvt_i32_f32_e32 v4, v4
	v_cndmask_b32_e32 v9, 0xc3000000, v11, vcc_lo
	v_lshlrev_b32_e32 v11, 16, v8
	v_cmp_ngt_f32_e32 vcc_lo, 0xc3000000, v7
	v_and_b32_e32 v4, 0xff, v4
	s_delay_alu instid0(VALU_DEP_4) | instskip(NEXT) | instid1(VALU_DEP_2)
	v_cvt_i32_f32_e32 v9, v9
	v_dual_cndmask_b32 v7, 0xc3000000, v10 :: v_dual_lshlrev_b32 v4, 8, v4
	s_delay_alu instid0(VALU_DEP_2) | instskip(NEXT) | instid1(VALU_DEP_2)
	v_and_b32_e32 v9, 0xff, v9
	v_cvt_i32_f32_e32 v10, v7
	v_lshlrev_b64 v[7:8], 2, v[2:3]
	v_add_nc_u32_e32 v3, s3, v0
	s_delay_alu instid0(VALU_DEP_3) | instskip(NEXT) | instid1(VALU_DEP_3)
	v_lshl_or_b32 v10, v10, 24, v11
	v_add_co_u32 v7, vcc_lo, s0, v7
	s_delay_alu instid0(VALU_DEP_4) | instskip(NEXT) | instid1(VALU_DEP_3)
	v_add_co_ci_u32_e32 v8, vcc_lo, s1, v8, vcc_lo
	v_or3_b32 v4, v10, v4, v9
	global_store_b32 v[7:8], v4, off
	v_cmpx_gt_u32_e64 s11, v3
	s_cbranch_execz .LBB11_69
; %bb.73:                               ;   in Loop: Header=BB11_71 Depth=1
	v_mov_b32_e32 v4, v1
	v_add_nc_u32_e32 v0, s2, v0
	s_mov_b32 s13, -1
	s_mov_b32 s12, exec_lo
	s_delay_alu instid0(VALU_DEP_2) | instskip(NEXT) | instid1(VALU_DEP_1)
	v_lshlrev_b64 v[7:8], 3, v[3:4]
	v_add_co_u32 v9, vcc_lo, s18, v7
	s_delay_alu instid0(VALU_DEP_2)
	v_add_co_ci_u32_e32 v10, vcc_lo, s19, v8, vcc_lo
	v_add_co_u32 v7, vcc_lo, s9, v7
	v_add_co_ci_u32_e32 v8, vcc_lo, s10, v8, vcc_lo
	global_load_b64 v[9:10], v[9:10], off
	global_load_b64 v[7:8], v[7:8], off
	s_waitcnt vmcnt(1)
	v_lshrrev_b32_e32 v11, 16, v9
	s_waitcnt vmcnt(0)
	v_fma_mixlo_f16 v14, v6, v7, 0 op_sel_hi:[0,1,0]
	v_fma_mixlo_f16 v7, v6, v7, 0 op_sel:[0,1,0] op_sel_hi:[0,1,0]
	v_fma_mixlo_f16 v12, v6, v8, 0 op_sel_hi:[0,1,0]
	v_lshrrev_b32_e32 v13, 16, v10
	v_fma_mixlo_f16 v8, v6, v8, 0 op_sel:[0,1,0] op_sel_hi:[0,1,0]
	v_mul_f16_e32 v9, v9, v14
	v_mul_f16_e32 v7, v11, v7
	v_mul_f16_e32 v10, v10, v12
	s_delay_alu instid0(VALU_DEP_4) | instskip(NEXT) | instid1(VALU_DEP_4)
	v_mul_f16_e32 v8, v13, v8
	v_cvt_f32_f16_e32 v9, v9
	s_delay_alu instid0(VALU_DEP_4) | instskip(NEXT) | instid1(VALU_DEP_4)
	v_cvt_f32_f16_e32 v7, v7
	v_cvt_f32_f16_e32 v10, v10
	s_delay_alu instid0(VALU_DEP_4) | instskip(NEXT) | instid1(VALU_DEP_3)
	v_cvt_f32_f16_e32 v8, v8
	v_mul_f32_e32 v7, v5, v7
	s_delay_alu instid0(VALU_DEP_1) | instskip(NEXT) | instid1(VALU_DEP_4)
	v_rndne_f32_e32 v7, v7
	v_mul_f32_e32 v10, v5, v10
	s_delay_alu instid0(VALU_DEP_1) | instskip(NEXT) | instid1(VALU_DEP_1)
	v_rndne_f32_e32 v10, v10
	v_cmp_nlt_f32_e32 vcc_lo, 0x42fe0000, v10
	v_cndmask_b32_e32 v11, 0x42fe0000, v10, vcc_lo
	v_mul_f32_e32 v9, v5, v9
	v_lshlrev_b64 v[3:4], 2, v[3:4]
	s_delay_alu instid0(VALU_DEP_2) | instskip(NEXT) | instid1(VALU_DEP_1)
	v_rndne_f32_e32 v9, v9
	v_cmp_nlt_f32_e32 vcc_lo, 0x42fe0000, v9
	v_cndmask_b32_e32 v12, 0x42fe0000, v9, vcc_lo
	v_cmp_nlt_f32_e32 vcc_lo, 0x42fe0000, v7
	v_dual_cndmask_b32 v13, 0x42fe0000, v7 :: v_dual_mul_f32 v8, v5, v8
	v_cmp_ngt_f32_e32 vcc_lo, 0xc3000000, v10
	s_delay_alu instid0(VALU_DEP_2) | instskip(SKIP_1) | instid1(VALU_DEP_2)
	v_rndne_f32_e32 v8, v8
	v_cndmask_b32_e32 v10, 0xc3000000, v11, vcc_lo
	v_cmp_nlt_f32_e32 vcc_lo, 0x42fe0000, v8
	s_delay_alu instid0(VALU_DEP_2) | instskip(NEXT) | instid1(VALU_DEP_1)
	v_cvt_i32_f32_e32 v10, v10
	v_and_b32_e32 v10, 0xff, v10
	v_cndmask_b32_e32 v11, 0x42fe0000, v8, vcc_lo
	v_cmp_ngt_f32_e32 vcc_lo, 0xc3000000, v7
	s_delay_alu instid0(VALU_DEP_3) | instskip(SKIP_1) | instid1(VALU_DEP_2)
	v_dual_cndmask_b32 v7, 0xc3000000, v13 :: v_dual_lshlrev_b32 v10, 16, v10
	v_cmp_ngt_f32_e32 vcc_lo, 0xc3000000, v9
	v_cvt_i32_f32_e32 v7, v7
	v_cndmask_b32_e32 v9, 0xc3000000, v12, vcc_lo
	v_cmp_ngt_f32_e32 vcc_lo, 0xc3000000, v8
	s_delay_alu instid0(VALU_DEP_3) | instskip(NEXT) | instid1(VALU_DEP_3)
	v_and_b32_e32 v7, 0xff, v7
	v_cvt_i32_f32_e32 v9, v9
	v_cndmask_b32_e32 v8, 0xc3000000, v11, vcc_lo
	v_add_co_u32 v3, vcc_lo, s0, v3
	s_delay_alu instid0(VALU_DEP_4) | instskip(NEXT) | instid1(VALU_DEP_4)
	v_lshlrev_b32_e32 v7, 8, v7
	v_and_b32_e32 v9, 0xff, v9
	s_delay_alu instid0(VALU_DEP_4) | instskip(SKIP_1) | instid1(VALU_DEP_2)
	v_cvt_i32_f32_e32 v8, v8
	v_add_co_ci_u32_e32 v4, vcc_lo, s1, v4, vcc_lo
	v_lshl_or_b32 v8, v8, 24, v10
	s_delay_alu instid0(VALU_DEP_1)
	v_or3_b32 v7, v8, v7, v9
	global_store_b32 v[3:4], v7, off
	v_cmpx_gt_u32_e64 s11, v0
	s_cbranch_execz .LBB11_68
; %bb.74:                               ;   in Loop: Header=BB11_71 Depth=1
	v_lshlrev_b64 v[3:4], 3, v[0:1]
	s_delay_alu instid0(VALU_DEP_1) | instskip(NEXT) | instid1(VALU_DEP_2)
	v_add_co_u32 v7, vcc_lo, s18, v3
	v_add_co_ci_u32_e32 v8, vcc_lo, s19, v4, vcc_lo
	v_add_co_u32 v3, vcc_lo, s9, v3
	v_add_co_ci_u32_e32 v4, vcc_lo, s10, v4, vcc_lo
	global_load_b64 v[7:8], v[7:8], off
	global_load_b64 v[3:4], v[3:4], off
	s_waitcnt vmcnt(1)
	v_lshrrev_b32_e32 v9, 16, v7
	s_waitcnt vmcnt(0)
	v_fma_mixlo_f16 v12, v6, v3, 0 op_sel_hi:[0,1,0]
	v_fma_mixlo_f16 v3, v6, v3, 0 op_sel:[0,1,0] op_sel_hi:[0,1,0]
	v_fma_mixlo_f16 v10, v6, v4, 0 op_sel_hi:[0,1,0]
	v_lshrrev_b32_e32 v11, 16, v8
	v_fma_mixlo_f16 v4, v6, v4, 0 op_sel:[0,1,0] op_sel_hi:[0,1,0]
	v_mul_f16_e32 v7, v7, v12
	v_mul_f16_e32 v3, v9, v3
	;; [unrolled: 1-line block ×3, first 2 shown]
	s_delay_alu instid0(VALU_DEP_4) | instskip(NEXT) | instid1(VALU_DEP_4)
	v_mul_f16_e32 v4, v11, v4
	v_cvt_f32_f16_e32 v7, v7
	s_delay_alu instid0(VALU_DEP_4) | instskip(NEXT) | instid1(VALU_DEP_4)
	v_cvt_f32_f16_e32 v3, v3
	v_cvt_f32_f16_e32 v8, v8
	s_delay_alu instid0(VALU_DEP_4) | instskip(NEXT) | instid1(VALU_DEP_3)
	v_cvt_f32_f16_e32 v4, v4
	v_mul_f32_e32 v3, v5, v3
	s_delay_alu instid0(VALU_DEP_1) | instskip(NEXT) | instid1(VALU_DEP_4)
	v_rndne_f32_e32 v3, v3
	v_mul_f32_e32 v8, v5, v8
	s_delay_alu instid0(VALU_DEP_1) | instskip(NEXT) | instid1(VALU_DEP_1)
	v_rndne_f32_e32 v8, v8
	v_cmp_nlt_f32_e32 vcc_lo, 0x42fe0000, v8
	v_cndmask_b32_e32 v9, 0x42fe0000, v8, vcc_lo
	v_mul_f32_e32 v7, v5, v7
	s_delay_alu instid0(VALU_DEP_1) | instskip(NEXT) | instid1(VALU_DEP_1)
	v_rndne_f32_e32 v7, v7
	v_cmp_nlt_f32_e32 vcc_lo, 0x42fe0000, v7
	v_cndmask_b32_e32 v10, 0x42fe0000, v7, vcc_lo
	v_cmp_nlt_f32_e32 vcc_lo, 0x42fe0000, v3
	v_dual_cndmask_b32 v11, 0x42fe0000, v3 :: v_dual_mul_f32 v4, v5, v4
	v_cmp_ngt_f32_e32 vcc_lo, 0xc3000000, v8
	s_delay_alu instid0(VALU_DEP_2) | instskip(SKIP_1) | instid1(VALU_DEP_2)
	v_rndne_f32_e32 v4, v4
	v_cndmask_b32_e32 v8, 0xc3000000, v9, vcc_lo
	v_cmp_nlt_f32_e32 vcc_lo, 0x42fe0000, v4
	s_delay_alu instid0(VALU_DEP_2) | instskip(SKIP_2) | instid1(VALU_DEP_3)
	v_cvt_i32_f32_e32 v8, v8
	v_cndmask_b32_e32 v9, 0x42fe0000, v4, vcc_lo
	v_cmp_ngt_f32_e32 vcc_lo, 0xc3000000, v3
	v_and_b32_e32 v8, 0xff, v8
	v_cndmask_b32_e32 v3, 0xc3000000, v11, vcc_lo
	v_cmp_ngt_f32_e32 vcc_lo, 0xc3000000, v7
	s_delay_alu instid0(VALU_DEP_3) | instskip(NEXT) | instid1(VALU_DEP_3)
	v_lshlrev_b32_e32 v8, 16, v8
	v_cvt_i32_f32_e32 v3, v3
	v_cndmask_b32_e32 v7, 0xc3000000, v10, vcc_lo
	v_cmp_ngt_f32_e32 vcc_lo, 0xc3000000, v4
	s_delay_alu instid0(VALU_DEP_3) | instskip(NEXT) | instid1(VALU_DEP_3)
	v_and_b32_e32 v10, 0xff, v3
	v_cvt_i32_f32_e32 v7, v7
	v_cndmask_b32_e32 v4, 0xc3000000, v9, vcc_lo
	s_delay_alu instid0(VALU_DEP_3) | instskip(NEXT) | instid1(VALU_DEP_3)
	v_lshlrev_b32_e32 v10, 8, v10
	v_and_b32_e32 v7, 0xff, v7
	s_delay_alu instid0(VALU_DEP_3) | instskip(SKIP_2) | instid1(VALU_DEP_3)
	v_cvt_i32_f32_e32 v9, v4
	v_lshlrev_b64 v[3:4], 2, v[0:1]
	v_add3_u32 v0, s5, s16, v2
	v_lshl_or_b32 v8, v9, 24, v8
	s_delay_alu instid0(VALU_DEP_3) | instskip(NEXT) | instid1(VALU_DEP_4)
	v_add_co_u32 v2, vcc_lo, s0, v3
	v_add_co_ci_u32_e32 v3, vcc_lo, s1, v4, vcc_lo
	s_delay_alu instid0(VALU_DEP_4) | instskip(NEXT) | instid1(VALU_DEP_4)
	v_cmp_le_u32_e32 vcc_lo, s11, v0
	v_or3_b32 v4, v8, v10, v7
	s_or_not1_b32 s13, vcc_lo, exec_lo
	global_store_b32 v[2:3], v4, off
	s_branch .LBB11_68
.LBB11_75:
	s_nop 0
	s_sendmsg sendmsg(MSG_DEALLOC_VGPRS)
	s_endpgm
	.section	.rodata,"a",@progbits
	.p2align	6, 0x0
	.amdhsa_kernel _ZN4vllm39rms_norm_dynamic_per_token_quant_kernelIN3c104HalfEaLb0EEEvPT0_PfPKT_S8_PKffiiPS6_
		.amdhsa_group_segment_fixed_size 528
		.amdhsa_private_segment_fixed_size 0
		.amdhsa_kernarg_size 320
		.amdhsa_user_sgpr_count 15
		.amdhsa_user_sgpr_dispatch_ptr 0
		.amdhsa_user_sgpr_queue_ptr 0
		.amdhsa_user_sgpr_kernarg_segment_ptr 1
		.amdhsa_user_sgpr_dispatch_id 0
		.amdhsa_user_sgpr_private_segment_size 0
		.amdhsa_wavefront_size32 1
		.amdhsa_uses_dynamic_stack 0
		.amdhsa_enable_private_segment 0
		.amdhsa_system_sgpr_workgroup_id_x 1
		.amdhsa_system_sgpr_workgroup_id_y 0
		.amdhsa_system_sgpr_workgroup_id_z 0
		.amdhsa_system_sgpr_workgroup_info 0
		.amdhsa_system_vgpr_workitem_id 0
		.amdhsa_next_free_vgpr 25
		.amdhsa_next_free_sgpr 35
		.amdhsa_reserve_vcc 1
		.amdhsa_float_round_mode_32 0
		.amdhsa_float_round_mode_16_64 0
		.amdhsa_float_denorm_mode_32 3
		.amdhsa_float_denorm_mode_16_64 3
		.amdhsa_dx10_clamp 1
		.amdhsa_ieee_mode 1
		.amdhsa_fp16_overflow 0
		.amdhsa_workgroup_processor_mode 1
		.amdhsa_memory_ordered 1
		.amdhsa_forward_progress 0
		.amdhsa_shared_vgpr_count 0
		.amdhsa_exception_fp_ieee_invalid_op 0
		.amdhsa_exception_fp_denorm_src 0
		.amdhsa_exception_fp_ieee_div_zero 0
		.amdhsa_exception_fp_ieee_overflow 0
		.amdhsa_exception_fp_ieee_underflow 0
		.amdhsa_exception_fp_ieee_inexact 0
		.amdhsa_exception_int_div_zero 0
	.end_amdhsa_kernel
	.section	.text._ZN4vllm39rms_norm_dynamic_per_token_quant_kernelIN3c104HalfEaLb0EEEvPT0_PfPKT_S8_PKffiiPS6_,"axG",@progbits,_ZN4vllm39rms_norm_dynamic_per_token_quant_kernelIN3c104HalfEaLb0EEEvPT0_PfPKT_S8_PKffiiPS6_,comdat
.Lfunc_end11:
	.size	_ZN4vllm39rms_norm_dynamic_per_token_quant_kernelIN3c104HalfEaLb0EEEvPT0_PfPKT_S8_PKffiiPS6_, .Lfunc_end11-_ZN4vllm39rms_norm_dynamic_per_token_quant_kernelIN3c104HalfEaLb0EEEvPT0_PfPKT_S8_PKffiiPS6_
                                        ; -- End function
	.section	.AMDGPU.csdata,"",@progbits
; Kernel info:
; codeLenInByte = 7856
; NumSgprs: 37
; NumVgprs: 25
; ScratchSize: 0
; MemoryBound: 0
; FloatMode: 240
; IeeeMode: 1
; LDSByteSize: 528 bytes/workgroup (compile time only)
; SGPRBlocks: 4
; VGPRBlocks: 3
; NumSGPRsForWavesPerEU: 37
; NumVGPRsForWavesPerEU: 25
; Occupancy: 16
; WaveLimiterHint : 0
; COMPUTE_PGM_RSRC2:SCRATCH_EN: 0
; COMPUTE_PGM_RSRC2:USER_SGPR: 15
; COMPUTE_PGM_RSRC2:TRAP_HANDLER: 0
; COMPUTE_PGM_RSRC2:TGID_X_EN: 1
; COMPUTE_PGM_RSRC2:TGID_Y_EN: 0
; COMPUTE_PGM_RSRC2:TGID_Z_EN: 0
; COMPUTE_PGM_RSRC2:TIDIG_COMP_CNT: 0
	.section	.text._ZN4vllm39rms_norm_dynamic_per_token_quant_kernelIN3c108BFloat16ENS1_13Float8_e4m3fnELb1EEEvPT0_PfPKT_S9_PKffiiPS7_,"axG",@progbits,_ZN4vllm39rms_norm_dynamic_per_token_quant_kernelIN3c108BFloat16ENS1_13Float8_e4m3fnELb1EEEvPT0_PfPKT_S9_PKffiiPS7_,comdat
	.protected	_ZN4vllm39rms_norm_dynamic_per_token_quant_kernelIN3c108BFloat16ENS1_13Float8_e4m3fnELb1EEEvPT0_PfPKT_S9_PKffiiPS7_ ; -- Begin function _ZN4vllm39rms_norm_dynamic_per_token_quant_kernelIN3c108BFloat16ENS1_13Float8_e4m3fnELb1EEEvPT0_PfPKT_S9_PKffiiPS7_
	.globl	_ZN4vllm39rms_norm_dynamic_per_token_quant_kernelIN3c108BFloat16ENS1_13Float8_e4m3fnELb1EEEvPT0_PfPKT_S9_PKffiiPS7_
	.p2align	8
	.type	_ZN4vllm39rms_norm_dynamic_per_token_quant_kernelIN3c108BFloat16ENS1_13Float8_e4m3fnELb1EEEvPT0_PfPKT_S9_PKffiiPS7_,@function
_ZN4vllm39rms_norm_dynamic_per_token_quant_kernelIN3c108BFloat16ENS1_13Float8_e4m3fnELb1EEEvPT0_PfPKT_S9_PKffiiPS7_: ; @_ZN4vllm39rms_norm_dynamic_per_token_quant_kernelIN3c108BFloat16ENS1_13Float8_e4m3fnELb1EEEvPT0_PfPKT_S9_PKffiiPS7_
; %bb.0:
	s_mov_b32 s24, s15
	s_clause 0x3
	s_load_b128 s[20:23], s[0:1], 0x28
	s_load_b64 s[26:27], s[0:1], 0x20
	s_load_b256 s[12:19], s[0:1], 0x0
	s_load_b64 s[28:29], s[0:1], 0x38
	s_waitcnt lgkmcnt(0)
	s_or_b32 s2, s22, s21
	s_delay_alu instid0(SALU_CYCLE_1) | instskip(NEXT) | instid1(SALU_CYCLE_1)
	s_and_b32 s2, s2, 3
	s_cmp_lg_u32 s2, 0
	s_cbranch_scc0 .LBB12_37
; %bb.1:
	v_cmp_gt_u32_e64 s2, s21, v0
	v_cmp_le_u32_e64 s3, s21, v0
                                        ; implicit-def: $sgpr7
                                        ; implicit-def: $sgpr4_sgpr5
	s_delay_alu instid0(VALU_DEP_1) | instskip(NEXT) | instid1(SALU_CYCLE_1)
	s_and_saveexec_b32 s6, s3
	s_xor_b32 s6, exec_lo, s6
; %bb.2:
	s_add_u32 s4, s0, 64
	s_addc_u32 s5, s1, 0
	s_mov_b32 s7, 0
; %bb.3:
	s_or_saveexec_b32 s6, s6
	v_mov_b32_e32 v1, s4
	v_dual_mov_b32 v5, s7 :: v_dual_mov_b32 v2, s5
	v_mov_b32_e32 v3, s24
	s_xor_b32 exec_lo, exec_lo, s6
	s_cbranch_execz .LBB12_7
; %bb.4:
	s_load_b32 s23, s[0:1], 0x4c
	s_ashr_i32 s5, s22, 31
	s_ashr_i32 s4, s21, 31
	s_mul_hi_u32 s8, s22, s24
	s_mul_i32 s5, s5, s24
	s_mul_i32 s9, s4, s24
	s_add_i32 s5, s8, s5
	s_mul_i32 s4, s22, s24
	s_mul_hi_u32 s7, s21, s24
	s_lshl_b64 s[4:5], s[4:5], 1
	s_add_i32 s11, s7, s9
	s_mul_i32 s10, s21, s24
	s_add_u32 s7, s16, s4
	s_addc_u32 s8, s17, s5
	s_lshl_b64 s[4:5], s[10:11], 1
	v_dual_mov_b32 v2, 0 :: v_dual_mov_b32 v5, 0
	s_add_u32 s9, s28, s4
	v_mov_b32_e32 v1, v0
	s_addc_u32 s10, s29, s5
	s_add_u32 s4, s0, 64
	s_addc_u32 s5, s1, 0
	s_waitcnt lgkmcnt(0)
	s_and_b32 s23, s23, 0xffff
	s_mov_b32 s11, 0
	.p2align	6
.LBB12_5:                               ; =>This Inner Loop Header: Depth=1
	v_lshlrev_b64 v[3:4], 1, v[1:2]
	v_add_nc_u32_e32 v1, s23, v1
	s_delay_alu instid0(VALU_DEP_2) | instskip(NEXT) | instid1(VALU_DEP_3)
	v_add_co_u32 v6, vcc_lo, s9, v3
	v_add_co_ci_u32_e32 v7, vcc_lo, s10, v4, vcc_lo
	v_add_co_u32 v3, vcc_lo, s7, v3
	v_add_co_ci_u32_e32 v4, vcc_lo, s8, v4, vcc_lo
	v_cmp_le_u32_e32 vcc_lo, s21, v1
	global_load_u16 v6, v[6:7], off
	global_load_u16 v3, v[3:4], off
	s_or_b32 s11, vcc_lo, s11
	s_waitcnt vmcnt(1)
	v_lshlrev_b32_e32 v4, 16, v6
	s_waitcnt vmcnt(0)
	v_lshlrev_b32_e32 v3, 16, v3
	s_delay_alu instid0(VALU_DEP_1) | instskip(NEXT) | instid1(VALU_DEP_1)
	v_add_f32_e32 v3, v3, v4
	v_fmac_f32_e32 v5, v3, v3
	s_and_not1_b32 exec_lo, exec_lo, s11
	s_cbranch_execnz .LBB12_5
; %bb.6:
	s_or_b32 exec_lo, exec_lo, s11
	v_dual_mov_b32 v1, s4 :: v_dual_mov_b32 v2, s5
	v_mov_b32_e32 v3, s24
.LBB12_7:
	s_or_b32 exec_lo, exec_lo, s6
	global_load_b32 v4, v[1:2], off
	v_and_b32_e32 v14, 0x3e0, v0
	s_waitcnt vmcnt(0)
	v_cmp_lt_u32_e32 vcc_lo, v3, v4
	v_cndmask_b32_e64 v3, 18, 12, vcc_lo
	s_delay_alu instid0(VALU_DEP_1) | instskip(SKIP_3) | instid1(VALU_DEP_1)
	v_add_co_u32 v1, vcc_lo, v1, v3
	v_add_co_ci_u32_e32 v2, vcc_lo, 0, v2, vcc_lo
	global_load_u16 v1, v[1:2], off
	v_mbcnt_lo_u32_b32 v2, -1, 0
	v_cmp_ne_u32_e32 vcc_lo, 31, v2
	v_cmp_eq_u32_e64 s5, 0, v2
	v_add_co_ci_u32_e32 v3, vcc_lo, 0, v2, vcc_lo
	v_cmp_gt_u32_e32 vcc_lo, 30, v2
	s_delay_alu instid0(VALU_DEP_2)
	v_lshlrev_b32_e32 v3, 2, v3
	v_cndmask_b32_e64 v7, 0, 1, vcc_lo
	ds_bpermute_b32 v6, v3, v5
	s_waitcnt lgkmcnt(0)
	v_dual_add_f32 v8, v5, v6 :: v_dual_lshlrev_b32 v7, 1, v7
	v_add_nc_u32_e32 v4, 1, v2
	s_delay_alu instid0(VALU_DEP_2) | instskip(SKIP_2) | instid1(VALU_DEP_1)
	v_add_lshl_u32 v6, v7, v2, 2
	s_waitcnt vmcnt(0)
	v_sub_nc_u32_e64 v15, v1, v14 clamp
	v_cmp_lt_u32_e32 vcc_lo, v4, v15
	v_cndmask_b32_e32 v5, v5, v8, vcc_lo
	v_cmp_gt_u32_e32 vcc_lo, 28, v2
	ds_bpermute_b32 v7, v6, v5
	v_cndmask_b32_e64 v8, 0, 1, vcc_lo
	s_delay_alu instid0(VALU_DEP_1) | instskip(SKIP_1) | instid1(VALU_DEP_1)
	v_lshlrev_b32_e32 v9, 2, v8
	v_add_nc_u32_e32 v8, 2, v2
	v_cmp_lt_u32_e32 vcc_lo, v8, v15
	s_waitcnt lgkmcnt(0)
	v_add_f32_e32 v10, v5, v7
	v_add_lshl_u32 v7, v9, v2, 2
	s_delay_alu instid0(VALU_DEP_2) | instskip(SKIP_3) | instid1(VALU_DEP_1)
	v_cndmask_b32_e32 v5, v5, v10, vcc_lo
	v_cmp_gt_u32_e32 vcc_lo, 24, v2
	ds_bpermute_b32 v9, v7, v5
	v_cndmask_b32_e64 v10, 0, 1, vcc_lo
	v_lshlrev_b32_e32 v11, 3, v10
	v_add_nc_u32_e32 v10, 4, v2
	s_delay_alu instid0(VALU_DEP_1) | instskip(SKIP_3) | instid1(VALU_DEP_2)
	v_cmp_lt_u32_e32 vcc_lo, v10, v15
	s_waitcnt lgkmcnt(0)
	v_add_f32_e32 v12, v5, v9
	v_add_lshl_u32 v9, v11, v2, 2
	v_cndmask_b32_e32 v5, v5, v12, vcc_lo
	v_cmp_gt_u32_e32 vcc_lo, 16, v2
	ds_bpermute_b32 v11, v9, v5
	v_cndmask_b32_e64 v12, 0, 1, vcc_lo
	s_delay_alu instid0(VALU_DEP_1) | instskip(SKIP_1) | instid1(VALU_DEP_1)
	v_lshlrev_b32_e32 v13, 4, v12
	v_add_nc_u32_e32 v12, 8, v2
	v_cmp_lt_u32_e32 vcc_lo, v12, v15
	s_waitcnt lgkmcnt(0)
	v_add_f32_e32 v16, v5, v11
	v_add_lshl_u32 v11, v13, v2, 2
	v_add_nc_u32_e32 v13, 16, v2
	s_delay_alu instid0(VALU_DEP_3) | instskip(NEXT) | instid1(VALU_DEP_2)
	v_cndmask_b32_e32 v5, v5, v16, vcc_lo
	v_cmp_lt_u32_e32 vcc_lo, v13, v15
	ds_bpermute_b32 v16, v11, v5
	s_waitcnt lgkmcnt(0)
	v_add_f32_e32 v16, v5, v16
	s_delay_alu instid0(VALU_DEP_1)
	v_cndmask_b32_e32 v5, v5, v16, vcc_lo
	s_and_saveexec_b32 s4, s5
	s_cbranch_execz .LBB12_9
; %bb.8:
	v_lshrrev_b32_e32 v15, 3, v0
	s_delay_alu instid0(VALU_DEP_1)
	v_and_b32_e32 v15, 0x7c, v15
	ds_store_b32 v15, v5 offset:256
.LBB12_9:
	s_or_b32 exec_lo, exec_lo, s4
	v_cmp_gt_u32_e64 s6, 32, v0
	v_lshlrev_b32_e32 v15, 2, v2
	s_waitcnt lgkmcnt(0)
	s_barrier
	buffer_gl0_inv
	s_and_saveexec_b32 s4, s6
	s_cbranch_execz .LBB12_11
; %bb.10:
	ds_load_b32 v2, v15 offset:256
	v_add_nc_u32_e32 v1, 31, v1
	s_delay_alu instid0(VALU_DEP_1) | instskip(NEXT) | instid1(VALU_DEP_1)
	v_lshrrev_b32_e32 v1, 5, v1
	v_cmp_lt_u32_e32 vcc_lo, v4, v1
	s_waitcnt lgkmcnt(0)
	ds_bpermute_b32 v5, v3, v2
	s_waitcnt lgkmcnt(0)
	v_add_f32_e32 v5, v2, v5
	s_delay_alu instid0(VALU_DEP_1) | instskip(SKIP_4) | instid1(VALU_DEP_1)
	v_cndmask_b32_e32 v2, v2, v5, vcc_lo
	v_cmp_lt_u32_e32 vcc_lo, v8, v1
	ds_bpermute_b32 v5, v6, v2
	s_waitcnt lgkmcnt(0)
	v_add_f32_e32 v5, v2, v5
	v_cndmask_b32_e32 v2, v2, v5, vcc_lo
	v_cmp_lt_u32_e32 vcc_lo, v10, v1
	ds_bpermute_b32 v5, v7, v2
	s_waitcnt lgkmcnt(0)
	v_add_f32_e32 v5, v2, v5
	s_delay_alu instid0(VALU_DEP_1) | instskip(SKIP_4) | instid1(VALU_DEP_1)
	v_cndmask_b32_e32 v2, v2, v5, vcc_lo
	v_cmp_lt_u32_e32 vcc_lo, v12, v1
	ds_bpermute_b32 v5, v9, v2
	s_waitcnt lgkmcnt(0)
	v_add_f32_e32 v5, v2, v5
	v_cndmask_b32_e32 v2, v2, v5, vcc_lo
	v_cmp_lt_u32_e32 vcc_lo, v13, v1
	ds_bpermute_b32 v5, v11, v2
	s_waitcnt lgkmcnt(0)
	v_add_f32_e32 v5, v2, v5
	s_delay_alu instid0(VALU_DEP_1)
	v_cndmask_b32_e32 v5, v2, v5, vcc_lo
.LBB12_11:
	s_or_b32 exec_lo, exec_lo, s4
	v_cmp_eq_u32_e64 s4, 0, v0
	s_mov_b32 s25, 0
	s_delay_alu instid0(VALU_DEP_1)
	s_and_saveexec_b32 s7, s4
	s_cbranch_execz .LBB12_13
; %bb.12:
	v_cvt_f32_i32_e32 v1, s21
	s_delay_alu instid0(VALU_DEP_1) | instskip(SKIP_1) | instid1(VALU_DEP_2)
	v_div_scale_f32 v2, null, v1, v1, v5
	v_div_scale_f32 v18, vcc_lo, v5, v1, v5
	v_rcp_f32_e32 v16, v2
	s_waitcnt_depctr 0xfff
	v_fma_f32 v17, -v2, v16, 1.0
	s_delay_alu instid0(VALU_DEP_1) | instskip(NEXT) | instid1(VALU_DEP_1)
	v_fmac_f32_e32 v16, v17, v16
	v_mul_f32_e32 v17, v18, v16
	s_delay_alu instid0(VALU_DEP_1) | instskip(NEXT) | instid1(VALU_DEP_1)
	v_fma_f32 v19, -v2, v17, v18
	v_fmac_f32_e32 v17, v19, v16
	s_delay_alu instid0(VALU_DEP_1) | instskip(NEXT) | instid1(VALU_DEP_1)
	v_fma_f32 v2, -v2, v17, v18
	v_div_fmas_f32 v2, v2, v16, v17
	s_delay_alu instid0(VALU_DEP_1) | instskip(NEXT) | instid1(VALU_DEP_1)
	v_div_fixup_f32 v1, v2, v1, v5
	v_add_f32_e32 v1, s20, v1
	s_delay_alu instid0(VALU_DEP_1) | instskip(SKIP_1) | instid1(VALU_DEP_2)
	v_mul_f32_e32 v2, 0x4b800000, v1
	v_cmp_gt_f32_e32 vcc_lo, 0x800000, v1
	v_cndmask_b32_e32 v1, v1, v2, vcc_lo
	s_delay_alu instid0(VALU_DEP_1) | instskip(SKIP_2) | instid1(VALU_DEP_1)
	v_rsq_f32_e32 v1, v1
	s_waitcnt_depctr 0xfff
	v_mul_f32_e32 v2, 0x45800000, v1
	v_dual_cndmask_b32 v1, v1, v2 :: v_dual_mov_b32 v2, 0
	ds_store_b32 v2, v1 offset:520
.LBB12_13:
	s_or_b32 exec_lo, exec_lo, s7
	v_mov_b32_e32 v1, 0
	s_waitcnt lgkmcnt(0)
	s_barrier
	buffer_gl0_inv
                                        ; implicit-def: $sgpr7
                                        ; implicit-def: $sgpr8_sgpr9
	ds_load_b32 v5, v1 offset:520
	s_waitcnt lgkmcnt(0)
	s_barrier
	buffer_gl0_inv
	s_and_saveexec_b32 s10, s3
	s_delay_alu instid0(SALU_CYCLE_1)
	s_xor_b32 s3, exec_lo, s10
; %bb.14:
	s_add_u32 s8, s0, 64
	s_addc_u32 s9, s1, 0
	s_mov_b32 s7, 0
; %bb.15:
	s_or_saveexec_b32 s3, s3
	v_dual_mov_b32 v16, s7 :: v_dual_mov_b32 v1, s8
	v_mov_b32_e32 v2, s9
	s_mul_hi_u32 s11, s21, s24
	s_mul_i32 s30, s21, s24
	s_mul_hi_u32 s23, s22, s24
	s_mul_i32 s34, s22, s24
	s_xor_b32 exec_lo, exec_lo, s3
	s_cbranch_execz .LBB12_19
; %bb.16:
	s_load_b32 s36, s[0:1], 0x4c
	s_ashr_i32 s8, s22, 31
	s_ashr_i32 s7, s21, 31
	s_mul_i32 s8, s8, s24
	s_mul_i32 s7, s7, s24
	s_add_i32 s35, s23, s8
	s_add_i32 s31, s11, s7
	s_lshl_b64 s[8:9], s[34:35], 1
	v_dual_mov_b32 v2, 0 :: v_dual_mov_b32 v1, v0
	s_add_u32 s7, s16, s8
	s_addc_u32 s10, s17, s9
	s_lshl_b64 s[8:9], s[30:31], 1
	v_mov_b32_e32 v16, 0
	s_add_u32 s31, s28, s8
	s_addc_u32 s33, s29, s9
	s_add_u32 s8, s0, 64
	s_addc_u32 s9, s1, 0
	s_mov_b32 s35, 0
	s_waitcnt lgkmcnt(0)
	s_and_b32 s36, s36, 0xffff
.LBB12_17:                              ; =>This Inner Loop Header: Depth=1
	v_lshlrev_b64 v[17:18], 1, v[1:2]
	s_delay_alu instid0(VALU_DEP_2) | instskip(NEXT) | instid1(VALU_DEP_2)
	v_dual_max_f32 v16, v16, v16 :: v_dual_add_nc_u32 v1, s36, v1
	v_add_co_u32 v19, vcc_lo, s31, v17
	s_delay_alu instid0(VALU_DEP_3)
	v_add_co_ci_u32_e32 v20, vcc_lo, s33, v18, vcc_lo
	v_add_co_u32 v21, vcc_lo, s7, v17
	v_add_co_ci_u32_e32 v22, vcc_lo, s10, v18, vcc_lo
	v_add_co_u32 v17, vcc_lo, s18, v17
	global_load_u16 v19, v[19:20], off
	global_load_u16 v20, v[21:22], off
	v_add_co_ci_u32_e32 v18, vcc_lo, s19, v18, vcc_lo
	global_load_u16 v17, v[17:18], off
	s_waitcnt vmcnt(2)
	v_lshlrev_b32_e32 v18, 16, v19
	s_waitcnt vmcnt(1)
	v_lshlrev_b32_e32 v19, 16, v20
	s_delay_alu instid0(VALU_DEP_1) | instskip(NEXT) | instid1(VALU_DEP_1)
	v_add_f32_e32 v18, v19, v18
	v_mul_f32_e32 v18, v5, v18
	s_delay_alu instid0(VALU_DEP_1) | instskip(SKIP_1) | instid1(VALU_DEP_2)
	v_bfe_u32 v19, v18, 16, 1
	v_cmp_o_f32_e32 vcc_lo, v18, v18
	v_add3_u32 v19, v18, v19, 0x7fff
	s_delay_alu instid0(VALU_DEP_1) | instskip(SKIP_1) | instid1(VALU_DEP_1)
	v_and_b32_e32 v19, 0xffff0000, v19
	s_waitcnt vmcnt(0)
	v_dual_cndmask_b32 v18, 0x7fc00000, v19 :: v_dual_lshlrev_b32 v17, 16, v17
	s_delay_alu instid0(VALU_DEP_1) | instskip(NEXT) | instid1(VALU_DEP_1)
	v_mul_f32_e32 v17, v18, v17
	v_bfe_u32 v18, v17, 16, 1
	s_delay_alu instid0(VALU_DEP_1) | instskip(NEXT) | instid1(VALU_DEP_1)
	v_add3_u32 v18, v17, v18, 0x7fff
	v_and_b32_e32 v18, 0xffff0000, v18
	v_cmp_o_f32_e32 vcc_lo, v17, v17
	s_delay_alu instid0(VALU_DEP_2) | instskip(SKIP_1) | instid1(VALU_DEP_2)
	v_cndmask_b32_e64 v17, 0x7fc00000, |v18|, vcc_lo
	v_cmp_le_u32_e32 vcc_lo, s21, v1
	v_max_f32_e32 v17, v17, v17
	s_or_b32 s35, vcc_lo, s35
	s_delay_alu instid0(VALU_DEP_1)
	v_max_f32_e32 v16, v16, v17
	s_and_not1_b32 exec_lo, exec_lo, s35
	s_cbranch_execnz .LBB12_17
; %bb.18:
	s_or_b32 exec_lo, exec_lo, s35
	v_dual_mov_b32 v1, s8 :: v_dual_mov_b32 v2, s9
.LBB12_19:
	s_or_b32 exec_lo, exec_lo, s3
	global_load_b32 v17, v[1:2], off
	s_waitcnt vmcnt(0)
	v_cmp_lt_u32_e32 vcc_lo, s24, v17
	v_cndmask_b32_e64 v17, 18, 12, vcc_lo
	s_delay_alu instid0(VALU_DEP_1)
	v_add_co_u32 v1, vcc_lo, v1, v17
	v_add_co_ci_u32_e32 v2, vcc_lo, 0, v2, vcc_lo
	global_load_u16 v1, v[1:2], off
	ds_bpermute_b32 v2, v3, v16
	s_waitcnt lgkmcnt(0)
	v_cmp_lt_f32_e32 vcc_lo, v16, v2
	v_cndmask_b32_e32 v2, v16, v2, vcc_lo
	s_waitcnt vmcnt(0)
	v_sub_nc_u32_e64 v14, v1, v14 clamp
	s_delay_alu instid0(VALU_DEP_1)
	v_cmp_lt_u32_e32 vcc_lo, v4, v14
	v_cmp_lt_u32_e64 s9, v13, v14
	v_cndmask_b32_e32 v2, v16, v2, vcc_lo
	ds_bpermute_b32 v17, v6, v2
	s_waitcnt lgkmcnt(0)
	v_cmp_lt_f32_e64 s3, v2, v17
	s_delay_alu instid0(VALU_DEP_1) | instskip(SKIP_1) | instid1(VALU_DEP_1)
	v_cndmask_b32_e64 v17, v2, v17, s3
	v_cmp_lt_u32_e64 s3, v8, v14
	v_cndmask_b32_e64 v2, v2, v17, s3
	s_or_b32 s3, vcc_lo, s3
	ds_bpermute_b32 v17, v7, v2
	s_waitcnt lgkmcnt(0)
	v_cmp_lt_f32_e64 s7, v2, v17
	s_delay_alu instid0(VALU_DEP_1) | instskip(SKIP_1) | instid1(VALU_DEP_1)
	v_cndmask_b32_e64 v17, v2, v17, s7
	v_cmp_lt_u32_e64 s7, v10, v14
	v_cndmask_b32_e64 v2, v2, v17, s7
	s_or_b32 s3, s7, s3
	ds_bpermute_b32 v17, v9, v2
	s_waitcnt lgkmcnt(0)
	v_cmp_lt_f32_e64 s8, v2, v17
	s_delay_alu instid0(VALU_DEP_1) | instskip(SKIP_1) | instid1(VALU_DEP_1)
	v_cndmask_b32_e64 v17, v2, v17, s8
	v_cmp_lt_u32_e64 s8, v12, v14
	v_cndmask_b32_e64 v2, v2, v17, s8
	s_or_b32 s3, s8, s3
	ds_bpermute_b32 v17, v11, v2
	s_waitcnt lgkmcnt(0)
	v_cmp_lt_f32_e64 s10, v2, v17
	s_delay_alu instid0(VALU_DEP_1) | instskip(SKIP_2) | instid1(VALU_DEP_1)
	s_and_b32 vcc_lo, s9, s10
	v_cndmask_b32_e32 v2, v2, v17, vcc_lo
	s_or_b32 vcc_lo, s9, s3
	v_cndmask_b32_e32 v2, v16, v2, vcc_lo
	s_and_saveexec_b32 s3, s5
	s_cbranch_execz .LBB12_21
; %bb.20:
	v_lshrrev_b32_e32 v14, 3, v0
	s_delay_alu instid0(VALU_DEP_1)
	v_and_b32_e32 v14, 0x7c, v14
	ds_store_b32 v14, v2 offset:384
.LBB12_21:
	s_or_b32 exec_lo, exec_lo, s3
	s_waitcnt lgkmcnt(0)
	s_barrier
	buffer_gl0_inv
	s_and_saveexec_b32 s9, s6
	s_cbranch_execz .LBB12_23
; %bb.22:
	ds_load_b32 v2, v15 offset:384
	v_add_nc_u32_e32 v1, 31, v1
	s_delay_alu instid0(VALU_DEP_1) | instskip(NEXT) | instid1(VALU_DEP_1)
	v_lshrrev_b32_e32 v1, 5, v1
	v_cmp_lt_u32_e64 s7, v13, v1
	s_waitcnt lgkmcnt(0)
	ds_bpermute_b32 v3, v3, v2
	s_waitcnt lgkmcnt(0)
	v_cmp_lt_f32_e32 vcc_lo, v2, v3
	v_cndmask_b32_e32 v3, v2, v3, vcc_lo
	v_cmp_lt_u32_e32 vcc_lo, v4, v1
	s_delay_alu instid0(VALU_DEP_2) | instskip(SKIP_3) | instid1(VALU_DEP_1)
	v_cndmask_b32_e32 v3, v2, v3, vcc_lo
	ds_bpermute_b32 v4, v6, v3
	s_waitcnt lgkmcnt(0)
	v_cmp_lt_f32_e64 s3, v3, v4
	v_cndmask_b32_e64 v4, v3, v4, s3
	v_cmp_lt_u32_e64 s3, v8, v1
	s_delay_alu instid0(VALU_DEP_1) | instskip(SKIP_4) | instid1(VALU_DEP_1)
	v_cndmask_b32_e64 v3, v3, v4, s3
	s_or_b32 s3, vcc_lo, s3
	ds_bpermute_b32 v4, v7, v3
	s_waitcnt lgkmcnt(0)
	v_cmp_lt_f32_e64 s5, v3, v4
	v_cndmask_b32_e64 v4, v3, v4, s5
	v_cmp_lt_u32_e64 s5, v10, v1
	s_delay_alu instid0(VALU_DEP_1) | instskip(SKIP_4) | instid1(VALU_DEP_1)
	v_cndmask_b32_e64 v3, v3, v4, s5
	s_or_b32 s3, s5, s3
	ds_bpermute_b32 v4, v9, v3
	s_waitcnt lgkmcnt(0)
	v_cmp_lt_f32_e64 s6, v3, v4
	v_cndmask_b32_e64 v4, v3, v4, s6
	v_cmp_lt_u32_e64 s6, v12, v1
	s_delay_alu instid0(VALU_DEP_1) | instskip(SKIP_4) | instid1(VALU_DEP_1)
	v_cndmask_b32_e64 v3, v3, v4, s6
	s_or_b32 s3, s6, s3
	ds_bpermute_b32 v4, v11, v3
	s_waitcnt lgkmcnt(0)
	v_cmp_lt_f32_e64 s8, v3, v4
	s_and_b32 vcc_lo, s7, s8
	v_cndmask_b32_e32 v1, v3, v4, vcc_lo
	s_or_b32 vcc_lo, s7, s3
	s_delay_alu instid0(VALU_DEP_1)
	v_cndmask_b32_e32 v2, v2, v1, vcc_lo
.LBB12_23:
	s_or_b32 exec_lo, exec_lo, s9
	s_and_saveexec_b32 s3, s4
	s_cbranch_execz .LBB12_27
; %bb.24:
	s_cmp_eq_u64 s[26:27], 0
	s_cbranch_scc1 .LBB12_26
; %bb.25:
	s_load_b32 s4, s[26:27], 0x0
	v_max_f32_e32 v1, v2, v2
	s_waitcnt lgkmcnt(0)
	v_max_f32_e64 v2, s4, s4
	s_delay_alu instid0(VALU_DEP_1)
	v_min_f32_e32 v2, v1, v2
.LBB12_26:
	s_delay_alu instid0(VALU_DEP_1) | instskip(SKIP_2) | instid1(VALU_DEP_2)
	v_div_scale_f32 v1, null, 0x43e00000, 0x43e00000, v2
	v_div_scale_f32 v6, vcc_lo, v2, 0x43e00000, v2
	s_lshl_b64 s[4:5], s[24:25], 2
	v_rcp_f32_e32 v3, v1
	s_add_u32 s4, s14, s4
	s_addc_u32 s5, s15, s5
	s_waitcnt_depctr 0xfff
	v_fma_f32 v4, -v1, v3, 1.0
	s_delay_alu instid0(VALU_DEP_1) | instskip(NEXT) | instid1(VALU_DEP_1)
	v_fmac_f32_e32 v3, v4, v3
	v_mul_f32_e32 v4, v6, v3
	s_delay_alu instid0(VALU_DEP_1) | instskip(NEXT) | instid1(VALU_DEP_1)
	v_fma_f32 v7, -v1, v4, v6
	v_fmac_f32_e32 v4, v7, v3
	s_delay_alu instid0(VALU_DEP_1) | instskip(NEXT) | instid1(VALU_DEP_1)
	v_fma_f32 v1, -v1, v4, v6
	v_div_fmas_f32 v1, v1, v3, v4
	s_delay_alu instid0(VALU_DEP_1) | instskip(NEXT) | instid1(VALU_DEP_1)
	v_div_fixup_f32 v1, v1, 0x43e00000, v2
	v_dual_mov_b32 v2, 0 :: v_dual_max_f32 v1, 0x36924925, v1
	ds_store_b32 v2, v1 offset:524
	global_store_b32 v2, v1, s[4:5]
.LBB12_27:
	s_or_b32 exec_lo, exec_lo, s3
	s_waitcnt lgkmcnt(0)
	s_waitcnt_vscnt null, 0x0
	s_barrier
	buffer_gl0_inv
	s_and_saveexec_b32 s3, s2
	s_cbranch_execz .LBB12_36
; %bb.28:
	v_dual_mov_b32 v2, 0 :: v_dual_mov_b32 v1, v0
	s_load_b32 s2, s[0:1], 0x4c
	s_ashr_i32 s4, s22, 31
	s_ashr_i32 s5, s21, 31
	ds_load_b32 v6, v2 offset:524
	s_mul_i32 s4, s4, s24
	s_mul_i32 s5, s5, s24
	s_add_i32 s35, s23, s4
	s_add_i32 s4, s11, s5
	s_lshl_b64 s[6:7], s[34:35], 1
	s_mov_b32 s8, 0
	s_add_u32 s5, s16, s6
	s_addc_u32 s6, s17, s7
	s_mov_b32 s9, 0x43e00000
	s_waitcnt lgkmcnt(0)
	s_and_b32 s7, s2, 0xffff
	s_branch .LBB12_31
.LBB12_29:                              ;   in Loop: Header=BB12_31 Depth=1
	s_or_b32 exec_lo, exec_lo, s10
.LBB12_30:                              ;   in Loop: Header=BB12_31 Depth=1
	s_delay_alu instid0(SALU_CYCLE_1) | instskip(SKIP_3) | instid1(VALU_DEP_1)
	s_or_b32 exec_lo, exec_lo, s2
	v_add_nc_u32_e32 v1, s7, v1
	v_lshrrev_b32_e32 v7, 24, v7
	v_add_co_u32 v3, s2, s12, v3
	v_add_co_ci_u32_e64 v4, s2, s13, v4, s2
	s_delay_alu instid0(VALU_DEP_4) | instskip(NEXT) | instid1(VALU_DEP_4)
	v_cmp_le_u32_e32 vcc_lo, s21, v1
	v_and_or_b32 v7, 0x80, v7, v8
	s_or_b32 s8, vcc_lo, s8
	global_store_b8 v[3:4], v7, off
	s_and_not1_b32 exec_lo, exec_lo, s8
	s_cbranch_execz .LBB12_36
.LBB12_31:                              ; =>This Inner Loop Header: Depth=1
	v_add_co_u32 v3, s2, s30, v1
	s_delay_alu instid0(VALU_DEP_1) | instskip(SKIP_2) | instid1(VALU_DEP_2)
	v_add_co_ci_u32_e64 v4, null, s4, 0, s2
	v_lshlrev_b64 v[7:8], 1, v[1:2]
	s_mov_b32 s2, exec_lo
	v_lshlrev_b64 v[9:10], 1, v[3:4]
	s_delay_alu instid0(VALU_DEP_2) | instskip(NEXT) | instid1(VALU_DEP_3)
	v_add_co_u32 v11, vcc_lo, s5, v7
	v_add_co_ci_u32_e32 v12, vcc_lo, s6, v8, vcc_lo
	s_delay_alu instid0(VALU_DEP_3) | instskip(NEXT) | instid1(VALU_DEP_4)
	v_add_co_u32 v13, vcc_lo, s28, v9
	v_add_co_ci_u32_e32 v14, vcc_lo, s29, v10, vcc_lo
	v_add_co_u32 v7, vcc_lo, s18, v7
	global_load_u16 v9, v[11:12], off
	global_load_u16 v10, v[13:14], off
	v_add_co_ci_u32_e32 v8, vcc_lo, s19, v8, vcc_lo
	global_load_u16 v7, v[7:8], off
	s_waitcnt vmcnt(2)
	v_lshlrev_b32_e32 v8, 16, v9
	s_waitcnt vmcnt(1)
	v_lshlrev_b32_e32 v9, 16, v10
	s_waitcnt vmcnt(0)
	s_delay_alu instid0(VALU_DEP_1) | instskip(NEXT) | instid1(VALU_DEP_1)
	v_dual_add_f32 v8, v8, v9 :: v_dual_lshlrev_b32 v7, 16, v7
	v_mul_f32_e32 v9, v5, v8
	s_delay_alu instid0(VALU_DEP_1) | instskip(NEXT) | instid1(VALU_DEP_1)
	v_bfe_u32 v10, v9, 16, 1
	v_add3_u32 v10, v9, v10, 0x7fff
	s_delay_alu instid0(VALU_DEP_1) | instskip(SKIP_1) | instid1(VALU_DEP_2)
	v_and_b32_e32 v10, 0xffff0000, v10
	v_cmp_o_f32_e32 vcc_lo, v9, v9
	v_cndmask_b32_e32 v9, 0x7fc00000, v10, vcc_lo
	s_delay_alu instid0(VALU_DEP_1) | instskip(NEXT) | instid1(VALU_DEP_1)
	v_mul_f32_e32 v7, v9, v7
	v_bfe_u32 v9, v7, 16, 1
	v_cmp_o_f32_e32 vcc_lo, v7, v7
	s_delay_alu instid0(VALU_DEP_2) | instskip(NEXT) | instid1(VALU_DEP_1)
	v_add3_u32 v9, v7, v9, 0x7fff
	v_and_b32_e32 v9, 0xffff0000, v9
	s_delay_alu instid0(VALU_DEP_1) | instskip(NEXT) | instid1(VALU_DEP_1)
	v_cndmask_b32_e32 v7, 0x7fc00000, v9, vcc_lo
	v_div_scale_f32 v9, null, v6, v6, v7
	v_div_scale_f32 v12, vcc_lo, v7, v6, v7
	s_delay_alu instid0(VALU_DEP_2) | instskip(SKIP_2) | instid1(VALU_DEP_1)
	v_rcp_f32_e32 v10, v9
	s_waitcnt_depctr 0xfff
	v_fma_f32 v11, -v9, v10, 1.0
	v_fmac_f32_e32 v10, v11, v10
	s_delay_alu instid0(VALU_DEP_1) | instskip(NEXT) | instid1(VALU_DEP_1)
	v_mul_f32_e32 v11, v12, v10
	v_fma_f32 v15, -v9, v11, v12
	s_delay_alu instid0(VALU_DEP_1) | instskip(NEXT) | instid1(VALU_DEP_1)
	v_fmac_f32_e32 v11, v15, v10
	v_fma_f32 v9, -v9, v11, v12
	s_delay_alu instid0(VALU_DEP_1) | instskip(SKIP_2) | instid1(VALU_DEP_3)
	v_div_fmas_f32 v9, v9, v10, v11
	v_bfe_u32 v10, v8, 16, 1
	v_cmp_o_f32_e32 vcc_lo, v8, v8
	v_div_fixup_f32 v7, v9, v6, v7
	s_delay_alu instid0(VALU_DEP_3) | instskip(SKIP_1) | instid1(VALU_DEP_3)
	v_add3_u32 v9, v8, v10, 0x7fff
	v_mov_b32_e32 v8, 0x7f
	v_minmax_f32 v7, v7, s9, 0xc3e00000
	s_delay_alu instid0(VALU_DEP_3) | instskip(NEXT) | instid1(VALU_DEP_2)
	v_lshrrev_b32_e32 v10, 16, v9
	v_and_b32_e32 v9, 0x7fffffff, v7
	s_delay_alu instid0(VALU_DEP_2)
	v_cndmask_b32_e32 v10, 0x7fc0, v10, vcc_lo
	global_store_b16 v[13:14], v10, off
	v_cmpx_gt_u32_e32 0x43f00000, v9
	s_cbranch_execz .LBB12_30
; %bb.32:                               ;   in Loop: Header=BB12_31 Depth=1
	s_mov_b32 s10, exec_lo
                                        ; implicit-def: $vgpr8
	v_cmpx_lt_u32_e32 0x3c7fffff, v9
	s_xor_b32 s10, exec_lo, s10
; %bb.33:                               ;   in Loop: Header=BB12_31 Depth=1
	v_bfe_u32 v8, v7, 20, 1
	s_delay_alu instid0(VALU_DEP_1) | instskip(NEXT) | instid1(VALU_DEP_1)
	v_add3_u32 v8, v7, v8, 0x407ffff
	v_lshrrev_b32_e32 v8, 20, v8
; %bb.34:                               ;   in Loop: Header=BB12_31 Depth=1
	s_and_not1_saveexec_b32 s10, s10
	s_cbranch_execz .LBB12_29
; %bb.35:                               ;   in Loop: Header=BB12_31 Depth=1
	v_add_f32_e64 v8, 0x46800000, |v7|
	s_branch .LBB12_29
.LBB12_36:
	s_or_b32 exec_lo, exec_lo, s3
	s_branch .LBB12_177
.LBB12_37:
	s_cbranch_execz .LBB12_177
; %bb.38:
	s_ashr_i32 s2, s22, 31
	s_mul_hi_u32 s3, s22, s24
	s_mul_i32 s2, s2, s24
	s_ashr_i32 s4, s21, 31
	s_add_i32 s5, s3, s2
	s_load_b32 s3, s[0:1], 0x40
	s_mul_i32 s6, s4, s24
	s_mul_i32 s4, s22, s24
	s_mul_hi_u32 s2, s21, s24
	s_lshl_b64 s[4:5], s[4:5], 1
	s_add_i32 s11, s2, s6
	s_mul_i32 s10, s21, s24
	s_add_u32 s9, s16, s4
	s_addc_u32 s16, s17, s5
	s_lshl_b64 s[4:5], s[10:11], 1
	v_mov_b32_e32 v7, 0
	s_add_u32 s17, s28, s4
	s_addc_u32 s22, s29, s5
	s_ashr_i32 s23, s21, 2
	s_add_u32 s0, s0, 64
	v_cmp_gt_u32_e64 s2, s23, v0
	s_mov_b32 s25, 0
	s_addc_u32 s1, s1, 0
	s_delay_alu instid0(VALU_DEP_1)
	s_and_saveexec_b32 s4, s2
	s_cbranch_execz .LBB12_48
; %bb.39:
	s_waitcnt lgkmcnt(0)
	s_cmp_lt_u32 s24, s3
	v_mov_b32_e32 v2, 0
	s_cselect_b32 s5, 12, 18
	v_mov_b32_e32 v1, v0
	s_add_u32 s6, s0, s5
	s_addc_u32 s7, s1, 0
	s_mov_b32 s5, s25
	global_load_u16 v6, v2, s[6:7]
                                        ; implicit-def: $sgpr6
	s_waitcnt vmcnt(0)
	v_lshlrev_b32_e32 v9, 1, v6
	v_mul_lo_u32 v8, v6, 3
	v_add_nc_u32_e32 v10, v6, v6
	v_mov_b32_e32 v7, v2
	s_branch .LBB12_43
.LBB12_40:                              ;   in Loop: Header=BB12_43 Depth=1
	s_or_b32 exec_lo, exec_lo, s28
	s_delay_alu instid0(SALU_CYCLE_1)
	s_or_not1_b32 s28, s29, exec_lo
.LBB12_41:                              ;   in Loop: Header=BB12_43 Depth=1
	s_or_b32 exec_lo, exec_lo, s8
	s_delay_alu instid0(SALU_CYCLE_1) | instskip(SKIP_1) | instid1(SALU_CYCLE_1)
	s_and_not1_b32 s6, s6, exec_lo
	s_and_b32 s8, s28, exec_lo
	s_or_b32 s6, s6, s8
.LBB12_42:                              ;   in Loop: Header=BB12_43 Depth=1
	s_or_b32 exec_lo, exec_lo, s7
	s_delay_alu instid0(SALU_CYCLE_1) | instskip(NEXT) | instid1(SALU_CYCLE_1)
	s_and_b32 s7, exec_lo, s6
	s_or_b32 s5, s7, s5
	s_delay_alu instid0(SALU_CYCLE_1)
	s_and_not1_b32 exec_lo, exec_lo, s5
	s_cbranch_execz .LBB12_47
.LBB12_43:                              ; =>This Inner Loop Header: Depth=1
	v_lshlrev_b64 v[3:4], 3, v[1:2]
	s_or_b32 s6, s6, exec_lo
	s_mov_b32 s7, exec_lo
	s_delay_alu instid0(VALU_DEP_1) | instskip(NEXT) | instid1(VALU_DEP_2)
	v_add_co_u32 v11, vcc_lo, s9, v3
	v_add_co_ci_u32_e32 v12, vcc_lo, s16, v4, vcc_lo
	v_add_co_u32 v3, vcc_lo, s17, v3
	v_add_co_ci_u32_e32 v4, vcc_lo, s22, v4, vcc_lo
	global_load_b64 v[11:12], v[11:12], off
	global_load_b64 v[3:4], v[3:4], off
	s_waitcnt vmcnt(1)
	v_lshlrev_b32_e32 v5, 16, v11
	s_waitcnt vmcnt(0)
	v_lshlrev_b32_e32 v13, 16, v3
	v_and_b32_e32 v14, 0xffff0000, v11
	v_alignbit_b32 v11, v12, v11, 16
	v_and_b32_e32 v15, 0xffff0000, v3
	v_alignbit_b32 v3, v4, v3, 16
	v_dual_add_f32 v5, v5, v13 :: v_dual_and_b32 v4, 0xffff0000, v4
	s_delay_alu instid0(VALU_DEP_4) | instskip(NEXT) | instid1(VALU_DEP_4)
	v_and_b32_e32 v11, 0xffff0000, v11
	v_add_f32_e32 v13, v14, v15
	s_delay_alu instid0(VALU_DEP_4) | instskip(NEXT) | instid1(VALU_DEP_4)
	v_and_b32_e32 v3, 0xffff0000, v3
	v_fmac_f32_e32 v7, v5, v5
	v_and_b32_e32 v5, 0xffff0000, v12
	s_delay_alu instid0(VALU_DEP_3) | instskip(NEXT) | instid1(VALU_DEP_3)
	v_add_f32_e32 v3, v11, v3
	v_fmac_f32_e32 v7, v13, v13
	s_delay_alu instid0(VALU_DEP_1) | instskip(SKIP_1) | instid1(VALU_DEP_2)
	v_dual_add_f32 v4, v5, v4 :: v_dual_fmac_f32 v7, v3, v3
	v_add_nc_u32_e32 v3, v1, v6
	v_fmac_f32_e32 v7, v4, v4
	s_delay_alu instid0(VALU_DEP_2)
	v_cmpx_gt_u32_e64 s23, v3
	s_cbranch_execz .LBB12_42
; %bb.44:                               ;   in Loop: Header=BB12_43 Depth=1
	v_mov_b32_e32 v4, v2
	s_mov_b32 s28, -1
	s_mov_b32 s8, exec_lo
	s_delay_alu instid0(VALU_DEP_1) | instskip(NEXT) | instid1(VALU_DEP_1)
	v_lshlrev_b64 v[4:5], 3, v[3:4]
	v_add_co_u32 v11, vcc_lo, s9, v4
	s_delay_alu instid0(VALU_DEP_2)
	v_add_co_ci_u32_e32 v12, vcc_lo, s16, v5, vcc_lo
	v_add_co_u32 v4, vcc_lo, s17, v4
	v_add_co_ci_u32_e32 v5, vcc_lo, s22, v5, vcc_lo
	global_load_b64 v[11:12], v[11:12], off
	global_load_b64 v[4:5], v[4:5], off
	s_waitcnt vmcnt(1)
	v_lshlrev_b32_e32 v13, 16, v11
	s_waitcnt vmcnt(0)
	v_lshlrev_b32_e32 v14, 16, v4
	v_and_b32_e32 v16, 0xffff0000, v4
	v_alignbit_b32 v4, v5, v4, 16
	v_and_b32_e32 v5, 0xffff0000, v5
	s_delay_alu instid0(VALU_DEP_4) | instskip(NEXT) | instid1(VALU_DEP_1)
	v_add_f32_e32 v13, v13, v14
	v_dual_fmac_f32 v7, v13, v13 :: v_dual_and_b32 v4, 0xffff0000, v4
	v_and_b32_e32 v15, 0xffff0000, v11
	v_alignbit_b32 v11, v12, v11, 16
	s_delay_alu instid0(VALU_DEP_1) | instskip(NEXT) | instid1(VALU_DEP_1)
	v_and_b32_e32 v11, 0xffff0000, v11
	v_add_f32_e32 v4, v11, v4
	s_delay_alu instid0(VALU_DEP_4) | instskip(NEXT) | instid1(VALU_DEP_1)
	v_add_f32_e32 v14, v15, v16
	v_fmac_f32_e32 v7, v14, v14
	s_delay_alu instid0(VALU_DEP_1) | instskip(SKIP_1) | instid1(VALU_DEP_1)
	v_dual_fmac_f32 v7, v4, v4 :: v_dual_add_nc_u32 v4, v9, v1
	v_and_b32_e32 v12, 0xffff0000, v12
	v_add_f32_e32 v5, v12, v5
	s_delay_alu instid0(VALU_DEP_1) | instskip(NEXT) | instid1(VALU_DEP_4)
	v_fmac_f32_e32 v7, v5, v5
	v_cmpx_gt_u32_e64 s23, v4
	s_cbranch_execz .LBB12_41
; %bb.45:                               ;   in Loop: Header=BB12_43 Depth=1
	v_mov_b32_e32 v5, v2
	v_add_nc_u32_e32 v1, v8, v1
	s_mov_b32 s29, -1
	s_mov_b32 s28, exec_lo
	s_delay_alu instid0(VALU_DEP_2) | instskip(NEXT) | instid1(VALU_DEP_1)
	v_lshlrev_b64 v[4:5], 3, v[4:5]
	v_add_co_u32 v11, vcc_lo, s9, v4
	s_delay_alu instid0(VALU_DEP_2)
	v_add_co_ci_u32_e32 v12, vcc_lo, s16, v5, vcc_lo
	v_add_co_u32 v4, vcc_lo, s17, v4
	v_add_co_ci_u32_e32 v5, vcc_lo, s22, v5, vcc_lo
	global_load_b64 v[11:12], v[11:12], off
	global_load_b64 v[4:5], v[4:5], off
	s_waitcnt vmcnt(0)
	v_lshlrev_b32_e32 v14, 16, v4
	v_and_b32_e32 v16, 0xffff0000, v4
	v_alignbit_b32 v4, v5, v4, 16
	v_and_b32_e32 v5, 0xffff0000, v5
	s_delay_alu instid0(VALU_DEP_2) | instskip(SKIP_3) | instid1(VALU_DEP_2)
	v_and_b32_e32 v4, 0xffff0000, v4
	v_and_b32_e32 v15, 0xffff0000, v11
	v_lshlrev_b32_e32 v13, 16, v11
	v_alignbit_b32 v11, v12, v11, 16
	v_add_f32_e32 v13, v13, v14
	s_delay_alu instid0(VALU_DEP_2) | instskip(NEXT) | instid1(VALU_DEP_1)
	v_and_b32_e32 v11, 0xffff0000, v11
	v_dual_fmac_f32 v7, v13, v13 :: v_dual_add_f32 v4, v11, v4
	v_add_f32_e32 v14, v15, v16
	s_delay_alu instid0(VALU_DEP_1) | instskip(NEXT) | instid1(VALU_DEP_1)
	v_dual_fmac_f32 v7, v14, v14 :: v_dual_and_b32 v12, 0xffff0000, v12
	v_add_f32_e32 v5, v12, v5
	s_delay_alu instid0(VALU_DEP_2) | instskip(NEXT) | instid1(VALU_DEP_1)
	v_fmac_f32_e32 v7, v4, v4
	v_fmac_f32_e32 v7, v5, v5
	v_cmpx_gt_u32_e64 s23, v1
	s_xor_b32 s28, exec_lo, s28
	s_cbranch_execz .LBB12_40
; %bb.46:                               ;   in Loop: Header=BB12_43 Depth=1
	v_lshlrev_b64 v[4:5], 3, v[1:2]
	s_delay_alu instid0(VALU_DEP_1) | instskip(NEXT) | instid1(VALU_DEP_2)
	v_add_co_u32 v11, vcc_lo, s9, v4
	v_add_co_ci_u32_e32 v12, vcc_lo, s16, v5, vcc_lo
	v_add_co_u32 v4, vcc_lo, s17, v4
	v_add_co_ci_u32_e32 v5, vcc_lo, s22, v5, vcc_lo
	global_load_b64 v[11:12], v[11:12], off
	global_load_b64 v[4:5], v[4:5], off
	s_waitcnt vmcnt(0)
	v_lshlrev_b32_e32 v13, 16, v4
	v_and_b32_e32 v14, 0xffff0000, v11
	v_alignbit_b32 v15, v5, v4, 16
	v_and_b32_e32 v4, 0xffff0000, v4
	v_lshlrev_b32_e32 v1, 16, v11
	v_alignbit_b32 v11, v12, v11, 16
	s_delay_alu instid0(VALU_DEP_3) | instskip(NEXT) | instid1(VALU_DEP_3)
	v_dual_add_f32 v4, v14, v4 :: v_dual_and_b32 v5, 0xffff0000, v5
	v_add_f32_e32 v1, v1, v13
	s_delay_alu instid0(VALU_DEP_3) | instskip(SKIP_1) | instid1(VALU_DEP_3)
	v_and_b32_e32 v11, 0xffff0000, v11
	v_and_b32_e32 v13, 0xffff0000, v15
	v_dual_fmac_f32 v7, v1, v1 :: v_dual_and_b32 v12, 0xffff0000, v12
	v_add3_u32 v1, v10, v6, v3
	s_delay_alu instid0(VALU_DEP_3) | instskip(NEXT) | instid1(VALU_DEP_3)
	v_add_f32_e32 v11, v11, v13
	v_add_f32_e32 v3, v12, v5
	s_delay_alu instid0(VALU_DEP_4) | instskip(NEXT) | instid1(VALU_DEP_4)
	v_fmac_f32_e32 v7, v4, v4
	v_cmp_le_u32_e32 vcc_lo, s23, v1
	s_delay_alu instid0(VALU_DEP_2) | instskip(SKIP_1) | instid1(VALU_DEP_1)
	v_fmac_f32_e32 v7, v11, v11
	s_or_not1_b32 s29, vcc_lo, exec_lo
	v_fmac_f32_e32 v7, v3, v3
	s_branch .LBB12_40
.LBB12_47:
	s_or_b32 exec_lo, exec_lo, s5
.LBB12_48:
	s_delay_alu instid0(SALU_CYCLE_1)
	s_or_b32 exec_lo, exec_lo, s4
	v_mbcnt_lo_u32_b32 v6, -1, 0
	s_waitcnt lgkmcnt(0)
	s_cmp_lt_u32 s24, s3
	v_and_b32_e32 v4, 0x3e0, v0
	s_cselect_b32 s3, 12, 18
	s_delay_alu instid0(SALU_CYCLE_1)
	s_add_u32 s0, s0, s3
	v_cmp_ne_u32_e32 vcc_lo, 31, v6
	s_addc_u32 s1, s1, 0
	v_add_nc_u32_e32 v9, 1, v6
	v_add_nc_u32_e32 v12, 2, v6
	;; [unrolled: 1-line block ×3, first 2 shown]
	v_add_co_ci_u32_e32 v2, vcc_lo, 0, v6, vcc_lo
	v_mov_b32_e32 v1, 0
	v_cmp_gt_u32_e32 vcc_lo, 30, v6
	v_add_nc_u32_e32 v16, 8, v6
	s_delay_alu instid0(VALU_DEP_4)
	v_lshlrev_b32_e32 v8, 2, v2
	v_add_nc_u32_e32 v17, 16, v6
	global_load_u16 v1, v1, s[0:1]
	v_cndmask_b32_e64 v3, 0, 1, vcc_lo
	v_cmp_gt_u32_e32 vcc_lo, 28, v6
	ds_bpermute_b32 v2, v8, v7
	v_cmp_eq_u32_e64 s6, 0, v6
	v_lshlrev_b32_e32 v3, 1, v3
	v_cndmask_b32_e64 v5, 0, 1, vcc_lo
	v_cmp_gt_u32_e32 vcc_lo, 24, v6
	s_delay_alu instid0(VALU_DEP_2) | instskip(NEXT) | instid1(VALU_DEP_1)
	v_lshlrev_b32_e32 v5, 2, v5
	v_add_lshl_u32 v11, v5, v6, 2
	v_cndmask_b32_e64 v5, 0, 1, vcc_lo
	v_cmp_gt_u32_e32 vcc_lo, 16, v6
	s_waitcnt lgkmcnt(0)
	v_add_f32_e32 v2, v7, v2
	v_add_lshl_u32 v10, v3, v6, 2
	v_lshlrev_b32_e32 v5, 3, v5
	s_delay_alu instid0(VALU_DEP_1) | instskip(SKIP_1) | instid1(VALU_DEP_1)
	v_add_lshl_u32 v13, v5, v6, 2
	v_cndmask_b32_e64 v5, 0, 1, vcc_lo
	v_lshlrev_b32_e32 v5, 4, v5
	s_delay_alu instid0(VALU_DEP_1) | instskip(SKIP_3) | instid1(VALU_DEP_2)
	v_add_lshl_u32 v15, v5, v6, 2
	s_waitcnt vmcnt(0)
	v_sub_nc_u32_e64 v4, v1, v4 clamp
	v_readfirstlane_b32 s28, v1
	v_cmp_lt_u32_e64 s0, v9, v4
	v_cmp_lt_u32_e64 s1, v12, v4
	;; [unrolled: 1-line block ×5, first 2 shown]
	v_cndmask_b32_e64 v2, v7, v2, s0
	ds_bpermute_b32 v3, v10, v2
	s_waitcnt lgkmcnt(0)
	v_add_f32_e32 v3, v2, v3
	s_delay_alu instid0(VALU_DEP_1) | instskip(SKIP_3) | instid1(VALU_DEP_1)
	v_cndmask_b32_e64 v2, v2, v3, s1
	ds_bpermute_b32 v3, v11, v2
	s_waitcnt lgkmcnt(0)
	v_add_f32_e32 v3, v2, v3
	v_cndmask_b32_e64 v2, v2, v3, s3
	ds_bpermute_b32 v3, v13, v2
	s_waitcnt lgkmcnt(0)
	v_add_f32_e32 v3, v2, v3
	s_delay_alu instid0(VALU_DEP_1) | instskip(SKIP_3) | instid1(VALU_DEP_1)
	v_cndmask_b32_e64 v2, v2, v3, s5
	ds_bpermute_b32 v3, v15, v2
	s_waitcnt lgkmcnt(0)
	v_add_f32_e32 v3, v2, v3
	v_cndmask_b32_e64 v1, v2, v3, s8
	s_and_saveexec_b32 s4, s6
	s_cbranch_execz .LBB12_50
; %bb.49:
	v_lshrrev_b32_e32 v2, 3, v0
	s_delay_alu instid0(VALU_DEP_1)
	v_and_b32_e32 v2, 0x7c, v2
	ds_store_b32 v2, v1
.LBB12_50:
	s_or_b32 exec_lo, exec_lo, s4
	v_cmp_gt_u32_e64 s7, 32, v0
	s_waitcnt lgkmcnt(0)
	s_waitcnt_vscnt null, 0x0
	s_barrier
	buffer_gl0_inv
	s_and_saveexec_b32 s4, s7
	s_cbranch_execz .LBB12_52
; %bb.51:
	v_lshlrev_b32_e32 v1, 2, v6
	s_add_i32 s29, s28, 31
	s_delay_alu instid0(SALU_CYCLE_1) | instskip(NEXT) | instid1(SALU_CYCLE_1)
	s_lshr_b32 s29, s29, 5
	v_cmp_gt_u32_e32 vcc_lo, s29, v9
	ds_load_b32 v1, v1
	s_waitcnt lgkmcnt(0)
	ds_bpermute_b32 v2, v8, v1
	s_waitcnt lgkmcnt(0)
	v_add_f32_e32 v2, v1, v2
	s_delay_alu instid0(VALU_DEP_1) | instskip(SKIP_4) | instid1(VALU_DEP_1)
	v_cndmask_b32_e32 v1, v1, v2, vcc_lo
	v_cmp_gt_u32_e32 vcc_lo, s29, v12
	ds_bpermute_b32 v2, v10, v1
	s_waitcnt lgkmcnt(0)
	v_add_f32_e32 v2, v1, v2
	v_cndmask_b32_e32 v1, v1, v2, vcc_lo
	v_cmp_gt_u32_e32 vcc_lo, s29, v14
	ds_bpermute_b32 v2, v11, v1
	s_waitcnt lgkmcnt(0)
	v_add_f32_e32 v2, v1, v2
	s_delay_alu instid0(VALU_DEP_1) | instskip(SKIP_4) | instid1(VALU_DEP_1)
	v_cndmask_b32_e32 v1, v1, v2, vcc_lo
	v_cmp_gt_u32_e32 vcc_lo, s29, v16
	ds_bpermute_b32 v2, v13, v1
	s_waitcnt lgkmcnt(0)
	v_add_f32_e32 v2, v1, v2
	v_cndmask_b32_e32 v1, v1, v2, vcc_lo
	v_cmp_gt_u32_e32 vcc_lo, s29, v17
	ds_bpermute_b32 v2, v15, v1
	s_waitcnt lgkmcnt(0)
	v_add_f32_e32 v2, v1, v2
	s_delay_alu instid0(VALU_DEP_1)
	v_cndmask_b32_e32 v1, v1, v2, vcc_lo
.LBB12_52:
	s_or_b32 exec_lo, exec_lo, s4
	v_cmp_eq_u32_e64 s4, 0, v0
	s_delay_alu instid0(VALU_DEP_1)
	s_and_saveexec_b32 s29, s4
	s_cbranch_execz .LBB12_54
; %bb.53:
	v_cvt_f32_i32_e32 v2, s21
	s_delay_alu instid0(VALU_DEP_1) | instskip(SKIP_1) | instid1(VALU_DEP_2)
	v_div_scale_f32 v3, null, v2, v2, v1
	v_div_scale_f32 v7, vcc_lo, v1, v2, v1
	v_rcp_f32_e32 v4, v3
	s_waitcnt_depctr 0xfff
	v_fma_f32 v5, -v3, v4, 1.0
	s_delay_alu instid0(VALU_DEP_1) | instskip(NEXT) | instid1(VALU_DEP_1)
	v_fmac_f32_e32 v4, v5, v4
	v_mul_f32_e32 v5, v7, v4
	s_delay_alu instid0(VALU_DEP_1) | instskip(NEXT) | instid1(VALU_DEP_1)
	v_fma_f32 v18, -v3, v5, v7
	v_fmac_f32_e32 v5, v18, v4
	s_delay_alu instid0(VALU_DEP_1) | instskip(NEXT) | instid1(VALU_DEP_1)
	v_fma_f32 v3, -v3, v5, v7
	v_div_fmas_f32 v3, v3, v4, v5
	s_delay_alu instid0(VALU_DEP_1) | instskip(NEXT) | instid1(VALU_DEP_1)
	v_div_fixup_f32 v1, v3, v2, v1
	v_add_f32_e32 v1, s20, v1
	s_delay_alu instid0(VALU_DEP_1) | instskip(SKIP_1) | instid1(VALU_DEP_2)
	v_mul_f32_e32 v2, 0x4b800000, v1
	v_cmp_gt_f32_e32 vcc_lo, 0x800000, v1
	v_cndmask_b32_e32 v1, v1, v2, vcc_lo
	s_delay_alu instid0(VALU_DEP_1) | instskip(SKIP_2) | instid1(VALU_DEP_1)
	v_rsq_f32_e32 v1, v1
	s_waitcnt_depctr 0xfff
	v_mul_f32_e32 v2, 0x45800000, v1
	v_dual_cndmask_b32 v1, v1, v2 :: v_dual_mov_b32 v2, 0
	ds_store_b32 v2, v1 offset:512
.LBB12_54:
	s_or_b32 exec_lo, exec_lo, s29
	v_mov_b32_e32 v18, 0
	s_waitcnt lgkmcnt(0)
	s_barrier
	buffer_gl0_inv
	ds_load_b32 v7, v18 offset:512
	s_and_saveexec_b32 s20, s2
	s_cbranch_execz .LBB12_64
; %bb.55:
	v_dual_mov_b32 v2, 0 :: v_dual_mov_b32 v1, v0
	v_mov_b32_e32 v18, 0
	s_mul_i32 s21, s28, 3
	s_lshl_b32 s30, s28, 1
	s_mov_b32 s29, 0
	s_add_i32 s31, s28, s28
                                        ; implicit-def: $sgpr33
	s_branch .LBB12_59
.LBB12_56:                              ;   in Loop: Header=BB12_59 Depth=1
	s_or_b32 exec_lo, exec_lo, s36
	s_delay_alu instid0(SALU_CYCLE_1)
	s_or_not1_b32 s36, s37, exec_lo
.LBB12_57:                              ;   in Loop: Header=BB12_59 Depth=1
	s_or_b32 exec_lo, exec_lo, s35
	s_delay_alu instid0(SALU_CYCLE_1) | instskip(SKIP_1) | instid1(SALU_CYCLE_1)
	s_and_not1_b32 s33, s33, exec_lo
	s_and_b32 s35, s36, exec_lo
	s_or_b32 s33, s33, s35
.LBB12_58:                              ;   in Loop: Header=BB12_59 Depth=1
	s_or_b32 exec_lo, exec_lo, s34
	s_delay_alu instid0(SALU_CYCLE_1) | instskip(NEXT) | instid1(SALU_CYCLE_1)
	s_and_b32 s34, exec_lo, s33
	s_or_b32 s29, s34, s29
	s_delay_alu instid0(SALU_CYCLE_1)
	s_and_not1_b32 exec_lo, exec_lo, s29
	s_cbranch_execz .LBB12_63
.LBB12_59:                              ; =>This Inner Loop Header: Depth=1
	v_lshlrev_b64 v[3:4], 3, v[1:2]
	s_or_b32 s33, s33, exec_lo
	s_mov_b32 s34, exec_lo
	s_delay_alu instid0(VALU_DEP_1) | instskip(NEXT) | instid1(VALU_DEP_2)
	v_add_co_u32 v19, vcc_lo, s9, v3
	v_add_co_ci_u32_e32 v20, vcc_lo, s16, v4, vcc_lo
	v_add_co_u32 v21, vcc_lo, s18, v3
	v_add_co_ci_u32_e32 v22, vcc_lo, s19, v4, vcc_lo
	v_add_co_u32 v3, vcc_lo, s17, v3
	v_add_co_ci_u32_e32 v4, vcc_lo, s22, v4, vcc_lo
	global_load_b64 v[19:20], v[19:20], off
	global_load_b64 v[21:22], v[21:22], off
	;; [unrolled: 1-line block ×3, first 2 shown]
	s_waitcnt vmcnt(0)
	v_lshlrev_b32_e32 v25, 16, v3
	v_and_b32_e32 v26, 0xffff0000, v3
	v_lshlrev_b32_e32 v24, 16, v19
	v_and_b32_e32 v5, 0xffff0000, v19
	v_alignbit_b32 v19, v20, v19, 16
	v_alignbit_b32 v3, v4, v3, 16
	s_delay_alu instid0(VALU_DEP_3) | instskip(SKIP_1) | instid1(VALU_DEP_4)
	v_dual_add_f32 v24, v24, v25 :: v_dual_add_f32 v5, v5, v26
	v_and_b32_e32 v20, 0xffff0000, v20
	v_and_b32_e32 v19, 0xffff0000, v19
	s_delay_alu instid0(VALU_DEP_4)
	v_and_b32_e32 v3, 0xffff0000, v3
	v_and_b32_e32 v4, 0xffff0000, v4
	s_waitcnt lgkmcnt(0)
	v_mul_f32_e32 v24, v7, v24
	v_mul_f32_e32 v5, v7, v5
	v_add_f32_e32 v3, v19, v3
	v_dual_add_f32 v4, v20, v4 :: v_dual_and_b32 v23, 0xffff0000, v21
	v_lshlrev_b32_e32 v20, 16, v21
	v_alignbit_b32 v19, v22, v21, 16
	s_delay_alu instid0(VALU_DEP_4)
	v_mul_f32_e32 v3, v7, v3
	v_bfe_u32 v21, v24, 16, 1
	v_mul_f32_e32 v4, v7, v4
	v_bfe_u32 v25, v5, 16, 1
	v_cmp_o_f32_e32 vcc_lo, v24, v24
	v_bfe_u32 v27, v3, 16, 1
	v_add3_u32 v21, v24, v21, 0x7fff
	v_bfe_u32 v26, v4, 16, 1
	v_add3_u32 v25, v5, v25, 0x7fff
	s_delay_alu instid0(VALU_DEP_4) | instskip(NEXT) | instid1(VALU_DEP_4)
	v_add3_u32 v27, v3, v27, 0x7fff
	v_and_b32_e32 v21, 0xffff0000, v21
	s_delay_alu instid0(VALU_DEP_4) | instskip(NEXT) | instid1(VALU_DEP_4)
	v_add3_u32 v26, v4, v26, 0x7fff
	v_and_b32_e32 v25, 0xffff0000, v25
	s_delay_alu instid0(VALU_DEP_4) | instskip(NEXT) | instid1(VALU_DEP_4)
	v_and_b32_e32 v24, 0xffff0000, v27
	v_cndmask_b32_e32 v21, 0x7fc00000, v21, vcc_lo
	v_cmp_o_f32_e32 vcc_lo, v5, v5
	v_and_b32_e32 v26, 0xffff0000, v26
	s_delay_alu instid0(VALU_DEP_3) | instskip(SKIP_2) | instid1(VALU_DEP_3)
	v_dual_mul_f32 v20, v21, v20 :: v_dual_cndmask_b32 v5, 0x7fc00000, v25
	v_cmp_o_f32_e32 vcc_lo, v4, v4
	v_and_b32_e32 v22, 0xffff0000, v22
	v_bfe_u32 v21, v20, 16, 1
	s_delay_alu instid0(VALU_DEP_4) | instskip(SKIP_2) | instid1(VALU_DEP_4)
	v_dual_mul_f32 v5, v5, v23 :: v_dual_cndmask_b32 v4, 0x7fc00000, v26
	v_cmp_o_f32_e32 vcc_lo, v3, v3
	v_and_b32_e32 v19, 0xffff0000, v19
	v_add3_u32 v21, v20, v21, 0x7fff
	s_delay_alu instid0(VALU_DEP_4) | instskip(SKIP_1) | instid1(VALU_DEP_3)
	v_dual_mul_f32 v4, v4, v22 :: v_dual_cndmask_b32 v3, 0x7fc00000, v24
	v_bfe_u32 v22, v5, 16, 1
	v_and_b32_e32 v21, 0xffff0000, v21
	v_cmp_o_f32_e32 vcc_lo, v20, v20
	s_delay_alu instid0(VALU_DEP_4)
	v_mul_f32_e32 v3, v3, v19
	v_bfe_u32 v19, v4, 16, 1
	v_add3_u32 v22, v5, v22, 0x7fff
	v_cndmask_b32_e64 v20, 0x7fc00000, |v21|, vcc_lo
	v_cmp_o_f32_e32 vcc_lo, v5, v5
	v_bfe_u32 v23, v3, 16, 1
	v_add3_u32 v19, v4, v19, 0x7fff
	v_and_b32_e32 v22, 0xffff0000, v22
	s_delay_alu instid0(VALU_DEP_3) | instskip(NEXT) | instid1(VALU_DEP_3)
	v_add3_u32 v23, v3, v23, 0x7fff
	v_and_b32_e32 v19, 0xffff0000, v19
	s_delay_alu instid0(VALU_DEP_3) | instskip(SKIP_1) | instid1(VALU_DEP_4)
	v_cndmask_b32_e64 v5, 0x7fc00000, |v22|, vcc_lo
	v_cmp_o_f32_e32 vcc_lo, v4, v4
	v_and_b32_e32 v21, 0xffff0000, v23
	s_delay_alu instid0(VALU_DEP_3) | instskip(SKIP_4) | instid1(VALU_DEP_1)
	v_max3_f32 v5, v18, v20, v5
	v_cndmask_b32_e64 v4, 0x7fc00000, |v19|, vcc_lo
	v_cmp_o_f32_e32 vcc_lo, v3, v3
	v_add_nc_u32_e32 v3, s28, v1
	v_cndmask_b32_e64 v18, 0x7fc00000, |v21|, vcc_lo
	v_max3_f32 v18, v5, v18, v4
	s_delay_alu instid0(VALU_DEP_3)
	v_cmpx_gt_u32_e64 s23, v3
	s_cbranch_execz .LBB12_58
; %bb.60:                               ;   in Loop: Header=BB12_59 Depth=1
	v_mov_b32_e32 v4, v2
	s_mov_b32 s36, -1
	s_mov_b32 s35, exec_lo
	s_delay_alu instid0(VALU_DEP_1) | instskip(NEXT) | instid1(VALU_DEP_1)
	v_lshlrev_b64 v[4:5], 3, v[3:4]
	v_add_co_u32 v19, vcc_lo, s9, v4
	s_delay_alu instid0(VALU_DEP_2)
	v_add_co_ci_u32_e32 v20, vcc_lo, s16, v5, vcc_lo
	v_add_co_u32 v21, vcc_lo, s18, v4
	v_add_co_ci_u32_e32 v22, vcc_lo, s19, v5, vcc_lo
	v_add_co_u32 v4, vcc_lo, s17, v4
	v_add_co_ci_u32_e32 v5, vcc_lo, s22, v5, vcc_lo
	global_load_b64 v[19:20], v[19:20], off
	global_load_b64 v[21:22], v[21:22], off
	global_load_b64 v[4:5], v[4:5], off
	s_waitcnt vmcnt(2)
	v_and_b32_e32 v23, 0xffff0000, v19
	s_waitcnt vmcnt(0)
	v_lshlrev_b32_e32 v26, 16, v4
	v_and_b32_e32 v27, 0xffff0000, v4
	v_alignbit_b32 v4, v5, v4, 16
	s_delay_alu instid0(VALU_DEP_1) | instskip(SKIP_2) | instid1(VALU_DEP_3)
	v_dual_add_f32 v23, v23, v27 :: v_dual_and_b32 v4, 0xffff0000, v4
	v_lshlrev_b32_e32 v25, 16, v19
	v_alignbit_b32 v19, v20, v19, 16
	v_dual_mul_f32 v23, v7, v23 :: v_dual_and_b32 v20, 0xffff0000, v20
	s_delay_alu instid0(VALU_DEP_2) | instskip(NEXT) | instid1(VALU_DEP_1)
	v_and_b32_e32 v19, 0xffff0000, v19
	v_dual_add_f32 v4, v19, v4 :: v_dual_and_b32 v5, 0xffff0000, v5
	v_alignbit_b32 v19, v22, v21, 16
	v_and_b32_e32 v22, 0xffff0000, v22
	s_delay_alu instid0(VALU_DEP_3) | instskip(SKIP_3) | instid1(VALU_DEP_4)
	v_dual_mul_f32 v4, v7, v4 :: v_dual_add_f32 v5, v20, v5
	v_dual_add_f32 v25, v25, v26 :: v_dual_and_b32 v24, 0xffff0000, v21
	v_lshlrev_b32_e32 v20, 16, v21
	v_bfe_u32 v26, v23, 16, 1
	v_mul_f32_e32 v5, v7, v5
	v_bfe_u32 v28, v4, 16, 1
	v_mul_f32_e32 v25, v7, v25
	v_and_b32_e32 v19, 0xffff0000, v19
	v_add3_u32 v26, v23, v26, 0x7fff
	v_bfe_u32 v27, v5, 16, 1
	v_add3_u32 v28, v4, v28, 0x7fff
	v_bfe_u32 v21, v25, 16, 1
	v_cmp_o_f32_e32 vcc_lo, v25, v25
	v_and_b32_e32 v26, 0xffff0000, v26
	v_add3_u32 v27, v5, v27, 0x7fff
	s_delay_alu instid0(VALU_DEP_4) | instskip(SKIP_1) | instid1(VALU_DEP_3)
	v_add3_u32 v21, v25, v21, 0x7fff
	v_and_b32_e32 v25, 0xffff0000, v28
	v_and_b32_e32 v27, 0xffff0000, v27
	s_delay_alu instid0(VALU_DEP_3) | instskip(NEXT) | instid1(VALU_DEP_1)
	v_and_b32_e32 v21, 0xffff0000, v21
	v_cndmask_b32_e32 v21, 0x7fc00000, v21, vcc_lo
	v_cmp_o_f32_e32 vcc_lo, v23, v23
	s_delay_alu instid0(VALU_DEP_2) | instskip(SKIP_1) | instid1(VALU_DEP_2)
	v_dual_mul_f32 v20, v21, v20 :: v_dual_cndmask_b32 v23, 0x7fc00000, v26
	v_cmp_o_f32_e32 vcc_lo, v5, v5
	v_mul_f32_e32 v21, v23, v24
	v_cndmask_b32_e32 v5, 0x7fc00000, v27, vcc_lo
	v_cmp_o_f32_e32 vcc_lo, v4, v4
	s_delay_alu instid0(VALU_DEP_3) | instskip(NEXT) | instid1(VALU_DEP_3)
	v_bfe_u32 v23, v21, 16, 1
	v_dual_mul_f32 v5, v5, v22 :: v_dual_cndmask_b32 v4, 0x7fc00000, v25
	v_bfe_u32 v22, v20, 16, 1
	v_cmp_o_f32_e32 vcc_lo, v20, v20
	s_delay_alu instid0(VALU_DEP_4) | instskip(NEXT) | instid1(VALU_DEP_4)
	v_add3_u32 v23, v21, v23, 0x7fff
	v_mul_f32_e32 v4, v4, v19
	s_delay_alu instid0(VALU_DEP_4) | instskip(SKIP_1) | instid1(VALU_DEP_4)
	v_add3_u32 v22, v20, v22, 0x7fff
	v_bfe_u32 v19, v5, 16, 1
	v_and_b32_e32 v23, 0xffff0000, v23
	s_delay_alu instid0(VALU_DEP_4) | instskip(NEXT) | instid1(VALU_DEP_4)
	v_bfe_u32 v24, v4, 16, 1
	v_and_b32_e32 v22, 0xffff0000, v22
	s_delay_alu instid0(VALU_DEP_4) | instskip(NEXT) | instid1(VALU_DEP_3)
	v_add3_u32 v19, v5, v19, 0x7fff
	v_add3_u32 v24, v4, v24, 0x7fff
	s_delay_alu instid0(VALU_DEP_3) | instskip(SKIP_1) | instid1(VALU_DEP_4)
	v_cndmask_b32_e64 v20, 0x7fc00000, |v22|, vcc_lo
	v_cmp_o_f32_e32 vcc_lo, v21, v21
	v_and_b32_e32 v19, 0xffff0000, v19
	s_delay_alu instid0(VALU_DEP_4) | instskip(SKIP_2) | instid1(VALU_DEP_2)
	v_and_b32_e32 v22, 0xffff0000, v24
	v_cndmask_b32_e64 v21, 0x7fc00000, |v23|, vcc_lo
	v_cmp_o_f32_e32 vcc_lo, v5, v5
	v_max3_f32 v18, v18, v20, v21
	v_cndmask_b32_e64 v5, 0x7fc00000, |v19|, vcc_lo
	v_cmp_o_f32_e32 vcc_lo, v4, v4
	v_add_nc_u32_e32 v4, s30, v1
	v_cndmask_b32_e64 v19, 0x7fc00000, |v22|, vcc_lo
	s_delay_alu instid0(VALU_DEP_1) | instskip(NEXT) | instid1(VALU_DEP_3)
	v_max3_f32 v18, v18, v19, v5
	v_cmpx_gt_u32_e64 s23, v4
	s_cbranch_execz .LBB12_57
; %bb.61:                               ;   in Loop: Header=BB12_59 Depth=1
	v_mov_b32_e32 v5, v2
	v_add_nc_u32_e32 v1, s21, v1
	s_mov_b32 s37, -1
	s_mov_b32 s36, exec_lo
	s_delay_alu instid0(VALU_DEP_2) | instskip(NEXT) | instid1(VALU_DEP_1)
	v_lshlrev_b64 v[4:5], 3, v[4:5]
	v_add_co_u32 v19, vcc_lo, s9, v4
	s_delay_alu instid0(VALU_DEP_2)
	v_add_co_ci_u32_e32 v20, vcc_lo, s16, v5, vcc_lo
	v_add_co_u32 v21, vcc_lo, s18, v4
	v_add_co_ci_u32_e32 v22, vcc_lo, s19, v5, vcc_lo
	v_add_co_u32 v4, vcc_lo, s17, v4
	v_add_co_ci_u32_e32 v5, vcc_lo, s22, v5, vcc_lo
	global_load_b64 v[19:20], v[19:20], off
	global_load_b64 v[21:22], v[21:22], off
	;; [unrolled: 1-line block ×3, first 2 shown]
	s_waitcnt vmcnt(2)
	v_lshlrev_b32_e32 v25, 16, v19
	s_waitcnt vmcnt(1)
	v_and_b32_e32 v24, 0xffff0000, v21
	s_waitcnt vmcnt(0)
	v_and_b32_e32 v27, 0xffff0000, v4
	v_lshlrev_b32_e32 v26, 16, v4
	v_alignbit_b32 v4, v5, v4, 16
	v_and_b32_e32 v5, 0xffff0000, v5
	s_delay_alu instid0(VALU_DEP_2) | instskip(SKIP_2) | instid1(VALU_DEP_1)
	v_and_b32_e32 v4, 0xffff0000, v4
	v_and_b32_e32 v23, 0xffff0000, v19
	v_alignbit_b32 v19, v20, v19, 16
	v_and_b32_e32 v19, 0xffff0000, v19
	s_delay_alu instid0(VALU_DEP_1) | instskip(NEXT) | instid1(VALU_DEP_4)
	v_add_f32_e32 v4, v19, v4
	v_add_f32_e32 v23, v23, v27
	v_alignbit_b32 v19, v22, v21, 16
	v_and_b32_e32 v22, 0xffff0000, v22
	s_delay_alu instid0(VALU_DEP_4) | instskip(SKIP_3) | instid1(VALU_DEP_4)
	v_mul_f32_e32 v4, v7, v4
	v_dual_add_f32 v25, v25, v26 :: v_dual_and_b32 v20, 0xffff0000, v20
	v_mul_f32_e32 v23, v7, v23
	v_and_b32_e32 v19, 0xffff0000, v19
	v_bfe_u32 v28, v4, 16, 1
	s_delay_alu instid0(VALU_DEP_4) | instskip(SKIP_4) | instid1(VALU_DEP_3)
	v_add_f32_e32 v5, v20, v5
	v_lshlrev_b32_e32 v20, 16, v21
	v_mul_f32_e32 v25, v7, v25
	v_bfe_u32 v26, v23, 16, 1
	v_add3_u32 v28, v4, v28, 0x7fff
	v_bfe_u32 v21, v25, 16, 1
	s_delay_alu instid0(VALU_DEP_3) | instskip(SKIP_2) | instid1(VALU_DEP_4)
	v_add3_u32 v26, v23, v26, 0x7fff
	v_mul_f32_e32 v5, v7, v5
	v_cmp_o_f32_e32 vcc_lo, v25, v25
	v_add3_u32 v21, v25, v21, 0x7fff
	s_delay_alu instid0(VALU_DEP_4) | instskip(NEXT) | instid1(VALU_DEP_4)
	v_and_b32_e32 v26, 0xffff0000, v26
	v_bfe_u32 v27, v5, 16, 1
	v_and_b32_e32 v25, 0xffff0000, v28
	s_delay_alu instid0(VALU_DEP_4) | instskip(NEXT) | instid1(VALU_DEP_3)
	v_and_b32_e32 v21, 0xffff0000, v21
	v_add3_u32 v27, v5, v27, 0x7fff
	s_delay_alu instid0(VALU_DEP_2) | instskip(SKIP_1) | instid1(VALU_DEP_2)
	v_cndmask_b32_e32 v21, 0x7fc00000, v21, vcc_lo
	v_cmp_o_f32_e32 vcc_lo, v23, v23
	v_dual_mul_f32 v20, v21, v20 :: v_dual_and_b32 v27, 0xffff0000, v27
	v_cndmask_b32_e32 v23, 0x7fc00000, v26, vcc_lo
	v_cmp_o_f32_e32 vcc_lo, v5, v5
	s_delay_alu instid0(VALU_DEP_3) | instskip(SKIP_1) | instid1(VALU_DEP_4)
	v_cndmask_b32_e32 v5, 0x7fc00000, v27, vcc_lo
	v_cmp_o_f32_e32 vcc_lo, v4, v4
	v_dual_mul_f32 v21, v23, v24 :: v_dual_cndmask_b32 v4, 0x7fc00000, v25
	s_delay_alu instid0(VALU_DEP_1) | instskip(SKIP_1) | instid1(VALU_DEP_3)
	v_bfe_u32 v23, v21, 16, 1
	v_cmp_o_f32_e32 vcc_lo, v20, v20
	v_mul_f32_e32 v4, v4, v19
	s_delay_alu instid0(VALU_DEP_3) | instskip(NEXT) | instid1(VALU_DEP_2)
	v_add3_u32 v23, v21, v23, 0x7fff
	v_bfe_u32 v24, v4, 16, 1
	s_delay_alu instid0(VALU_DEP_2) | instskip(NEXT) | instid1(VALU_DEP_2)
	v_and_b32_e32 v23, 0xffff0000, v23
	v_add3_u32 v24, v4, v24, 0x7fff
	v_mul_f32_e32 v5, v5, v22
	v_bfe_u32 v22, v20, 16, 1
	s_delay_alu instid0(VALU_DEP_1) | instskip(NEXT) | instid1(VALU_DEP_1)
	v_add3_u32 v22, v20, v22, 0x7fff
	v_and_b32_e32 v22, 0xffff0000, v22
	s_delay_alu instid0(VALU_DEP_1) | instskip(SKIP_3) | instid1(VALU_DEP_2)
	v_cndmask_b32_e64 v20, 0x7fc00000, |v22|, vcc_lo
	v_and_b32_e32 v22, 0xffff0000, v24
	v_bfe_u32 v19, v5, 16, 1
	v_cmp_o_f32_e32 vcc_lo, v21, v21
	v_add3_u32 v19, v5, v19, 0x7fff
	v_cndmask_b32_e64 v21, 0x7fc00000, |v23|, vcc_lo
	v_cmp_o_f32_e32 vcc_lo, v5, v5
	s_delay_alu instid0(VALU_DEP_3) | instskip(NEXT) | instid1(VALU_DEP_3)
	v_and_b32_e32 v19, 0xffff0000, v19
	v_max3_f32 v18, v18, v20, v21
	s_delay_alu instid0(VALU_DEP_2) | instskip(SKIP_2) | instid1(VALU_DEP_1)
	v_cndmask_b32_e64 v5, 0x7fc00000, |v19|, vcc_lo
	v_cmp_o_f32_e32 vcc_lo, v4, v4
	v_cndmask_b32_e64 v4, 0x7fc00000, |v22|, vcc_lo
	v_max3_f32 v18, v18, v4, v5
	v_cmpx_gt_u32_e64 s23, v1
	s_xor_b32 s36, exec_lo, s36
	s_cbranch_execz .LBB12_56
; %bb.62:                               ;   in Loop: Header=BB12_59 Depth=1
	v_lshlrev_b64 v[4:5], 3, v[1:2]
	s_delay_alu instid0(VALU_DEP_1) | instskip(NEXT) | instid1(VALU_DEP_2)
	v_add_co_u32 v19, vcc_lo, s9, v4
	v_add_co_ci_u32_e32 v20, vcc_lo, s16, v5, vcc_lo
	v_add_co_u32 v21, vcc_lo, s18, v4
	v_add_co_ci_u32_e32 v22, vcc_lo, s19, v5, vcc_lo
	;; [unrolled: 2-line block ×3, first 2 shown]
	global_load_b64 v[19:20], v[19:20], off
	global_load_b64 v[21:22], v[21:22], off
	;; [unrolled: 1-line block ×3, first 2 shown]
	s_waitcnt vmcnt(0)
	v_lshlrev_b32_e32 v25, 16, v4
	v_and_b32_e32 v26, 0xffff0000, v4
	v_lshlrev_b32_e32 v24, 16, v19
	v_and_b32_e32 v1, 0xffff0000, v19
	v_alignbit_b32 v19, v20, v19, 16
	v_alignbit_b32 v4, v5, v4, 16
	s_delay_alu instid0(VALU_DEP_3) | instskip(SKIP_1) | instid1(VALU_DEP_4)
	v_dual_add_f32 v24, v24, v25 :: v_dual_add_f32 v1, v1, v26
	v_and_b32_e32 v20, 0xffff0000, v20
	v_and_b32_e32 v19, 0xffff0000, v19
	s_delay_alu instid0(VALU_DEP_4) | instskip(SKIP_3) | instid1(VALU_DEP_3)
	v_and_b32_e32 v4, 0xffff0000, v4
	v_and_b32_e32 v5, 0xffff0000, v5
	v_mul_f32_e32 v1, v7, v1
	v_dual_mul_f32 v24, v7, v24 :: v_dual_and_b32 v23, 0xffff0000, v21
	v_dual_add_f32 v4, v19, v4 :: v_dual_add_f32 v5, v20, v5
	v_alignbit_b32 v19, v22, v21, 16
	s_delay_alu instid0(VALU_DEP_4) | instskip(NEXT) | instid1(VALU_DEP_4)
	v_bfe_u32 v25, v1, 16, 1
	v_cmp_o_f32_e32 vcc_lo, v24, v24
	s_delay_alu instid0(VALU_DEP_4) | instskip(SKIP_1) | instid1(VALU_DEP_4)
	v_mul_f32_e32 v4, v7, v4
	v_mul_f32_e32 v5, v7, v5
	v_add3_u32 v25, v1, v25, 0x7fff
	s_delay_alu instid0(VALU_DEP_3) | instskip(NEXT) | instid1(VALU_DEP_3)
	v_bfe_u32 v27, v4, 16, 1
	v_bfe_u32 v26, v5, 16, 1
	s_delay_alu instid0(VALU_DEP_3) | instskip(NEXT) | instid1(VALU_DEP_3)
	v_and_b32_e32 v25, 0xffff0000, v25
	v_add3_u32 v27, v4, v27, 0x7fff
	s_delay_alu instid0(VALU_DEP_3) | instskip(NEXT) | instid1(VALU_DEP_1)
	v_add3_u32 v26, v5, v26, 0x7fff
	v_and_b32_e32 v26, 0xffff0000, v26
	v_lshlrev_b32_e32 v20, 16, v21
	v_bfe_u32 v21, v24, 16, 1
	s_delay_alu instid0(VALU_DEP_1) | instskip(NEXT) | instid1(VALU_DEP_1)
	v_add3_u32 v21, v24, v21, 0x7fff
	v_and_b32_e32 v21, 0xffff0000, v21
	s_delay_alu instid0(VALU_DEP_1) | instskip(SKIP_3) | instid1(VALU_DEP_2)
	v_cndmask_b32_e32 v21, 0x7fc00000, v21, vcc_lo
	v_cmp_o_f32_e32 vcc_lo, v1, v1
	v_cndmask_b32_e32 v1, 0x7fc00000, v25, vcc_lo
	v_cmp_o_f32_e32 vcc_lo, v5, v5
	v_dual_mul_f32 v1, v1, v23 :: v_dual_and_b32 v22, 0xffff0000, v22
	v_cndmask_b32_e32 v5, 0x7fc00000, v26, vcc_lo
	v_dual_mul_f32 v20, v21, v20 :: v_dual_and_b32 v19, 0xffff0000, v19
	v_and_b32_e32 v24, 0xffff0000, v27
	v_cmp_o_f32_e32 vcc_lo, v4, v4
	s_delay_alu instid0(VALU_DEP_4) | instskip(SKIP_4) | instid1(VALU_DEP_4)
	v_mul_f32_e32 v5, v5, v22
	v_bfe_u32 v22, v1, 16, 1
	v_bfe_u32 v21, v20, 16, 1
	v_cndmask_b32_e32 v4, 0x7fc00000, v24, vcc_lo
	v_cmp_o_f32_e32 vcc_lo, v20, v20
	v_add3_u32 v22, v1, v22, 0x7fff
	s_delay_alu instid0(VALU_DEP_3) | instskip(SKIP_2) | instid1(VALU_DEP_4)
	v_mul_f32_e32 v4, v4, v19
	v_add3_u32 v19, v20, v21, 0x7fff
	v_bfe_u32 v21, v5, 16, 1
	v_and_b32_e32 v22, 0xffff0000, v22
	s_delay_alu instid0(VALU_DEP_4) | instskip(NEXT) | instid1(VALU_DEP_4)
	v_bfe_u32 v23, v4, 16, 1
	v_and_b32_e32 v19, 0xffff0000, v19
	s_delay_alu instid0(VALU_DEP_4) | instskip(NEXT) | instid1(VALU_DEP_3)
	v_add3_u32 v21, v5, v21, 0x7fff
	v_add3_u32 v23, v4, v23, 0x7fff
	s_delay_alu instid0(VALU_DEP_3)
	v_cndmask_b32_e64 v19, 0x7fc00000, |v19|, vcc_lo
	v_cmp_o_f32_e32 vcc_lo, v1, v1
	v_add3_u32 v1, s31, s28, v3
	v_and_b32_e32 v3, 0xffff0000, v21
	v_cndmask_b32_e64 v20, 0x7fc00000, |v22|, vcc_lo
	v_and_b32_e32 v22, 0xffff0000, v23
	v_cmp_o_f32_e32 vcc_lo, v4, v4
	s_delay_alu instid0(VALU_DEP_3) | instskip(NEXT) | instid1(VALU_DEP_3)
	v_max3_f32 v18, v18, v19, v20
	v_cndmask_b32_e64 v4, 0x7fc00000, |v22|, vcc_lo
	v_cmp_o_f32_e32 vcc_lo, v5, v5
	v_cndmask_b32_e64 v3, 0x7fc00000, |v3|, vcc_lo
	v_cmp_le_u32_e32 vcc_lo, s23, v1
	s_delay_alu instid0(VALU_DEP_2)
	v_max3_f32 v18, v18, v4, v3
	s_or_not1_b32 s37, vcc_lo, exec_lo
	s_branch .LBB12_56
.LBB12_63:
	s_or_b32 exec_lo, exec_lo, s29
.LBB12_64:
	s_delay_alu instid0(SALU_CYCLE_1) | instskip(SKIP_4) | instid1(VALU_DEP_1)
	s_or_b32 exec_lo, exec_lo, s20
	ds_bpermute_b32 v1, v8, v18
	s_waitcnt lgkmcnt(0)
	v_cmp_lt_f32_e32 vcc_lo, v18, v1
	v_cndmask_b32_e32 v1, v18, v1, vcc_lo
	v_cndmask_b32_e64 v1, v18, v1, s0
	s_or_b32 s0, s0, s1
	s_delay_alu instid0(SALU_CYCLE_1) | instskip(NEXT) | instid1(SALU_CYCLE_1)
	s_or_b32 s0, s3, s0
	s_or_b32 s0, s5, s0
	ds_bpermute_b32 v2, v10, v1
	s_waitcnt lgkmcnt(0)
	v_cmp_lt_f32_e32 vcc_lo, v1, v2
	v_cndmask_b32_e32 v2, v1, v2, vcc_lo
	s_delay_alu instid0(VALU_DEP_1) | instskip(SKIP_4) | instid1(VALU_DEP_1)
	v_cndmask_b32_e64 v1, v1, v2, s1
	ds_bpermute_b32 v2, v11, v1
	s_waitcnt lgkmcnt(0)
	v_cmp_lt_f32_e32 vcc_lo, v1, v2
	v_cndmask_b32_e32 v2, v1, v2, vcc_lo
	v_cndmask_b32_e64 v1, v1, v2, s3
	ds_bpermute_b32 v2, v13, v1
	s_waitcnt lgkmcnt(0)
	v_cmp_lt_f32_e32 vcc_lo, v1, v2
	v_cndmask_b32_e32 v2, v1, v2, vcc_lo
	s_delay_alu instid0(VALU_DEP_1)
	v_cndmask_b32_e64 v1, v1, v2, s5
	ds_bpermute_b32 v2, v15, v1
	s_waitcnt lgkmcnt(0)
	v_cmp_lt_f32_e32 vcc_lo, v1, v2
	s_and_b32 vcc_lo, s8, vcc_lo
	v_cndmask_b32_e32 v1, v1, v2, vcc_lo
	s_or_b32 vcc_lo, s8, s0
	s_delay_alu instid0(VALU_DEP_1)
	v_cndmask_b32_e32 v1, v18, v1, vcc_lo
	s_and_saveexec_b32 s0, s6
	s_cbranch_execz .LBB12_66
; %bb.65:
	v_lshrrev_b32_e32 v2, 3, v0
	s_delay_alu instid0(VALU_DEP_1)
	v_and_b32_e32 v2, 0x7c, v2
	ds_store_b32 v2, v1 offset:128
.LBB12_66:
	s_or_b32 exec_lo, exec_lo, s0
	s_waitcnt lgkmcnt(0)
	s_barrier
	buffer_gl0_inv
	s_and_saveexec_b32 s8, s7
	s_cbranch_execz .LBB12_68
; %bb.67:
	v_lshlrev_b32_e32 v1, 2, v6
	s_add_i32 s0, s28, 31
	s_delay_alu instid0(SALU_CYCLE_1)
	s_lshr_b32 s5, s0, 5
	ds_load_b32 v1, v1 offset:128
	s_waitcnt lgkmcnt(0)
	ds_bpermute_b32 v2, v8, v1
	s_waitcnt lgkmcnt(0)
	v_cmp_lt_f32_e32 vcc_lo, v1, v2
	v_cndmask_b32_e32 v2, v1, v2, vcc_lo
	v_cmp_gt_u32_e32 vcc_lo, s5, v9
	s_delay_alu instid0(VALU_DEP_2) | instskip(SKIP_3) | instid1(VALU_DEP_1)
	v_cndmask_b32_e32 v2, v1, v2, vcc_lo
	ds_bpermute_b32 v3, v10, v2
	s_waitcnt lgkmcnt(0)
	v_cmp_lt_f32_e64 s0, v2, v3
	v_cndmask_b32_e64 v3, v2, v3, s0
	v_cmp_gt_u32_e64 s0, s5, v12
	s_delay_alu instid0(VALU_DEP_1) | instskip(SKIP_4) | instid1(VALU_DEP_1)
	v_cndmask_b32_e64 v2, v2, v3, s0
	s_or_b32 s0, vcc_lo, s0
	ds_bpermute_b32 v3, v11, v2
	s_waitcnt lgkmcnt(0)
	v_cmp_lt_f32_e64 s1, v2, v3
	v_cndmask_b32_e64 v3, v2, v3, s1
	v_cmp_gt_u32_e64 s1, s5, v14
	s_delay_alu instid0(VALU_DEP_1) | instskip(SKIP_4) | instid1(VALU_DEP_1)
	v_cndmask_b32_e64 v2, v2, v3, s1
	s_or_b32 s0, s1, s0
	ds_bpermute_b32 v3, v13, v2
	s_waitcnt lgkmcnt(0)
	v_cmp_lt_f32_e64 s3, v2, v3
	v_cndmask_b32_e64 v3, v2, v3, s3
	v_cmp_gt_u32_e64 s3, s5, v16
	v_cmp_gt_u32_e64 s5, s5, v17
	s_delay_alu instid0(VALU_DEP_2) | instskip(SKIP_4) | instid1(VALU_DEP_1)
	v_cndmask_b32_e64 v2, v2, v3, s3
	s_or_b32 s0, s3, s0
	ds_bpermute_b32 v3, v15, v2
	s_waitcnt lgkmcnt(0)
	v_cmp_lt_f32_e64 s6, v2, v3
	s_and_b32 vcc_lo, s5, s6
	v_cndmask_b32_e32 v2, v2, v3, vcc_lo
	s_or_b32 vcc_lo, s5, s0
	s_delay_alu instid0(VALU_DEP_1)
	v_cndmask_b32_e32 v1, v1, v2, vcc_lo
.LBB12_68:
	s_or_b32 exec_lo, exec_lo, s8
	s_and_saveexec_b32 s0, s4
	s_cbranch_execz .LBB12_72
; %bb.69:
	s_cmp_eq_u64 s[26:27], 0
	s_cbranch_scc1 .LBB12_71
; %bb.70:
	s_load_b32 s1, s[26:27], 0x0
	v_max_f32_e32 v1, v1, v1
	s_waitcnt lgkmcnt(0)
	v_max_f32_e64 v2, s1, s1
	s_delay_alu instid0(VALU_DEP_1)
	v_min_f32_e32 v1, v1, v2
.LBB12_71:
	s_delay_alu instid0(VALU_DEP_1) | instskip(SKIP_2) | instid1(VALU_DEP_2)
	v_div_scale_f32 v2, null, 0x43e00000, 0x43e00000, v1
	v_div_scale_f32 v5, vcc_lo, v1, 0x43e00000, v1
	s_lshl_b64 s[4:5], s[24:25], 2
	v_rcp_f32_e32 v3, v2
	s_add_u32 s4, s14, s4
	s_addc_u32 s5, s15, s5
	s_waitcnt_depctr 0xfff
	v_fma_f32 v4, -v2, v3, 1.0
	s_delay_alu instid0(VALU_DEP_1) | instskip(NEXT) | instid1(VALU_DEP_1)
	v_fmac_f32_e32 v3, v4, v3
	v_mul_f32_e32 v4, v5, v3
	s_delay_alu instid0(VALU_DEP_1) | instskip(NEXT) | instid1(VALU_DEP_1)
	v_fma_f32 v6, -v2, v4, v5
	v_fmac_f32_e32 v4, v6, v3
	s_delay_alu instid0(VALU_DEP_1) | instskip(NEXT) | instid1(VALU_DEP_1)
	v_fma_f32 v2, -v2, v4, v5
	v_div_fmas_f32 v2, v2, v3, v4
	s_delay_alu instid0(VALU_DEP_1) | instskip(NEXT) | instid1(VALU_DEP_1)
	v_div_fixup_f32 v1, v2, 0x43e00000, v1
	v_dual_mov_b32 v2, 0 :: v_dual_max_f32 v1, 0x36924925, v1
	ds_store_b32 v2, v1 offset:516
	global_store_b32 v2, v1, s[4:5]
.LBB12_72:
	s_or_b32 exec_lo, exec_lo, s0
	s_waitcnt lgkmcnt(0)
	s_waitcnt_vscnt null, 0x0
	s_barrier
	buffer_gl0_inv
	s_and_saveexec_b32 s0, s2
	s_cbranch_execz .LBB12_177
; %bb.73:
	v_mov_b32_e32 v1, 0
	s_add_u32 s0, s12, s10
	s_addc_u32 s1, s13, s11
	s_mul_i32 s2, s28, 3
	s_lshl_b32 s3, s28, 1
	ds_load_b32 v8, v1 offset:516
	s_mov_b32 s4, 0
	s_mov_b32 s5, 0x43e00000
	s_add_i32 s6, s28, s28
	s_branch .LBB12_79
.LBB12_74:                              ;   in Loop: Header=BB12_79 Depth=1
	s_or_b32 exec_lo, exec_lo, s12
.LBB12_75:                              ;   in Loop: Header=BB12_79 Depth=1
	s_delay_alu instid0(SALU_CYCLE_1)
	s_or_b32 exec_lo, exec_lo, s11
	v_lshrrev_b32_e32 v10, 24, v13
	v_lshrrev_b32_e32 v11, 24, v11
	v_and_b32_e32 v13, 0x80000000, v4
	v_lshrrev_b32_e32 v6, 24, v6
	v_and_b32_e32 v9, 0xff, v9
	v_and_b32_e32 v10, 0x80, v10
	;; [unrolled: 1-line block ×3, first 2 shown]
	s_delay_alu instid0(VALU_DEP_3) | instskip(NEXT) | instid1(VALU_DEP_3)
	v_and_or_b32 v6, 0x80, v6, v9
	v_and_or_b32 v10, 0xff, v12, v10
	v_lshlrev_b32_e32 v12, 24, v3
	v_lshlrev_b64 v[3:4], 2, v[0:1]
	v_and_or_b32 v5, 0xff, v5, v11
	v_add3_u32 v0, s6, s28, v2
	v_lshlrev_b32_e32 v10, 16, v10
	s_delay_alu instid0(VALU_DEP_3) | instskip(SKIP_1) | instid1(VALU_DEP_3)
	v_lshlrev_b32_e32 v5, 8, v5
	v_add_co_u32 v2, vcc_lo, s0, v3
	v_or3_b32 v9, v13, v12, v10
	v_add_co_ci_u32_e32 v3, vcc_lo, s1, v4, vcc_lo
	v_cmp_le_u32_e32 vcc_lo, s23, v0
	s_delay_alu instid0(VALU_DEP_3)
	v_or3_b32 v4, v9, v5, v6
	s_or_not1_b32 s11, vcc_lo, exec_lo
	global_store_b32 v[2:3], v4, off
.LBB12_76:                              ;   in Loop: Header=BB12_79 Depth=1
	s_or_b32 exec_lo, exec_lo, s10
	s_delay_alu instid0(SALU_CYCLE_1)
	s_or_not1_b32 s10, s11, exec_lo
.LBB12_77:                              ;   in Loop: Header=BB12_79 Depth=1
	s_or_b32 exec_lo, exec_lo, s8
	s_delay_alu instid0(SALU_CYCLE_1)
	s_or_not1_b32 s8, s10, exec_lo
.LBB12_78:                              ;   in Loop: Header=BB12_79 Depth=1
	s_or_b32 exec_lo, exec_lo, s7
	s_delay_alu instid0(SALU_CYCLE_1) | instskip(NEXT) | instid1(SALU_CYCLE_1)
	s_and_b32 s7, exec_lo, s8
	s_or_b32 s4, s7, s4
	s_delay_alu instid0(SALU_CYCLE_1)
	s_and_not1_b32 exec_lo, exec_lo, s4
	s_cbranch_execz .LBB12_177
.LBB12_79:                              ; =>This Inner Loop Header: Depth=1
	v_lshlrev_b64 v[2:3], 3, v[0:1]
	s_mov_b32 s7, exec_lo
	s_delay_alu instid0(VALU_DEP_1) | instskip(NEXT) | instid1(VALU_DEP_2)
	v_add_co_u32 v4, vcc_lo, s9, v2
	v_add_co_ci_u32_e32 v5, vcc_lo, s16, v3, vcc_lo
	v_add_co_u32 v13, vcc_lo, s17, v2
	v_add_co_ci_u32_e32 v14, vcc_lo, s22, v3, vcc_lo
	;; [unrolled: 2-line block ×3, first 2 shown]
	global_load_b64 v[4:5], v[4:5], off
	global_load_b64 v[9:10], v[13:14], off
	;; [unrolled: 1-line block ×3, first 2 shown]
	s_waitcnt vmcnt(2)
	v_and_b32_e32 v17, 0xffff0000, v4
	s_waitcnt vmcnt(1)
	v_lshlrev_b32_e32 v11, 16, v9
	v_and_b32_e32 v19, 0xffff0000, v10
	s_waitcnt vmcnt(0)
	v_lshlrev_b32_e32 v15, 16, v2
	v_lshlrev_b32_e32 v6, 16, v4
	v_alignbit_b32 v4, v5, v4, 16
	s_delay_alu instid0(VALU_DEP_2) | instskip(NEXT) | instid1(VALU_DEP_1)
	v_dual_add_f32 v6, v6, v11 :: v_dual_and_b32 v5, 0xffff0000, v5
	v_dual_mul_f32 v11, v7, v6 :: v_dual_and_b32 v4, 0xffff0000, v4
	s_delay_alu instid0(VALU_DEP_1) | instskip(NEXT) | instid1(VALU_DEP_1)
	v_bfe_u32 v12, v11, 16, 1
	v_add3_u32 v12, v11, v12, 0x7fff
	s_delay_alu instid0(VALU_DEP_1) | instskip(SKIP_1) | instid1(VALU_DEP_2)
	v_and_b32_e32 v12, 0xffff0000, v12
	v_cmp_o_f32_e32 vcc_lo, v11, v11
	v_cndmask_b32_e32 v11, 0x7fc00000, v12, vcc_lo
	s_delay_alu instid0(VALU_DEP_1) | instskip(NEXT) | instid1(VALU_DEP_1)
	v_mul_f32_e32 v11, v11, v15
	v_bfe_u32 v12, v11, 16, 1
	v_cmp_o_f32_e32 vcc_lo, v11, v11
	s_delay_alu instid0(VALU_DEP_2) | instskip(NEXT) | instid1(VALU_DEP_1)
	v_add3_u32 v12, v11, v12, 0x7fff
	v_and_b32_e32 v12, 0xffff0000, v12
	s_delay_alu instid0(VALU_DEP_1) | instskip(SKIP_1) | instid1(VALU_DEP_1)
	v_cndmask_b32_e32 v12, 0x7fc00000, v12, vcc_lo
	s_waitcnt lgkmcnt(0)
	v_div_scale_f32 v15, null, v8, v8, v12
	v_div_scale_f32 v18, vcc_lo, v12, v8, v12
	s_delay_alu instid0(VALU_DEP_2) | instskip(SKIP_2) | instid1(VALU_DEP_1)
	v_rcp_f32_e32 v16, v15
	s_waitcnt_depctr 0xfff
	v_fma_f32 v11, -v15, v16, 1.0
	v_fmac_f32_e32 v16, v11, v16
	v_alignbit_b32 v11, v10, v9, 16
	s_delay_alu instid0(VALU_DEP_2) | instskip(NEXT) | instid1(VALU_DEP_1)
	v_dual_mul_f32 v20, v18, v16 :: v_dual_and_b32 v9, 0xffff0000, v9
	v_dual_add_f32 v10, v17, v9 :: v_dual_and_b32 v11, 0xffff0000, v11
	s_delay_alu instid0(VALU_DEP_2) | instskip(SKIP_1) | instid1(VALU_DEP_3)
	v_fma_f32 v17, -v15, v20, v18
	v_add_f32_e32 v9, v5, v19
	v_bfe_u32 v5, v10, 16, 1
	s_delay_alu instid0(VALU_DEP_3) | instskip(NEXT) | instid1(VALU_DEP_3)
	v_fmac_f32_e32 v20, v17, v16
	v_bfe_u32 v17, v9, 16, 1
	s_delay_alu instid0(VALU_DEP_3) | instskip(NEXT) | instid1(VALU_DEP_3)
	v_add3_u32 v5, v10, v5, 0x7fff
	v_fma_f32 v15, -v15, v20, v18
	s_delay_alu instid0(VALU_DEP_3)
	v_add3_u32 v17, v9, v17, 0x7fff
	v_add_f32_e32 v11, v4, v11
	v_bfe_u32 v4, v6, 16, 1
	v_and_b32_e32 v5, 0xffff0000, v5
	v_div_fmas_f32 v15, v15, v16, v20
	v_and_b32_e32 v16, 0xffff0000, v17
	v_cmp_o_f32_e32 vcc_lo, v10, v10
	v_add3_u32 v4, v6, v4, 0x7fff
	v_bfe_u32 v19, v11, 16, 1
	v_div_fixup_f32 v12, v15, v8, v12
	v_cndmask_b32_e32 v15, 0x7fc00000, v5, vcc_lo
	s_delay_alu instid0(VALU_DEP_4) | instskip(SKIP_3) | instid1(VALU_DEP_4)
	v_lshrrev_b32_e32 v4, 16, v4
	v_cmp_o_f32_e32 vcc_lo, v6, v6
	v_add3_u32 v18, v11, v19, 0x7fff
	v_minmax_f32 v5, v12, s5, 0xc3e00000
	v_cndmask_b32_e32 v4, 0x7fc0, v4, vcc_lo
	v_cmp_o_f32_e32 vcc_lo, v9, v9
	s_delay_alu instid0(VALU_DEP_4) | instskip(NEXT) | instid1(VALU_DEP_4)
	v_lshrrev_b32_e32 v17, 16, v18
	v_and_b32_e32 v12, 0x7fffffff, v5
	s_delay_alu instid0(VALU_DEP_4) | instskip(SKIP_3) | instid1(VALU_DEP_4)
	v_or_b32_e32 v15, v4, v15
	v_cndmask_b32_e32 v6, 0x7fc00000, v16, vcc_lo
	v_cmp_o_f32_e32 vcc_lo, v11, v11
	v_mov_b32_e32 v4, 0x7f
	v_or3_b32 v15, v15, 0, 0
	v_cndmask_b32_e32 v16, 0x7fc0, v17, vcc_lo
	s_delay_alu instid0(VALU_DEP_1)
	v_or3_b32 v16, 0, v16, v6
	v_mov_b32_e32 v6, 0x7f
	global_store_b64 v[13:14], v[15:16], off
	v_cmpx_gt_u32_e32 0x43f00000, v12
	s_cbranch_execz .LBB12_85
; %bb.80:                               ;   in Loop: Header=BB12_79 Depth=1
	s_mov_b32 s8, exec_lo
                                        ; implicit-def: $vgpr6
	v_cmpx_lt_u32_e32 0x3c7fffff, v12
	s_xor_b32 s8, exec_lo, s8
; %bb.81:                               ;   in Loop: Header=BB12_79 Depth=1
	v_bfe_u32 v6, v5, 20, 1
	s_delay_alu instid0(VALU_DEP_1) | instskip(NEXT) | instid1(VALU_DEP_1)
	v_add3_u32 v6, v5, v6, 0x407ffff
	v_lshrrev_b32_e32 v6, 20, v6
; %bb.82:                               ;   in Loop: Header=BB12_79 Depth=1
	s_and_not1_saveexec_b32 s8, s8
; %bb.83:                               ;   in Loop: Header=BB12_79 Depth=1
	v_add_f32_e64 v6, 0x46800000, |v5|
; %bb.84:                               ;   in Loop: Header=BB12_79 Depth=1
	s_or_b32 exec_lo, exec_lo, s8
.LBB12_85:                              ;   in Loop: Header=BB12_79 Depth=1
	s_delay_alu instid0(SALU_CYCLE_1) | instskip(SKIP_3) | instid1(VALU_DEP_2)
	s_or_b32 exec_lo, exec_lo, s7
	v_mul_f32_e32 v10, v7, v10
	v_and_b32_e32 v13, 0xffff0000, v2
	s_mov_b32 s7, exec_lo
	v_bfe_u32 v12, v10, 16, 1
	v_cmp_o_f32_e32 vcc_lo, v10, v10
	s_delay_alu instid0(VALU_DEP_2) | instskip(NEXT) | instid1(VALU_DEP_1)
	v_add3_u32 v12, v10, v12, 0x7fff
	v_and_b32_e32 v12, 0xffff0000, v12
	s_delay_alu instid0(VALU_DEP_1) | instskip(NEXT) | instid1(VALU_DEP_1)
	v_cndmask_b32_e32 v10, 0x7fc00000, v12, vcc_lo
	v_mul_f32_e32 v10, v10, v13
	s_delay_alu instid0(VALU_DEP_1) | instskip(SKIP_1) | instid1(VALU_DEP_2)
	v_bfe_u32 v12, v10, 16, 1
	v_cmp_o_f32_e32 vcc_lo, v10, v10
	v_add3_u32 v12, v10, v12, 0x7fff
	s_delay_alu instid0(VALU_DEP_1) | instskip(NEXT) | instid1(VALU_DEP_1)
	v_and_b32_e32 v12, 0xffff0000, v12
	v_cndmask_b32_e32 v10, 0x7fc00000, v12, vcc_lo
	s_delay_alu instid0(VALU_DEP_1) | instskip(NEXT) | instid1(VALU_DEP_1)
	v_div_scale_f32 v12, null, v8, v8, v10
	v_rcp_f32_e32 v13, v12
	s_waitcnt_depctr 0xfff
	v_fma_f32 v14, -v12, v13, 1.0
	s_delay_alu instid0(VALU_DEP_1) | instskip(SKIP_1) | instid1(VALU_DEP_1)
	v_fmac_f32_e32 v13, v14, v13
	v_div_scale_f32 v14, vcc_lo, v10, v8, v10
	v_mul_f32_e32 v15, v14, v13
	s_delay_alu instid0(VALU_DEP_1) | instskip(NEXT) | instid1(VALU_DEP_1)
	v_fma_f32 v16, -v12, v15, v14
	v_fmac_f32_e32 v15, v16, v13
	s_delay_alu instid0(VALU_DEP_1) | instskip(NEXT) | instid1(VALU_DEP_1)
	v_fma_f32 v12, -v12, v15, v14
	v_div_fmas_f32 v12, v12, v13, v15
	s_delay_alu instid0(VALU_DEP_1) | instskip(NEXT) | instid1(VALU_DEP_1)
	v_div_fixup_f32 v10, v12, v8, v10
	v_minmax_f32 v10, v10, s5, 0xc3e00000
	s_delay_alu instid0(VALU_DEP_1) | instskip(NEXT) | instid1(VALU_DEP_1)
	v_and_b32_e32 v12, 0x7fffffff, v10
	v_cmpx_gt_u32_e32 0x43f00000, v12
	s_cbranch_execz .LBB12_91
; %bb.86:                               ;   in Loop: Header=BB12_79 Depth=1
	s_mov_b32 s8, exec_lo
                                        ; implicit-def: $vgpr4
	v_cmpx_lt_u32_e32 0x3c7fffff, v12
	s_xor_b32 s8, exec_lo, s8
; %bb.87:                               ;   in Loop: Header=BB12_79 Depth=1
	v_bfe_u32 v4, v10, 20, 1
	s_delay_alu instid0(VALU_DEP_1) | instskip(NEXT) | instid1(VALU_DEP_1)
	v_add3_u32 v4, v10, v4, 0x407ffff
	v_lshrrev_b32_e32 v4, 20, v4
; %bb.88:                               ;   in Loop: Header=BB12_79 Depth=1
	s_and_not1_saveexec_b32 s8, s8
; %bb.89:                               ;   in Loop: Header=BB12_79 Depth=1
	v_add_f32_e64 v4, 0x46800000, |v10|
; %bb.90:                               ;   in Loop: Header=BB12_79 Depth=1
	s_or_b32 exec_lo, exec_lo, s8
.LBB12_91:                              ;   in Loop: Header=BB12_79 Depth=1
	s_delay_alu instid0(SALU_CYCLE_1) | instskip(SKIP_3) | instid1(VALU_DEP_2)
	s_or_b32 exec_lo, exec_lo, s7
	v_mul_f32_e32 v11, v7, v11
	v_alignbit_b32 v2, v3, v2, 16
	s_mov_b32 s7, exec_lo
	v_bfe_u32 v12, v11, 16, 1
	s_delay_alu instid0(VALU_DEP_2) | instskip(NEXT) | instid1(VALU_DEP_2)
	v_and_b32_e32 v2, 0xffff0000, v2
	v_add3_u32 v12, v11, v12, 0x7fff
	s_delay_alu instid0(VALU_DEP_1) | instskip(SKIP_1) | instid1(VALU_DEP_2)
	v_and_b32_e32 v12, 0xffff0000, v12
	v_cmp_o_f32_e32 vcc_lo, v11, v11
	v_cndmask_b32_e32 v11, 0x7fc00000, v12, vcc_lo
	s_delay_alu instid0(VALU_DEP_1) | instskip(NEXT) | instid1(VALU_DEP_1)
	v_mul_f32_e32 v2, v11, v2
	v_bfe_u32 v11, v2, 16, 1
	s_delay_alu instid0(VALU_DEP_1) | instskip(NEXT) | instid1(VALU_DEP_1)
	v_add3_u32 v11, v2, v11, 0x7fff
	v_and_b32_e32 v11, 0xffff0000, v11
	v_cmp_o_f32_e32 vcc_lo, v2, v2
	s_delay_alu instid0(VALU_DEP_2) | instskip(NEXT) | instid1(VALU_DEP_1)
	v_cndmask_b32_e32 v2, 0x7fc00000, v11, vcc_lo
	v_div_scale_f32 v11, null, v8, v8, v2
	v_div_scale_f32 v14, vcc_lo, v2, v8, v2
	s_delay_alu instid0(VALU_DEP_2) | instskip(SKIP_2) | instid1(VALU_DEP_1)
	v_rcp_f32_e32 v12, v11
	s_waitcnt_depctr 0xfff
	v_fma_f32 v13, -v11, v12, 1.0
	v_fmac_f32_e32 v12, v13, v12
	s_delay_alu instid0(VALU_DEP_1) | instskip(NEXT) | instid1(VALU_DEP_1)
	v_mul_f32_e32 v13, v14, v12
	v_fma_f32 v15, -v11, v13, v14
	s_delay_alu instid0(VALU_DEP_1) | instskip(NEXT) | instid1(VALU_DEP_1)
	v_fmac_f32_e32 v13, v15, v12
	v_fma_f32 v11, -v11, v13, v14
	s_delay_alu instid0(VALU_DEP_1) | instskip(NEXT) | instid1(VALU_DEP_1)
	v_div_fmas_f32 v11, v11, v12, v13
	v_div_fixup_f32 v2, v11, v8, v2
	v_mov_b32_e32 v11, 0x7f
	s_delay_alu instid0(VALU_DEP_2) | instskip(SKIP_1) | instid1(VALU_DEP_2)
	v_minmax_f32 v12, v2, s5, 0xc3e00000
	v_mov_b32_e32 v2, 0x7f
	v_and_b32_e32 v13, 0x7fffffff, v12
	s_delay_alu instid0(VALU_DEP_1)
	v_cmpx_gt_u32_e32 0x43f00000, v13
	s_cbranch_execz .LBB12_97
; %bb.92:                               ;   in Loop: Header=BB12_79 Depth=1
	s_mov_b32 s8, exec_lo
                                        ; implicit-def: $vgpr11
	v_cmpx_lt_u32_e32 0x3c7fffff, v13
	s_xor_b32 s8, exec_lo, s8
; %bb.93:                               ;   in Loop: Header=BB12_79 Depth=1
	v_bfe_u32 v11, v12, 20, 1
	s_delay_alu instid0(VALU_DEP_1) | instskip(NEXT) | instid1(VALU_DEP_1)
	v_add3_u32 v11, v12, v11, 0x407ffff
	v_lshrrev_b32_e32 v11, 20, v11
; %bb.94:                               ;   in Loop: Header=BB12_79 Depth=1
	s_and_not1_saveexec_b32 s8, s8
; %bb.95:                               ;   in Loop: Header=BB12_79 Depth=1
	v_add_f32_e64 v11, 0x46800000, |v12|
; %bb.96:                               ;   in Loop: Header=BB12_79 Depth=1
	s_or_b32 exec_lo, exec_lo, s8
.LBB12_97:                              ;   in Loop: Header=BB12_79 Depth=1
	s_delay_alu instid0(SALU_CYCLE_1) | instskip(SKIP_3) | instid1(VALU_DEP_2)
	s_or_b32 exec_lo, exec_lo, s7
	v_mul_f32_e32 v9, v7, v9
	v_and_b32_e32 v3, 0xffff0000, v3
	s_mov_b32 s7, exec_lo
	v_bfe_u32 v13, v9, 16, 1
	v_cmp_o_f32_e32 vcc_lo, v9, v9
	s_delay_alu instid0(VALU_DEP_2) | instskip(NEXT) | instid1(VALU_DEP_1)
	v_add3_u32 v13, v9, v13, 0x7fff
	v_and_b32_e32 v13, 0xffff0000, v13
	s_delay_alu instid0(VALU_DEP_1) | instskip(NEXT) | instid1(VALU_DEP_1)
	v_cndmask_b32_e32 v9, 0x7fc00000, v13, vcc_lo
	v_mul_f32_e32 v3, v9, v3
	s_delay_alu instid0(VALU_DEP_1) | instskip(SKIP_1) | instid1(VALU_DEP_2)
	v_bfe_u32 v9, v3, 16, 1
	v_cmp_o_f32_e32 vcc_lo, v3, v3
	v_add3_u32 v9, v3, v9, 0x7fff
	s_delay_alu instid0(VALU_DEP_1) | instskip(NEXT) | instid1(VALU_DEP_1)
	v_and_b32_e32 v9, 0xffff0000, v9
	v_cndmask_b32_e32 v3, 0x7fc00000, v9, vcc_lo
	s_delay_alu instid0(VALU_DEP_1) | instskip(NEXT) | instid1(VALU_DEP_1)
	v_div_scale_f32 v9, null, v8, v8, v3
	v_rcp_f32_e32 v13, v9
	s_waitcnt_depctr 0xfff
	v_fma_f32 v14, -v9, v13, 1.0
	s_delay_alu instid0(VALU_DEP_1) | instskip(SKIP_1) | instid1(VALU_DEP_1)
	v_fmac_f32_e32 v13, v14, v13
	v_div_scale_f32 v14, vcc_lo, v3, v8, v3
	v_mul_f32_e32 v15, v14, v13
	s_delay_alu instid0(VALU_DEP_1) | instskip(NEXT) | instid1(VALU_DEP_1)
	v_fma_f32 v16, -v9, v15, v14
	v_fmac_f32_e32 v15, v16, v13
	s_delay_alu instid0(VALU_DEP_1) | instskip(NEXT) | instid1(VALU_DEP_1)
	v_fma_f32 v9, -v9, v15, v14
	v_div_fmas_f32 v9, v9, v13, v15
	s_delay_alu instid0(VALU_DEP_1) | instskip(NEXT) | instid1(VALU_DEP_1)
	v_div_fixup_f32 v3, v9, v8, v3
	v_minmax_f32 v3, v3, s5, 0xc3e00000
	s_delay_alu instid0(VALU_DEP_1) | instskip(NEXT) | instid1(VALU_DEP_1)
	v_and_b32_e32 v9, 0x7fffffff, v3
	v_cmpx_gt_u32_e32 0x43f00000, v9
	s_cbranch_execz .LBB12_103
; %bb.98:                               ;   in Loop: Header=BB12_79 Depth=1
	s_mov_b32 s8, exec_lo
                                        ; implicit-def: $vgpr2
	v_cmpx_lt_u32_e32 0x3c7fffff, v9
	s_xor_b32 s8, exec_lo, s8
; %bb.99:                               ;   in Loop: Header=BB12_79 Depth=1
	v_bfe_u32 v2, v3, 20, 1
	s_delay_alu instid0(VALU_DEP_1) | instskip(NEXT) | instid1(VALU_DEP_1)
	v_add3_u32 v2, v3, v2, 0x407ffff
	v_lshrrev_b32_e32 v2, 20, v2
; %bb.100:                              ;   in Loop: Header=BB12_79 Depth=1
	s_and_not1_saveexec_b32 s8, s8
; %bb.101:                              ;   in Loop: Header=BB12_79 Depth=1
	v_add_f32_e64 v2, 0x46800000, |v3|
; %bb.102:                              ;   in Loop: Header=BB12_79 Depth=1
	s_or_b32 exec_lo, exec_lo, s8
.LBB12_103:                             ;   in Loop: Header=BB12_79 Depth=1
	s_delay_alu instid0(SALU_CYCLE_1)
	s_or_b32 exec_lo, exec_lo, s7
	v_lshrrev_b32_e32 v9, 24, v12
	v_lshrrev_b32_e32 v10, 24, v10
	;; [unrolled: 1-line block ×3, first 2 shown]
	v_lshlrev_b32_e32 v2, 24, v2
	v_and_b32_e32 v6, 0xff, v6
	v_and_b32_e32 v9, 0x80, v9
	;; [unrolled: 1-line block ×3, first 2 shown]
	s_mov_b32 s8, -1
	s_mov_b32 s7, exec_lo
	v_and_or_b32 v5, 0x80, v5, v6
	v_and_or_b32 v9, 0xff, v11, v9
	v_and_b32_e32 v11, 0x80000000, v3
	v_and_or_b32 v10, 0xff, v4, v10
	v_lshlrev_b64 v[3:4], 2, v[0:1]
	s_delay_alu instid0(VALU_DEP_4) | instskip(NEXT) | instid1(VALU_DEP_3)
	v_lshlrev_b32_e32 v9, 16, v9
	v_lshlrev_b32_e32 v6, 8, v10
	s_delay_alu instid0(VALU_DEP_3) | instskip(NEXT) | instid1(VALU_DEP_3)
	v_add_co_u32 v3, vcc_lo, s0, v3
	v_or3_b32 v9, v11, v2, v9
	v_add_nc_u32_e32 v2, s28, v0
	v_add_co_ci_u32_e32 v4, vcc_lo, s1, v4, vcc_lo
	s_delay_alu instid0(VALU_DEP_3)
	v_or3_b32 v5, v9, v6, v5
	global_store_b32 v[3:4], v5, off
	v_cmpx_gt_u32_e64 s23, v2
	s_cbranch_execz .LBB12_78
; %bb.104:                              ;   in Loop: Header=BB12_79 Depth=1
	v_mov_b32_e32 v3, v1
	s_mov_b32 s8, exec_lo
	s_delay_alu instid0(VALU_DEP_1) | instskip(NEXT) | instid1(VALU_DEP_1)
	v_lshlrev_b64 v[4:5], 3, v[2:3]
	v_add_co_u32 v9, vcc_lo, s9, v4
	s_delay_alu instid0(VALU_DEP_2)
	v_add_co_ci_u32_e32 v10, vcc_lo, s16, v5, vcc_lo
	v_add_co_u32 v15, vcc_lo, s17, v4
	v_add_co_ci_u32_e32 v16, vcc_lo, s22, v5, vcc_lo
	v_add_co_u32 v4, vcc_lo, s18, v4
	global_load_b64 v[9:10], v[9:10], off
	global_load_b64 v[11:12], v[15:16], off
	v_add_co_ci_u32_e32 v5, vcc_lo, s19, v5, vcc_lo
	global_load_b64 v[4:5], v[4:5], off
	s_waitcnt vmcnt(2)
	v_lshlrev_b32_e32 v6, 16, v9
	s_waitcnt vmcnt(1)
	v_lshlrev_b32_e32 v13, 16, v11
	v_and_b32_e32 v19, 0xffff0000, v9
	v_alignbit_b32 v9, v10, v9, 16
	s_delay_alu instid0(VALU_DEP_3) | instskip(SKIP_2) | instid1(VALU_DEP_3)
	v_dual_add_f32 v6, v6, v13 :: v_dual_and_b32 v21, 0xffff0000, v12
	s_waitcnt vmcnt(0)
	v_lshlrev_b32_e32 v17, 16, v4
	v_and_b32_e32 v9, 0xffff0000, v9
	v_and_b32_e32 v10, 0xffff0000, v10
	v_mul_f32_e32 v13, v7, v6
	s_delay_alu instid0(VALU_DEP_1) | instskip(SKIP_1) | instid1(VALU_DEP_2)
	v_bfe_u32 v14, v13, 16, 1
	v_cmp_o_f32_e32 vcc_lo, v13, v13
	v_add3_u32 v14, v13, v14, 0x7fff
	s_delay_alu instid0(VALU_DEP_1) | instskip(NEXT) | instid1(VALU_DEP_1)
	v_and_b32_e32 v14, 0xffff0000, v14
	v_cndmask_b32_e32 v13, 0x7fc00000, v14, vcc_lo
	s_delay_alu instid0(VALU_DEP_1) | instskip(NEXT) | instid1(VALU_DEP_1)
	v_mul_f32_e32 v13, v13, v17
	v_bfe_u32 v14, v13, 16, 1
	v_cmp_o_f32_e32 vcc_lo, v13, v13
	s_delay_alu instid0(VALU_DEP_2) | instskip(NEXT) | instid1(VALU_DEP_1)
	v_add3_u32 v14, v13, v14, 0x7fff
	v_and_b32_e32 v14, 0xffff0000, v14
	s_delay_alu instid0(VALU_DEP_1) | instskip(NEXT) | instid1(VALU_DEP_1)
	v_cndmask_b32_e32 v14, 0x7fc00000, v14, vcc_lo
	v_div_scale_f32 v17, null, v8, v8, v14
	v_div_scale_f32 v20, vcc_lo, v14, v8, v14
	s_delay_alu instid0(VALU_DEP_2) | instskip(SKIP_2) | instid1(VALU_DEP_1)
	v_rcp_f32_e32 v18, v17
	s_waitcnt_depctr 0xfff
	v_fma_f32 v13, -v17, v18, 1.0
	v_fmac_f32_e32 v18, v13, v18
	v_alignbit_b32 v13, v12, v11, 16
	s_delay_alu instid0(VALU_DEP_2) | instskip(NEXT) | instid1(VALU_DEP_1)
	v_dual_mul_f32 v22, v20, v18 :: v_dual_and_b32 v11, 0xffff0000, v11
	v_dual_add_f32 v12, v19, v11 :: v_dual_and_b32 v13, 0xffff0000, v13
	s_delay_alu instid0(VALU_DEP_2) | instskip(NEXT) | instid1(VALU_DEP_2)
	v_fma_f32 v19, -v17, v22, v20
	v_add_f32_e32 v13, v9, v13
	v_bfe_u32 v9, v6, 16, 1
	s_delay_alu instid0(VALU_DEP_3) | instskip(SKIP_1) | instid1(VALU_DEP_3)
	v_dual_fmac_f32 v22, v19, v18 :: v_dual_add_f32 v11, v10, v21
	v_bfe_u32 v10, v12, 16, 1
	v_add3_u32 v9, v6, v9, 0x7fff
	v_bfe_u32 v21, v13, 16, 1
	s_delay_alu instid0(VALU_DEP_4)
	v_fma_f32 v17, -v17, v22, v20
	v_bfe_u32 v19, v11, 16, 1
	v_add3_u32 v10, v12, v10, 0x7fff
	v_lshrrev_b32_e32 v9, 16, v9
	v_add3_u32 v20, v13, v21, 0x7fff
	v_div_fmas_f32 v17, v17, v18, v22
	v_cmp_o_f32_e32 vcc_lo, v12, v12
	v_and_b32_e32 v10, 0xffff0000, v10
	v_add3_u32 v19, v11, v19, 0x7fff
	s_delay_alu instid0(VALU_DEP_4) | instskip(NEXT) | instid1(VALU_DEP_3)
	v_div_fixup_f32 v14, v17, v8, v14
	v_cndmask_b32_e32 v10, 0x7fc00000, v10, vcc_lo
	v_cmp_o_f32_e32 vcc_lo, v6, v6
	s_delay_alu instid0(VALU_DEP_4) | instskip(SKIP_4) | instid1(VALU_DEP_3)
	v_and_b32_e32 v18, 0xffff0000, v19
	v_lshrrev_b32_e32 v19, 16, v20
	v_cndmask_b32_e32 v6, 0x7fc0, v9, vcc_lo
	v_cmp_o_f32_e32 vcc_lo, v11, v11
	v_minmax_f32 v9, v14, s5, 0xc3e00000
	v_or_b32_e32 v10, v6, v10
	v_cndmask_b32_e32 v17, 0x7fc00000, v18, vcc_lo
	v_cmp_o_f32_e32 vcc_lo, v13, v13
	s_delay_alu instid0(VALU_DEP_4) | instskip(SKIP_2) | instid1(VALU_DEP_1)
	v_and_b32_e32 v14, 0x7fffffff, v9
	v_mov_b32_e32 v6, 0x7f
	v_cndmask_b32_e32 v18, 0x7fc0, v19, vcc_lo
	v_or3_b32 v18, 0, v18, v17
	v_or3_b32 v17, v10, 0, 0
	v_mov_b32_e32 v10, 0x7f
	global_store_b64 v[15:16], v[17:18], off
	v_cmpx_gt_u32_e32 0x43f00000, v14
	s_cbranch_execz .LBB12_110
; %bb.105:                              ;   in Loop: Header=BB12_79 Depth=1
	s_mov_b32 s10, exec_lo
                                        ; implicit-def: $vgpr10
	v_cmpx_lt_u32_e32 0x3c7fffff, v14
	s_xor_b32 s10, exec_lo, s10
; %bb.106:                              ;   in Loop: Header=BB12_79 Depth=1
	v_bfe_u32 v10, v9, 20, 1
	s_delay_alu instid0(VALU_DEP_1) | instskip(NEXT) | instid1(VALU_DEP_1)
	v_add3_u32 v10, v9, v10, 0x407ffff
	v_lshrrev_b32_e32 v10, 20, v10
; %bb.107:                              ;   in Loop: Header=BB12_79 Depth=1
	s_and_not1_saveexec_b32 s10, s10
; %bb.108:                              ;   in Loop: Header=BB12_79 Depth=1
	v_add_f32_e64 v10, 0x46800000, |v9|
; %bb.109:                              ;   in Loop: Header=BB12_79 Depth=1
	s_or_b32 exec_lo, exec_lo, s10
.LBB12_110:                             ;   in Loop: Header=BB12_79 Depth=1
	s_delay_alu instid0(SALU_CYCLE_1) | instskip(SKIP_3) | instid1(VALU_DEP_2)
	s_or_b32 exec_lo, exec_lo, s8
	v_mul_f32_e32 v12, v7, v12
	v_and_b32_e32 v15, 0xffff0000, v4
	s_mov_b32 s8, exec_lo
	v_bfe_u32 v14, v12, 16, 1
	v_cmp_o_f32_e32 vcc_lo, v12, v12
	s_delay_alu instid0(VALU_DEP_2) | instskip(NEXT) | instid1(VALU_DEP_1)
	v_add3_u32 v14, v12, v14, 0x7fff
	v_and_b32_e32 v14, 0xffff0000, v14
	s_delay_alu instid0(VALU_DEP_1) | instskip(NEXT) | instid1(VALU_DEP_1)
	v_cndmask_b32_e32 v12, 0x7fc00000, v14, vcc_lo
	v_mul_f32_e32 v12, v12, v15
	s_delay_alu instid0(VALU_DEP_1) | instskip(SKIP_1) | instid1(VALU_DEP_2)
	v_bfe_u32 v14, v12, 16, 1
	v_cmp_o_f32_e32 vcc_lo, v12, v12
	v_add3_u32 v14, v12, v14, 0x7fff
	s_delay_alu instid0(VALU_DEP_1) | instskip(NEXT) | instid1(VALU_DEP_1)
	v_and_b32_e32 v14, 0xffff0000, v14
	v_cndmask_b32_e32 v12, 0x7fc00000, v14, vcc_lo
	s_delay_alu instid0(VALU_DEP_1) | instskip(NEXT) | instid1(VALU_DEP_1)
	v_div_scale_f32 v14, null, v8, v8, v12
	v_rcp_f32_e32 v15, v14
	s_waitcnt_depctr 0xfff
	v_fma_f32 v16, -v14, v15, 1.0
	s_delay_alu instid0(VALU_DEP_1) | instskip(SKIP_1) | instid1(VALU_DEP_1)
	v_fmac_f32_e32 v15, v16, v15
	v_div_scale_f32 v16, vcc_lo, v12, v8, v12
	v_mul_f32_e32 v17, v16, v15
	s_delay_alu instid0(VALU_DEP_1) | instskip(NEXT) | instid1(VALU_DEP_1)
	v_fma_f32 v18, -v14, v17, v16
	v_fmac_f32_e32 v17, v18, v15
	s_delay_alu instid0(VALU_DEP_1) | instskip(NEXT) | instid1(VALU_DEP_1)
	v_fma_f32 v14, -v14, v17, v16
	v_div_fmas_f32 v14, v14, v15, v17
	s_delay_alu instid0(VALU_DEP_1) | instskip(NEXT) | instid1(VALU_DEP_1)
	v_div_fixup_f32 v12, v14, v8, v12
	v_minmax_f32 v12, v12, s5, 0xc3e00000
	s_delay_alu instid0(VALU_DEP_1) | instskip(NEXT) | instid1(VALU_DEP_1)
	v_and_b32_e32 v14, 0x7fffffff, v12
	v_cmpx_gt_u32_e32 0x43f00000, v14
	s_cbranch_execz .LBB12_116
; %bb.111:                              ;   in Loop: Header=BB12_79 Depth=1
	s_mov_b32 s10, exec_lo
                                        ; implicit-def: $vgpr6
	v_cmpx_lt_u32_e32 0x3c7fffff, v14
	s_xor_b32 s10, exec_lo, s10
; %bb.112:                              ;   in Loop: Header=BB12_79 Depth=1
	v_bfe_u32 v6, v12, 20, 1
	s_delay_alu instid0(VALU_DEP_1) | instskip(NEXT) | instid1(VALU_DEP_1)
	v_add3_u32 v6, v12, v6, 0x407ffff
	v_lshrrev_b32_e32 v6, 20, v6
; %bb.113:                              ;   in Loop: Header=BB12_79 Depth=1
	s_and_not1_saveexec_b32 s10, s10
; %bb.114:                              ;   in Loop: Header=BB12_79 Depth=1
	v_add_f32_e64 v6, 0x46800000, |v12|
; %bb.115:                              ;   in Loop: Header=BB12_79 Depth=1
	s_or_b32 exec_lo, exec_lo, s10
.LBB12_116:                             ;   in Loop: Header=BB12_79 Depth=1
	s_delay_alu instid0(SALU_CYCLE_1) | instskip(SKIP_3) | instid1(VALU_DEP_2)
	s_or_b32 exec_lo, exec_lo, s8
	v_mul_f32_e32 v13, v7, v13
	v_alignbit_b32 v4, v5, v4, 16
	s_mov_b32 s8, exec_lo
	v_bfe_u32 v14, v13, 16, 1
	s_delay_alu instid0(VALU_DEP_2) | instskip(NEXT) | instid1(VALU_DEP_2)
	v_and_b32_e32 v4, 0xffff0000, v4
	v_add3_u32 v14, v13, v14, 0x7fff
	s_delay_alu instid0(VALU_DEP_1) | instskip(SKIP_1) | instid1(VALU_DEP_2)
	v_and_b32_e32 v14, 0xffff0000, v14
	v_cmp_o_f32_e32 vcc_lo, v13, v13
	v_cndmask_b32_e32 v13, 0x7fc00000, v14, vcc_lo
	s_delay_alu instid0(VALU_DEP_1) | instskip(NEXT) | instid1(VALU_DEP_1)
	v_mul_f32_e32 v4, v13, v4
	v_bfe_u32 v13, v4, 16, 1
	s_delay_alu instid0(VALU_DEP_1) | instskip(NEXT) | instid1(VALU_DEP_1)
	v_add3_u32 v13, v4, v13, 0x7fff
	v_and_b32_e32 v13, 0xffff0000, v13
	v_cmp_o_f32_e32 vcc_lo, v4, v4
	s_delay_alu instid0(VALU_DEP_2) | instskip(NEXT) | instid1(VALU_DEP_1)
	v_cndmask_b32_e32 v4, 0x7fc00000, v13, vcc_lo
	v_div_scale_f32 v13, null, v8, v8, v4
	v_div_scale_f32 v16, vcc_lo, v4, v8, v4
	s_delay_alu instid0(VALU_DEP_2) | instskip(SKIP_2) | instid1(VALU_DEP_1)
	v_rcp_f32_e32 v14, v13
	s_waitcnt_depctr 0xfff
	v_fma_f32 v15, -v13, v14, 1.0
	v_fmac_f32_e32 v14, v15, v14
	s_delay_alu instid0(VALU_DEP_1) | instskip(NEXT) | instid1(VALU_DEP_1)
	v_mul_f32_e32 v15, v16, v14
	v_fma_f32 v17, -v13, v15, v16
	s_delay_alu instid0(VALU_DEP_1) | instskip(NEXT) | instid1(VALU_DEP_1)
	v_fmac_f32_e32 v15, v17, v14
	v_fma_f32 v13, -v13, v15, v16
	s_delay_alu instid0(VALU_DEP_1) | instskip(NEXT) | instid1(VALU_DEP_1)
	v_div_fmas_f32 v13, v13, v14, v15
	v_div_fixup_f32 v4, v13, v8, v4
	v_mov_b32_e32 v13, 0x7f
	s_delay_alu instid0(VALU_DEP_2) | instskip(SKIP_1) | instid1(VALU_DEP_2)
	v_minmax_f32 v14, v4, s5, 0xc3e00000
	v_mov_b32_e32 v4, 0x7f
	v_and_b32_e32 v15, 0x7fffffff, v14
	s_delay_alu instid0(VALU_DEP_1)
	v_cmpx_gt_u32_e32 0x43f00000, v15
	s_cbranch_execz .LBB12_122
; %bb.117:                              ;   in Loop: Header=BB12_79 Depth=1
	s_mov_b32 s10, exec_lo
                                        ; implicit-def: $vgpr13
	v_cmpx_lt_u32_e32 0x3c7fffff, v15
	s_xor_b32 s10, exec_lo, s10
; %bb.118:                              ;   in Loop: Header=BB12_79 Depth=1
	v_bfe_u32 v13, v14, 20, 1
	s_delay_alu instid0(VALU_DEP_1) | instskip(NEXT) | instid1(VALU_DEP_1)
	v_add3_u32 v13, v14, v13, 0x407ffff
	v_lshrrev_b32_e32 v13, 20, v13
; %bb.119:                              ;   in Loop: Header=BB12_79 Depth=1
	s_and_not1_saveexec_b32 s10, s10
; %bb.120:                              ;   in Loop: Header=BB12_79 Depth=1
	v_add_f32_e64 v13, 0x46800000, |v14|
; %bb.121:                              ;   in Loop: Header=BB12_79 Depth=1
	s_or_b32 exec_lo, exec_lo, s10
.LBB12_122:                             ;   in Loop: Header=BB12_79 Depth=1
	s_delay_alu instid0(SALU_CYCLE_1) | instskip(SKIP_3) | instid1(VALU_DEP_2)
	s_or_b32 exec_lo, exec_lo, s8
	v_mul_f32_e32 v11, v7, v11
	v_and_b32_e32 v5, 0xffff0000, v5
	s_mov_b32 s8, exec_lo
	v_bfe_u32 v15, v11, 16, 1
	v_cmp_o_f32_e32 vcc_lo, v11, v11
	s_delay_alu instid0(VALU_DEP_2) | instskip(NEXT) | instid1(VALU_DEP_1)
	v_add3_u32 v15, v11, v15, 0x7fff
	v_and_b32_e32 v15, 0xffff0000, v15
	s_delay_alu instid0(VALU_DEP_1) | instskip(NEXT) | instid1(VALU_DEP_1)
	v_cndmask_b32_e32 v11, 0x7fc00000, v15, vcc_lo
	v_mul_f32_e32 v5, v11, v5
	s_delay_alu instid0(VALU_DEP_1) | instskip(SKIP_1) | instid1(VALU_DEP_2)
	v_bfe_u32 v11, v5, 16, 1
	v_cmp_o_f32_e32 vcc_lo, v5, v5
	v_add3_u32 v11, v5, v11, 0x7fff
	s_delay_alu instid0(VALU_DEP_1) | instskip(NEXT) | instid1(VALU_DEP_1)
	v_and_b32_e32 v11, 0xffff0000, v11
	v_cndmask_b32_e32 v5, 0x7fc00000, v11, vcc_lo
	s_delay_alu instid0(VALU_DEP_1) | instskip(NEXT) | instid1(VALU_DEP_1)
	v_div_scale_f32 v11, null, v8, v8, v5
	v_rcp_f32_e32 v15, v11
	s_waitcnt_depctr 0xfff
	v_fma_f32 v16, -v11, v15, 1.0
	s_delay_alu instid0(VALU_DEP_1) | instskip(SKIP_1) | instid1(VALU_DEP_1)
	v_fmac_f32_e32 v15, v16, v15
	v_div_scale_f32 v16, vcc_lo, v5, v8, v5
	v_mul_f32_e32 v17, v16, v15
	s_delay_alu instid0(VALU_DEP_1) | instskip(NEXT) | instid1(VALU_DEP_1)
	v_fma_f32 v18, -v11, v17, v16
	v_fmac_f32_e32 v17, v18, v15
	s_delay_alu instid0(VALU_DEP_1) | instskip(NEXT) | instid1(VALU_DEP_1)
	v_fma_f32 v11, -v11, v17, v16
	v_div_fmas_f32 v11, v11, v15, v17
	s_delay_alu instid0(VALU_DEP_1) | instskip(NEXT) | instid1(VALU_DEP_1)
	v_div_fixup_f32 v5, v11, v8, v5
	v_minmax_f32 v5, v5, s5, 0xc3e00000
	s_delay_alu instid0(VALU_DEP_1) | instskip(NEXT) | instid1(VALU_DEP_1)
	v_and_b32_e32 v11, 0x7fffffff, v5
	v_cmpx_gt_u32_e32 0x43f00000, v11
	s_cbranch_execz .LBB12_128
; %bb.123:                              ;   in Loop: Header=BB12_79 Depth=1
	s_mov_b32 s10, exec_lo
                                        ; implicit-def: $vgpr4
	v_cmpx_lt_u32_e32 0x3c7fffff, v11
	s_xor_b32 s10, exec_lo, s10
; %bb.124:                              ;   in Loop: Header=BB12_79 Depth=1
	v_bfe_u32 v4, v5, 20, 1
	s_delay_alu instid0(VALU_DEP_1) | instskip(NEXT) | instid1(VALU_DEP_1)
	v_add3_u32 v4, v5, v4, 0x407ffff
	v_lshrrev_b32_e32 v4, 20, v4
; %bb.125:                              ;   in Loop: Header=BB12_79 Depth=1
	s_and_not1_saveexec_b32 s10, s10
; %bb.126:                              ;   in Loop: Header=BB12_79 Depth=1
	v_add_f32_e64 v4, 0x46800000, |v5|
; %bb.127:                              ;   in Loop: Header=BB12_79 Depth=1
	s_or_b32 exec_lo, exec_lo, s10
.LBB12_128:                             ;   in Loop: Header=BB12_79 Depth=1
	s_delay_alu instid0(SALU_CYCLE_1)
	s_or_b32 exec_lo, exec_lo, s8
	v_lshrrev_b32_e32 v11, 24, v14
	v_lshrrev_b32_e32 v12, 24, v12
	v_lshrrev_b32_e32 v9, 24, v9
	v_and_b32_e32 v14, 0x80000000, v5
	v_and_b32_e32 v10, 0xff, v10
	;; [unrolled: 1-line block ×4, first 2 shown]
	s_mov_b32 s10, -1
	s_mov_b32 s8, exec_lo
	v_and_or_b32 v9, 0x80, v9, v10
	v_and_or_b32 v11, 0xff, v13, v11
	v_lshlrev_b32_e32 v13, 24, v4
	v_and_or_b32 v6, 0xff, v6, v12
	v_lshlrev_b64 v[4:5], 2, v[2:3]
	v_add_nc_u32_e32 v3, s3, v0
	v_lshlrev_b32_e32 v11, 16, v11
	s_delay_alu instid0(VALU_DEP_4) | instskip(NEXT) | instid1(VALU_DEP_4)
	v_lshlrev_b32_e32 v6, 8, v6
	v_add_co_u32 v4, vcc_lo, s0, v4
	s_delay_alu instid0(VALU_DEP_3) | instskip(SKIP_1) | instid1(VALU_DEP_2)
	v_or3_b32 v10, v14, v13, v11
	v_add_co_ci_u32_e32 v5, vcc_lo, s1, v5, vcc_lo
	v_or3_b32 v6, v10, v6, v9
	global_store_b32 v[4:5], v6, off
	v_cmpx_gt_u32_e64 s23, v3
	s_cbranch_execz .LBB12_77
; %bb.129:                              ;   in Loop: Header=BB12_79 Depth=1
	v_mov_b32_e32 v4, v1
	s_mov_b32 s10, exec_lo
	s_delay_alu instid0(VALU_DEP_1) | instskip(NEXT) | instid1(VALU_DEP_1)
	v_lshlrev_b64 v[5:6], 3, v[3:4]
	v_add_co_u32 v9, vcc_lo, s9, v5
	s_delay_alu instid0(VALU_DEP_2)
	v_add_co_ci_u32_e32 v10, vcc_lo, s16, v6, vcc_lo
	v_add_co_u32 v16, vcc_lo, s17, v5
	v_add_co_ci_u32_e32 v17, vcc_lo, s22, v6, vcc_lo
	v_add_co_u32 v5, vcc_lo, s18, v5
	v_add_co_ci_u32_e32 v6, vcc_lo, s19, v6, vcc_lo
	global_load_b64 v[9:10], v[9:10], off
	global_load_b64 v[11:12], v[16:17], off
	;; [unrolled: 1-line block ×3, first 2 shown]
	s_waitcnt vmcnt(2)
	v_lshlrev_b32_e32 v13, 16, v9
	s_waitcnt vmcnt(0)
	v_lshlrev_b32_e32 v18, 16, v5
	v_lshlrev_b32_e32 v14, 16, v11
	s_delay_alu instid0(VALU_DEP_1) | instskip(NEXT) | instid1(VALU_DEP_1)
	v_add_f32_e32 v15, v13, v14
	v_mul_f32_e32 v13, v7, v15
	s_delay_alu instid0(VALU_DEP_1) | instskip(NEXT) | instid1(VALU_DEP_1)
	v_bfe_u32 v14, v13, 16, 1
	v_add3_u32 v14, v13, v14, 0x7fff
	s_delay_alu instid0(VALU_DEP_1) | instskip(SKIP_1) | instid1(VALU_DEP_2)
	v_and_b32_e32 v14, 0xffff0000, v14
	v_cmp_o_f32_e32 vcc_lo, v13, v13
	v_cndmask_b32_e32 v13, 0x7fc00000, v14, vcc_lo
	s_delay_alu instid0(VALU_DEP_1) | instskip(NEXT) | instid1(VALU_DEP_1)
	v_mul_f32_e32 v13, v13, v18
	v_bfe_u32 v14, v13, 16, 1
	v_cmp_o_f32_e32 vcc_lo, v13, v13
	s_delay_alu instid0(VALU_DEP_2) | instskip(NEXT) | instid1(VALU_DEP_1)
	v_add3_u32 v14, v13, v14, 0x7fff
	v_and_b32_e32 v14, 0xffff0000, v14
	s_delay_alu instid0(VALU_DEP_1) | instskip(SKIP_3) | instid1(VALU_DEP_4)
	v_cndmask_b32_e32 v18, 0x7fc00000, v14, vcc_lo
	v_and_b32_e32 v14, 0xffff0000, v9
	v_alignbit_b32 v9, v10, v9, 16
	v_and_b32_e32 v10, 0xffff0000, v10
	v_div_scale_f32 v19, null, v8, v8, v18
	s_delay_alu instid0(VALU_DEP_3) | instskip(NEXT) | instid1(VALU_DEP_2)
	v_and_b32_e32 v9, 0xffff0000, v9
	v_rcp_f32_e32 v20, v19
	s_waitcnt_depctr 0xfff
	v_fma_f32 v13, -v19, v20, 1.0
	s_delay_alu instid0(VALU_DEP_1) | instskip(SKIP_3) | instid1(VALU_DEP_3)
	v_fmac_f32_e32 v20, v13, v20
	v_alignbit_b32 v13, v12, v11, 16
	v_and_b32_e32 v11, 0xffff0000, v11
	v_and_b32_e32 v12, 0xffff0000, v12
	;; [unrolled: 1-line block ×3, first 2 shown]
	s_delay_alu instid0(VALU_DEP_3) | instskip(NEXT) | instid1(VALU_DEP_3)
	v_add_f32_e32 v13, v14, v11
	v_add_f32_e32 v12, v10, v12
	v_div_scale_f32 v21, vcc_lo, v18, v8, v18
	s_delay_alu instid0(VALU_DEP_3) | instskip(NEXT) | instid1(VALU_DEP_2)
	v_bfe_u32 v10, v13, 16, 1
	v_mul_f32_e32 v22, v21, v20
	s_delay_alu instid0(VALU_DEP_2) | instskip(NEXT) | instid1(VALU_DEP_2)
	v_add3_u32 v10, v13, v10, 0x7fff
	v_fma_f32 v11, -v19, v22, v21
	s_delay_alu instid0(VALU_DEP_2) | instskip(NEXT) | instid1(VALU_DEP_2)
	v_and_b32_e32 v10, 0xffff0000, v10
	v_fmac_f32_e32 v22, v11, v20
	v_bfe_u32 v11, v12, 16, 1
	s_delay_alu instid0(VALU_DEP_1) | instskip(NEXT) | instid1(VALU_DEP_1)
	v_add3_u32 v11, v12, v11, 0x7fff
	v_and_b32_e32 v11, 0xffff0000, v11
	s_delay_alu instid0(VALU_DEP_4) | instskip(NEXT) | instid1(VALU_DEP_1)
	v_fma_f32 v19, -v19, v22, v21
	v_div_fmas_f32 v19, v19, v20, v22
	v_cmp_o_f32_e32 vcc_lo, v13, v13
	v_add_f32_e32 v14, v9, v23
	v_bfe_u32 v9, v15, 16, 1
	s_delay_alu instid0(VALU_DEP_4) | instskip(SKIP_1) | instid1(VALU_DEP_4)
	v_div_fixup_f32 v18, v19, v8, v18
	v_cndmask_b32_e32 v19, 0x7fc00000, v10, vcc_lo
	v_bfe_u32 v23, v14, 16, 1
	s_delay_alu instid0(VALU_DEP_4) | instskip(SKIP_2) | instid1(VALU_DEP_4)
	v_add3_u32 v9, v15, v9, 0x7fff
	v_cmp_o_f32_e32 vcc_lo, v15, v15
	v_minmax_f32 v10, v18, s5, 0xc3e00000
	v_add3_u32 v21, v14, v23, 0x7fff
	s_delay_alu instid0(VALU_DEP_4) | instskip(NEXT) | instid1(VALU_DEP_3)
	v_lshrrev_b32_e32 v9, 16, v9
	v_and_b32_e32 v15, 0x7fffffff, v10
	s_delay_alu instid0(VALU_DEP_3) | instskip(NEXT) | instid1(VALU_DEP_3)
	v_lshrrev_b32_e32 v20, 16, v21
	v_cndmask_b32_e32 v9, 0x7fc0, v9, vcc_lo
	v_cmp_o_f32_e32 vcc_lo, v12, v12
	v_cndmask_b32_e32 v11, 0x7fc00000, v11, vcc_lo
	v_cmp_o_f32_e32 vcc_lo, v14, v14
	v_cndmask_b32_e32 v18, 0x7fc0, v20, vcc_lo
	v_or_b32_e32 v20, v9, v19
	v_mov_b32_e32 v9, 0x7f
	s_delay_alu instid0(VALU_DEP_3) | instskip(NEXT) | instid1(VALU_DEP_3)
	v_or3_b32 v19, 0, v18, v11
	v_or3_b32 v18, v20, 0, 0
	v_mov_b32_e32 v11, 0x7f
	global_store_b64 v[16:17], v[18:19], off
	v_cmpx_gt_u32_e32 0x43f00000, v15
	s_cbranch_execz .LBB12_135
; %bb.130:                              ;   in Loop: Header=BB12_79 Depth=1
	s_mov_b32 s11, exec_lo
                                        ; implicit-def: $vgpr11
	v_cmpx_lt_u32_e32 0x3c7fffff, v15
	s_xor_b32 s11, exec_lo, s11
; %bb.131:                              ;   in Loop: Header=BB12_79 Depth=1
	v_bfe_u32 v11, v10, 20, 1
	s_delay_alu instid0(VALU_DEP_1) | instskip(NEXT) | instid1(VALU_DEP_1)
	v_add3_u32 v11, v10, v11, 0x407ffff
	v_lshrrev_b32_e32 v11, 20, v11
; %bb.132:                              ;   in Loop: Header=BB12_79 Depth=1
	s_and_not1_saveexec_b32 s11, s11
; %bb.133:                              ;   in Loop: Header=BB12_79 Depth=1
	v_add_f32_e64 v11, 0x46800000, |v10|
; %bb.134:                              ;   in Loop: Header=BB12_79 Depth=1
	s_or_b32 exec_lo, exec_lo, s11
.LBB12_135:                             ;   in Loop: Header=BB12_79 Depth=1
	s_delay_alu instid0(SALU_CYCLE_1) | instskip(SKIP_3) | instid1(VALU_DEP_2)
	s_or_b32 exec_lo, exec_lo, s10
	v_mul_f32_e32 v13, v7, v13
	v_and_b32_e32 v16, 0xffff0000, v5
	s_mov_b32 s10, exec_lo
	v_bfe_u32 v15, v13, 16, 1
	v_cmp_o_f32_e32 vcc_lo, v13, v13
	s_delay_alu instid0(VALU_DEP_2) | instskip(NEXT) | instid1(VALU_DEP_1)
	v_add3_u32 v15, v13, v15, 0x7fff
	v_and_b32_e32 v15, 0xffff0000, v15
	s_delay_alu instid0(VALU_DEP_1) | instskip(NEXT) | instid1(VALU_DEP_1)
	v_cndmask_b32_e32 v13, 0x7fc00000, v15, vcc_lo
	v_mul_f32_e32 v13, v13, v16
	s_delay_alu instid0(VALU_DEP_1) | instskip(SKIP_1) | instid1(VALU_DEP_2)
	v_bfe_u32 v15, v13, 16, 1
	v_cmp_o_f32_e32 vcc_lo, v13, v13
	v_add3_u32 v15, v13, v15, 0x7fff
	s_delay_alu instid0(VALU_DEP_1) | instskip(NEXT) | instid1(VALU_DEP_1)
	v_and_b32_e32 v15, 0xffff0000, v15
	v_cndmask_b32_e32 v13, 0x7fc00000, v15, vcc_lo
	s_delay_alu instid0(VALU_DEP_1) | instskip(NEXT) | instid1(VALU_DEP_1)
	v_div_scale_f32 v15, null, v8, v8, v13
	v_rcp_f32_e32 v16, v15
	s_waitcnt_depctr 0xfff
	v_fma_f32 v17, -v15, v16, 1.0
	s_delay_alu instid0(VALU_DEP_1) | instskip(SKIP_1) | instid1(VALU_DEP_1)
	v_fmac_f32_e32 v16, v17, v16
	v_div_scale_f32 v17, vcc_lo, v13, v8, v13
	v_mul_f32_e32 v18, v17, v16
	s_delay_alu instid0(VALU_DEP_1) | instskip(NEXT) | instid1(VALU_DEP_1)
	v_fma_f32 v19, -v15, v18, v17
	v_fmac_f32_e32 v18, v19, v16
	s_delay_alu instid0(VALU_DEP_1) | instskip(NEXT) | instid1(VALU_DEP_1)
	v_fma_f32 v15, -v15, v18, v17
	v_div_fmas_f32 v15, v15, v16, v18
	s_delay_alu instid0(VALU_DEP_1) | instskip(NEXT) | instid1(VALU_DEP_1)
	v_div_fixup_f32 v13, v15, v8, v13
	v_minmax_f32 v13, v13, s5, 0xc3e00000
	s_delay_alu instid0(VALU_DEP_1) | instskip(NEXT) | instid1(VALU_DEP_1)
	v_and_b32_e32 v15, 0x7fffffff, v13
	v_cmpx_gt_u32_e32 0x43f00000, v15
	s_cbranch_execz .LBB12_141
; %bb.136:                              ;   in Loop: Header=BB12_79 Depth=1
	s_mov_b32 s11, exec_lo
                                        ; implicit-def: $vgpr9
	v_cmpx_lt_u32_e32 0x3c7fffff, v15
	s_xor_b32 s11, exec_lo, s11
; %bb.137:                              ;   in Loop: Header=BB12_79 Depth=1
	v_bfe_u32 v9, v13, 20, 1
	s_delay_alu instid0(VALU_DEP_1) | instskip(NEXT) | instid1(VALU_DEP_1)
	v_add3_u32 v9, v13, v9, 0x407ffff
	v_lshrrev_b32_e32 v9, 20, v9
; %bb.138:                              ;   in Loop: Header=BB12_79 Depth=1
	s_and_not1_saveexec_b32 s11, s11
; %bb.139:                              ;   in Loop: Header=BB12_79 Depth=1
	v_add_f32_e64 v9, 0x46800000, |v13|
; %bb.140:                              ;   in Loop: Header=BB12_79 Depth=1
	s_or_b32 exec_lo, exec_lo, s11
.LBB12_141:                             ;   in Loop: Header=BB12_79 Depth=1
	s_delay_alu instid0(SALU_CYCLE_1) | instskip(SKIP_3) | instid1(VALU_DEP_2)
	s_or_b32 exec_lo, exec_lo, s10
	v_mul_f32_e32 v14, v7, v14
	v_alignbit_b32 v5, v6, v5, 16
	s_mov_b32 s10, exec_lo
	v_bfe_u32 v15, v14, 16, 1
	s_delay_alu instid0(VALU_DEP_2) | instskip(NEXT) | instid1(VALU_DEP_2)
	v_and_b32_e32 v5, 0xffff0000, v5
	v_add3_u32 v15, v14, v15, 0x7fff
	s_delay_alu instid0(VALU_DEP_1) | instskip(SKIP_1) | instid1(VALU_DEP_2)
	v_and_b32_e32 v15, 0xffff0000, v15
	v_cmp_o_f32_e32 vcc_lo, v14, v14
	v_cndmask_b32_e32 v14, 0x7fc00000, v15, vcc_lo
	s_delay_alu instid0(VALU_DEP_1) | instskip(NEXT) | instid1(VALU_DEP_1)
	v_mul_f32_e32 v5, v14, v5
	v_bfe_u32 v14, v5, 16, 1
	s_delay_alu instid0(VALU_DEP_1) | instskip(NEXT) | instid1(VALU_DEP_1)
	v_add3_u32 v14, v5, v14, 0x7fff
	v_and_b32_e32 v14, 0xffff0000, v14
	v_cmp_o_f32_e32 vcc_lo, v5, v5
	s_delay_alu instid0(VALU_DEP_2) | instskip(NEXT) | instid1(VALU_DEP_1)
	v_cndmask_b32_e32 v5, 0x7fc00000, v14, vcc_lo
	v_div_scale_f32 v14, null, v8, v8, v5
	v_div_scale_f32 v17, vcc_lo, v5, v8, v5
	s_delay_alu instid0(VALU_DEP_2) | instskip(SKIP_2) | instid1(VALU_DEP_1)
	v_rcp_f32_e32 v15, v14
	s_waitcnt_depctr 0xfff
	v_fma_f32 v16, -v14, v15, 1.0
	v_fmac_f32_e32 v15, v16, v15
	s_delay_alu instid0(VALU_DEP_1) | instskip(NEXT) | instid1(VALU_DEP_1)
	v_mul_f32_e32 v16, v17, v15
	v_fma_f32 v18, -v14, v16, v17
	s_delay_alu instid0(VALU_DEP_1) | instskip(NEXT) | instid1(VALU_DEP_1)
	v_fmac_f32_e32 v16, v18, v15
	v_fma_f32 v14, -v14, v16, v17
	s_delay_alu instid0(VALU_DEP_1) | instskip(NEXT) | instid1(VALU_DEP_1)
	v_div_fmas_f32 v14, v14, v15, v16
	v_div_fixup_f32 v5, v14, v8, v5
	v_mov_b32_e32 v14, 0x7f
	s_delay_alu instid0(VALU_DEP_2) | instskip(SKIP_1) | instid1(VALU_DEP_2)
	v_minmax_f32 v15, v5, s5, 0xc3e00000
	v_mov_b32_e32 v5, 0x7f
	v_and_b32_e32 v16, 0x7fffffff, v15
	s_delay_alu instid0(VALU_DEP_1)
	v_cmpx_gt_u32_e32 0x43f00000, v16
	s_cbranch_execz .LBB12_147
; %bb.142:                              ;   in Loop: Header=BB12_79 Depth=1
	s_mov_b32 s11, exec_lo
                                        ; implicit-def: $vgpr14
	v_cmpx_lt_u32_e32 0x3c7fffff, v16
	s_xor_b32 s11, exec_lo, s11
; %bb.143:                              ;   in Loop: Header=BB12_79 Depth=1
	v_bfe_u32 v14, v15, 20, 1
	s_delay_alu instid0(VALU_DEP_1) | instskip(NEXT) | instid1(VALU_DEP_1)
	v_add3_u32 v14, v15, v14, 0x407ffff
	v_lshrrev_b32_e32 v14, 20, v14
; %bb.144:                              ;   in Loop: Header=BB12_79 Depth=1
	s_and_not1_saveexec_b32 s11, s11
; %bb.145:                              ;   in Loop: Header=BB12_79 Depth=1
	v_add_f32_e64 v14, 0x46800000, |v15|
; %bb.146:                              ;   in Loop: Header=BB12_79 Depth=1
	s_or_b32 exec_lo, exec_lo, s11
.LBB12_147:                             ;   in Loop: Header=BB12_79 Depth=1
	s_delay_alu instid0(SALU_CYCLE_1) | instskip(SKIP_3) | instid1(VALU_DEP_2)
	s_or_b32 exec_lo, exec_lo, s10
	v_mul_f32_e32 v12, v7, v12
	v_and_b32_e32 v6, 0xffff0000, v6
	s_mov_b32 s10, exec_lo
	v_bfe_u32 v16, v12, 16, 1
	v_cmp_o_f32_e32 vcc_lo, v12, v12
	s_delay_alu instid0(VALU_DEP_2) | instskip(NEXT) | instid1(VALU_DEP_1)
	v_add3_u32 v16, v12, v16, 0x7fff
	v_and_b32_e32 v16, 0xffff0000, v16
	s_delay_alu instid0(VALU_DEP_1) | instskip(NEXT) | instid1(VALU_DEP_1)
	v_cndmask_b32_e32 v12, 0x7fc00000, v16, vcc_lo
	v_mul_f32_e32 v6, v12, v6
	s_delay_alu instid0(VALU_DEP_1) | instskip(SKIP_1) | instid1(VALU_DEP_2)
	v_bfe_u32 v12, v6, 16, 1
	v_cmp_o_f32_e32 vcc_lo, v6, v6
	v_add3_u32 v12, v6, v12, 0x7fff
	s_delay_alu instid0(VALU_DEP_1) | instskip(NEXT) | instid1(VALU_DEP_1)
	v_and_b32_e32 v12, 0xffff0000, v12
	v_cndmask_b32_e32 v6, 0x7fc00000, v12, vcc_lo
	s_delay_alu instid0(VALU_DEP_1) | instskip(NEXT) | instid1(VALU_DEP_1)
	v_div_scale_f32 v12, null, v8, v8, v6
	v_rcp_f32_e32 v16, v12
	s_waitcnt_depctr 0xfff
	v_fma_f32 v17, -v12, v16, 1.0
	s_delay_alu instid0(VALU_DEP_1) | instskip(SKIP_1) | instid1(VALU_DEP_1)
	v_fmac_f32_e32 v16, v17, v16
	v_div_scale_f32 v17, vcc_lo, v6, v8, v6
	v_mul_f32_e32 v18, v17, v16
	s_delay_alu instid0(VALU_DEP_1) | instskip(NEXT) | instid1(VALU_DEP_1)
	v_fma_f32 v19, -v12, v18, v17
	v_fmac_f32_e32 v18, v19, v16
	s_delay_alu instid0(VALU_DEP_1) | instskip(NEXT) | instid1(VALU_DEP_1)
	v_fma_f32 v12, -v12, v18, v17
	v_div_fmas_f32 v12, v12, v16, v18
	s_delay_alu instid0(VALU_DEP_1) | instskip(NEXT) | instid1(VALU_DEP_1)
	v_div_fixup_f32 v6, v12, v8, v6
	v_minmax_f32 v6, v6, s5, 0xc3e00000
	s_delay_alu instid0(VALU_DEP_1) | instskip(NEXT) | instid1(VALU_DEP_1)
	v_and_b32_e32 v12, 0x7fffffff, v6
	v_cmpx_gt_u32_e32 0x43f00000, v12
	s_cbranch_execz .LBB12_153
; %bb.148:                              ;   in Loop: Header=BB12_79 Depth=1
	s_mov_b32 s11, exec_lo
                                        ; implicit-def: $vgpr5
	v_cmpx_lt_u32_e32 0x3c7fffff, v12
	s_xor_b32 s11, exec_lo, s11
; %bb.149:                              ;   in Loop: Header=BB12_79 Depth=1
	v_bfe_u32 v5, v6, 20, 1
	s_delay_alu instid0(VALU_DEP_1) | instskip(NEXT) | instid1(VALU_DEP_1)
	v_add3_u32 v5, v6, v5, 0x407ffff
	v_lshrrev_b32_e32 v5, 20, v5
; %bb.150:                              ;   in Loop: Header=BB12_79 Depth=1
	s_and_not1_saveexec_b32 s11, s11
; %bb.151:                              ;   in Loop: Header=BB12_79 Depth=1
	v_add_f32_e64 v5, 0x46800000, |v6|
; %bb.152:                              ;   in Loop: Header=BB12_79 Depth=1
	s_or_b32 exec_lo, exec_lo, s11
.LBB12_153:                             ;   in Loop: Header=BB12_79 Depth=1
	s_delay_alu instid0(SALU_CYCLE_1)
	s_or_b32 exec_lo, exec_lo, s10
	v_lshrrev_b32_e32 v12, 24, v15
	v_lshrrev_b32_e32 v13, 24, v13
	;; [unrolled: 1-line block ×3, first 2 shown]
	v_lshlrev_b32_e32 v5, 24, v5
	v_and_b32_e32 v6, 0x80000000, v6
	v_and_b32_e32 v12, 0x80, v12
	;; [unrolled: 1-line block ×4, first 2 shown]
	v_lshlrev_b64 v[3:4], 2, v[3:4]
	v_add_nc_u32_e32 v0, s2, v0
	v_and_or_b32 v12, 0xff, v14, v12
	v_and_or_b32 v9, 0xff, v9, v13
	;; [unrolled: 1-line block ×3, first 2 shown]
	s_mov_b32 s11, -1
	v_add_co_u32 v3, vcc_lo, s0, v3
	v_lshlrev_b32_e32 v12, 16, v12
	v_lshlrev_b32_e32 v9, 8, v9
	v_add_co_ci_u32_e32 v4, vcc_lo, s1, v4, vcc_lo
	s_mov_b32 s10, exec_lo
	s_delay_alu instid0(VALU_DEP_3) | instskip(NEXT) | instid1(VALU_DEP_1)
	v_or3_b32 v5, v6, v5, v12
	v_or3_b32 v5, v5, v9, v10
	global_store_b32 v[3:4], v5, off
	v_cmpx_gt_u32_e64 s23, v0
	s_cbranch_execz .LBB12_76
; %bb.154:                              ;   in Loop: Header=BB12_79 Depth=1
	v_lshlrev_b64 v[3:4], 3, v[0:1]
	s_mov_b32 s11, exec_lo
	s_delay_alu instid0(VALU_DEP_1) | instskip(NEXT) | instid1(VALU_DEP_2)
	v_add_co_u32 v5, vcc_lo, s9, v3
	v_add_co_ci_u32_e32 v6, vcc_lo, s16, v4, vcc_lo
	v_add_co_u32 v14, vcc_lo, s17, v3
	v_add_co_ci_u32_e32 v15, vcc_lo, s22, v4, vcc_lo
	;; [unrolled: 2-line block ×3, first 2 shown]
	global_load_b64 v[5:6], v[5:6], off
	global_load_b64 v[9:10], v[14:15], off
	;; [unrolled: 1-line block ×3, first 2 shown]
	s_waitcnt vmcnt(2)
	v_lshlrev_b32_e32 v11, 16, v5
	s_waitcnt vmcnt(0)
	v_lshlrev_b32_e32 v16, 16, v3
	v_lshlrev_b32_e32 v12, 16, v9
	s_delay_alu instid0(VALU_DEP_1) | instskip(NEXT) | instid1(VALU_DEP_1)
	v_add_f32_e32 v13, v11, v12
	v_mul_f32_e32 v11, v7, v13
	s_delay_alu instid0(VALU_DEP_1) | instskip(NEXT) | instid1(VALU_DEP_1)
	v_bfe_u32 v12, v11, 16, 1
	v_add3_u32 v12, v11, v12, 0x7fff
	s_delay_alu instid0(VALU_DEP_1) | instskip(SKIP_1) | instid1(VALU_DEP_2)
	v_and_b32_e32 v12, 0xffff0000, v12
	v_cmp_o_f32_e32 vcc_lo, v11, v11
	v_cndmask_b32_e32 v11, 0x7fc00000, v12, vcc_lo
	s_delay_alu instid0(VALU_DEP_1) | instskip(NEXT) | instid1(VALU_DEP_1)
	v_mul_f32_e32 v11, v11, v16
	v_bfe_u32 v12, v11, 16, 1
	v_cmp_o_f32_e32 vcc_lo, v11, v11
	s_delay_alu instid0(VALU_DEP_2) | instskip(NEXT) | instid1(VALU_DEP_1)
	v_add3_u32 v12, v11, v12, 0x7fff
	v_and_b32_e32 v12, 0xffff0000, v12
	s_delay_alu instid0(VALU_DEP_1) | instskip(SKIP_2) | instid1(VALU_DEP_3)
	v_cndmask_b32_e32 v16, 0x7fc00000, v12, vcc_lo
	v_and_b32_e32 v12, 0xffff0000, v5
	v_alignbit_b32 v5, v6, v5, 16
	v_div_scale_f32 v17, null, v8, v8, v16
	v_div_scale_f32 v19, vcc_lo, v16, v8, v16
	s_delay_alu instid0(VALU_DEP_3) | instskip(NEXT) | instid1(VALU_DEP_3)
	v_and_b32_e32 v5, 0xffff0000, v5
	v_rcp_f32_e32 v18, v17
	s_waitcnt_depctr 0xfff
	v_fma_f32 v11, -v17, v18, 1.0
	s_delay_alu instid0(VALU_DEP_1) | instskip(SKIP_4) | instid1(VALU_DEP_4)
	v_fmac_f32_e32 v18, v11, v18
	v_alignbit_b32 v11, v10, v9, 16
	v_and_b32_e32 v9, 0xffff0000, v9
	v_and_b32_e32 v6, 0xffff0000, v6
	;; [unrolled: 1-line block ×3, first 2 shown]
	v_dual_mul_f32 v20, v19, v18 :: v_dual_and_b32 v21, 0xffff0000, v11
	s_delay_alu instid0(VALU_DEP_2) | instskip(NEXT) | instid1(VALU_DEP_2)
	v_dual_add_f32 v11, v12, v9 :: v_dual_add_f32 v10, v6, v10
	v_fma_f32 v9, -v17, v20, v19
	s_delay_alu instid0(VALU_DEP_2) | instskip(NEXT) | instid1(VALU_DEP_2)
	v_bfe_u32 v6, v11, 16, 1
	v_fmac_f32_e32 v20, v9, v18
	s_delay_alu instid0(VALU_DEP_4) | instskip(NEXT) | instid1(VALU_DEP_3)
	v_bfe_u32 v9, v10, 16, 1
	v_add3_u32 v6, v11, v6, 0x7fff
	s_delay_alu instid0(VALU_DEP_2) | instskip(NEXT) | instid1(VALU_DEP_2)
	v_add3_u32 v9, v10, v9, 0x7fff
	v_and_b32_e32 v6, 0xffff0000, v6
	s_delay_alu instid0(VALU_DEP_2) | instskip(SKIP_1) | instid1(VALU_DEP_1)
	v_and_b32_e32 v9, 0xffff0000, v9
	v_fma_f32 v17, -v17, v20, v19
	v_div_fmas_f32 v17, v17, v18, v20
	v_cmp_o_f32_e32 vcc_lo, v11, v11
	v_add_f32_e32 v12, v5, v21
	v_bfe_u32 v5, v13, 16, 1
	s_delay_alu instid0(VALU_DEP_4) | instskip(SKIP_1) | instid1(VALU_DEP_4)
	v_div_fixup_f32 v16, v17, v8, v16
	v_cndmask_b32_e32 v17, 0x7fc00000, v6, vcc_lo
	v_bfe_u32 v21, v12, 16, 1
	s_delay_alu instid0(VALU_DEP_4) | instskip(SKIP_2) | instid1(VALU_DEP_4)
	v_add3_u32 v5, v13, v5, 0x7fff
	v_cmp_o_f32_e32 vcc_lo, v13, v13
	v_minmax_f32 v6, v16, s5, 0xc3e00000
	v_add3_u32 v19, v12, v21, 0x7fff
	s_delay_alu instid0(VALU_DEP_4) | instskip(NEXT) | instid1(VALU_DEP_3)
	v_lshrrev_b32_e32 v5, 16, v5
	v_and_b32_e32 v13, 0x7fffffff, v6
	s_delay_alu instid0(VALU_DEP_3) | instskip(NEXT) | instid1(VALU_DEP_3)
	v_lshrrev_b32_e32 v18, 16, v19
	v_cndmask_b32_e32 v5, 0x7fc0, v5, vcc_lo
	v_cmp_o_f32_e32 vcc_lo, v10, v10
	v_cndmask_b32_e32 v9, 0x7fc00000, v9, vcc_lo
	v_cmp_o_f32_e32 vcc_lo, v12, v12
	v_cndmask_b32_e32 v16, 0x7fc0, v18, vcc_lo
	v_or_b32_e32 v18, v5, v17
	v_mov_b32_e32 v5, 0x7f
	s_delay_alu instid0(VALU_DEP_3) | instskip(NEXT) | instid1(VALU_DEP_3)
	v_or3_b32 v17, 0, v16, v9
	v_or3_b32 v16, v18, 0, 0
	v_mov_b32_e32 v9, 0x7f
	global_store_b64 v[14:15], v[16:17], off
	v_cmpx_gt_u32_e32 0x43f00000, v13
	s_cbranch_execz .LBB12_160
; %bb.155:                              ;   in Loop: Header=BB12_79 Depth=1
	s_mov_b32 s12, exec_lo
                                        ; implicit-def: $vgpr9
	v_cmpx_lt_u32_e32 0x3c7fffff, v13
	s_xor_b32 s12, exec_lo, s12
; %bb.156:                              ;   in Loop: Header=BB12_79 Depth=1
	v_bfe_u32 v9, v6, 20, 1
	s_delay_alu instid0(VALU_DEP_1) | instskip(NEXT) | instid1(VALU_DEP_1)
	v_add3_u32 v9, v6, v9, 0x407ffff
	v_lshrrev_b32_e32 v9, 20, v9
; %bb.157:                              ;   in Loop: Header=BB12_79 Depth=1
	s_and_not1_saveexec_b32 s12, s12
; %bb.158:                              ;   in Loop: Header=BB12_79 Depth=1
	v_add_f32_e64 v9, 0x46800000, |v6|
; %bb.159:                              ;   in Loop: Header=BB12_79 Depth=1
	s_or_b32 exec_lo, exec_lo, s12
.LBB12_160:                             ;   in Loop: Header=BB12_79 Depth=1
	s_delay_alu instid0(SALU_CYCLE_1) | instskip(SKIP_3) | instid1(VALU_DEP_2)
	s_or_b32 exec_lo, exec_lo, s11
	v_mul_f32_e32 v11, v7, v11
	v_and_b32_e32 v14, 0xffff0000, v3
	s_mov_b32 s11, exec_lo
	v_bfe_u32 v13, v11, 16, 1
	v_cmp_o_f32_e32 vcc_lo, v11, v11
	s_delay_alu instid0(VALU_DEP_2) | instskip(NEXT) | instid1(VALU_DEP_1)
	v_add3_u32 v13, v11, v13, 0x7fff
	v_and_b32_e32 v13, 0xffff0000, v13
	s_delay_alu instid0(VALU_DEP_1) | instskip(NEXT) | instid1(VALU_DEP_1)
	v_cndmask_b32_e32 v11, 0x7fc00000, v13, vcc_lo
	v_mul_f32_e32 v11, v11, v14
	s_delay_alu instid0(VALU_DEP_1) | instskip(SKIP_1) | instid1(VALU_DEP_2)
	v_bfe_u32 v13, v11, 16, 1
	v_cmp_o_f32_e32 vcc_lo, v11, v11
	v_add3_u32 v13, v11, v13, 0x7fff
	s_delay_alu instid0(VALU_DEP_1) | instskip(NEXT) | instid1(VALU_DEP_1)
	v_and_b32_e32 v13, 0xffff0000, v13
	v_cndmask_b32_e32 v11, 0x7fc00000, v13, vcc_lo
	s_delay_alu instid0(VALU_DEP_1) | instskip(NEXT) | instid1(VALU_DEP_1)
	v_div_scale_f32 v13, null, v8, v8, v11
	v_rcp_f32_e32 v14, v13
	s_waitcnt_depctr 0xfff
	v_fma_f32 v15, -v13, v14, 1.0
	s_delay_alu instid0(VALU_DEP_1) | instskip(SKIP_1) | instid1(VALU_DEP_1)
	v_fmac_f32_e32 v14, v15, v14
	v_div_scale_f32 v15, vcc_lo, v11, v8, v11
	v_mul_f32_e32 v16, v15, v14
	s_delay_alu instid0(VALU_DEP_1) | instskip(NEXT) | instid1(VALU_DEP_1)
	v_fma_f32 v17, -v13, v16, v15
	v_fmac_f32_e32 v16, v17, v14
	s_delay_alu instid0(VALU_DEP_1) | instskip(NEXT) | instid1(VALU_DEP_1)
	v_fma_f32 v13, -v13, v16, v15
	v_div_fmas_f32 v13, v13, v14, v16
	s_delay_alu instid0(VALU_DEP_1) | instskip(NEXT) | instid1(VALU_DEP_1)
	v_div_fixup_f32 v11, v13, v8, v11
	v_minmax_f32 v11, v11, s5, 0xc3e00000
	s_delay_alu instid0(VALU_DEP_1) | instskip(NEXT) | instid1(VALU_DEP_1)
	v_and_b32_e32 v13, 0x7fffffff, v11
	v_cmpx_gt_u32_e32 0x43f00000, v13
	s_cbranch_execz .LBB12_166
; %bb.161:                              ;   in Loop: Header=BB12_79 Depth=1
	s_mov_b32 s12, exec_lo
                                        ; implicit-def: $vgpr5
	v_cmpx_lt_u32_e32 0x3c7fffff, v13
	s_xor_b32 s12, exec_lo, s12
; %bb.162:                              ;   in Loop: Header=BB12_79 Depth=1
	v_bfe_u32 v5, v11, 20, 1
	s_delay_alu instid0(VALU_DEP_1) | instskip(NEXT) | instid1(VALU_DEP_1)
	v_add3_u32 v5, v11, v5, 0x407ffff
	v_lshrrev_b32_e32 v5, 20, v5
; %bb.163:                              ;   in Loop: Header=BB12_79 Depth=1
	s_and_not1_saveexec_b32 s12, s12
; %bb.164:                              ;   in Loop: Header=BB12_79 Depth=1
	v_add_f32_e64 v5, 0x46800000, |v11|
; %bb.165:                              ;   in Loop: Header=BB12_79 Depth=1
	s_or_b32 exec_lo, exec_lo, s12
.LBB12_166:                             ;   in Loop: Header=BB12_79 Depth=1
	s_delay_alu instid0(SALU_CYCLE_1) | instskip(SKIP_3) | instid1(VALU_DEP_2)
	s_or_b32 exec_lo, exec_lo, s11
	v_mul_f32_e32 v12, v7, v12
	v_alignbit_b32 v3, v4, v3, 16
	s_mov_b32 s11, exec_lo
	v_bfe_u32 v13, v12, 16, 1
	s_delay_alu instid0(VALU_DEP_2) | instskip(NEXT) | instid1(VALU_DEP_2)
	v_and_b32_e32 v3, 0xffff0000, v3
	v_add3_u32 v13, v12, v13, 0x7fff
	s_delay_alu instid0(VALU_DEP_1) | instskip(SKIP_1) | instid1(VALU_DEP_2)
	v_and_b32_e32 v13, 0xffff0000, v13
	v_cmp_o_f32_e32 vcc_lo, v12, v12
	v_cndmask_b32_e32 v12, 0x7fc00000, v13, vcc_lo
	s_delay_alu instid0(VALU_DEP_1) | instskip(NEXT) | instid1(VALU_DEP_1)
	v_mul_f32_e32 v3, v12, v3
	v_bfe_u32 v12, v3, 16, 1
	s_delay_alu instid0(VALU_DEP_1) | instskip(NEXT) | instid1(VALU_DEP_1)
	v_add3_u32 v12, v3, v12, 0x7fff
	v_and_b32_e32 v12, 0xffff0000, v12
	v_cmp_o_f32_e32 vcc_lo, v3, v3
	s_delay_alu instid0(VALU_DEP_2) | instskip(NEXT) | instid1(VALU_DEP_1)
	v_cndmask_b32_e32 v3, 0x7fc00000, v12, vcc_lo
	v_div_scale_f32 v12, null, v8, v8, v3
	v_div_scale_f32 v15, vcc_lo, v3, v8, v3
	s_delay_alu instid0(VALU_DEP_2) | instskip(SKIP_2) | instid1(VALU_DEP_1)
	v_rcp_f32_e32 v13, v12
	s_waitcnt_depctr 0xfff
	v_fma_f32 v14, -v12, v13, 1.0
	v_fmac_f32_e32 v13, v14, v13
	s_delay_alu instid0(VALU_DEP_1) | instskip(NEXT) | instid1(VALU_DEP_1)
	v_mul_f32_e32 v14, v15, v13
	v_fma_f32 v16, -v12, v14, v15
	s_delay_alu instid0(VALU_DEP_1) | instskip(NEXT) | instid1(VALU_DEP_1)
	v_fmac_f32_e32 v14, v16, v13
	v_fma_f32 v12, -v12, v14, v15
	s_delay_alu instid0(VALU_DEP_1) | instskip(NEXT) | instid1(VALU_DEP_1)
	v_div_fmas_f32 v12, v12, v13, v14
	v_div_fixup_f32 v3, v12, v8, v3
	v_mov_b32_e32 v12, 0x7f
	s_delay_alu instid0(VALU_DEP_2) | instskip(SKIP_1) | instid1(VALU_DEP_2)
	v_minmax_f32 v13, v3, s5, 0xc3e00000
	v_mov_b32_e32 v3, 0x7f
	v_and_b32_e32 v14, 0x7fffffff, v13
	s_delay_alu instid0(VALU_DEP_1)
	v_cmpx_gt_u32_e32 0x43f00000, v14
	s_cbranch_execz .LBB12_172
; %bb.167:                              ;   in Loop: Header=BB12_79 Depth=1
	s_mov_b32 s12, exec_lo
                                        ; implicit-def: $vgpr12
	v_cmpx_lt_u32_e32 0x3c7fffff, v14
	s_xor_b32 s12, exec_lo, s12
; %bb.168:                              ;   in Loop: Header=BB12_79 Depth=1
	v_bfe_u32 v12, v13, 20, 1
	s_delay_alu instid0(VALU_DEP_1) | instskip(NEXT) | instid1(VALU_DEP_1)
	v_add3_u32 v12, v13, v12, 0x407ffff
	v_lshrrev_b32_e32 v12, 20, v12
; %bb.169:                              ;   in Loop: Header=BB12_79 Depth=1
	s_and_not1_saveexec_b32 s12, s12
; %bb.170:                              ;   in Loop: Header=BB12_79 Depth=1
	v_add_f32_e64 v12, 0x46800000, |v13|
; %bb.171:                              ;   in Loop: Header=BB12_79 Depth=1
	s_or_b32 exec_lo, exec_lo, s12
.LBB12_172:                             ;   in Loop: Header=BB12_79 Depth=1
	s_delay_alu instid0(SALU_CYCLE_1) | instskip(SKIP_3) | instid1(VALU_DEP_2)
	s_or_b32 exec_lo, exec_lo, s11
	v_mul_f32_e32 v10, v7, v10
	v_and_b32_e32 v4, 0xffff0000, v4
	s_mov_b32 s11, exec_lo
	v_bfe_u32 v14, v10, 16, 1
	v_cmp_o_f32_e32 vcc_lo, v10, v10
	s_delay_alu instid0(VALU_DEP_2) | instskip(NEXT) | instid1(VALU_DEP_1)
	v_add3_u32 v14, v10, v14, 0x7fff
	v_and_b32_e32 v14, 0xffff0000, v14
	s_delay_alu instid0(VALU_DEP_1) | instskip(NEXT) | instid1(VALU_DEP_1)
	v_cndmask_b32_e32 v10, 0x7fc00000, v14, vcc_lo
	v_mul_f32_e32 v4, v10, v4
	s_delay_alu instid0(VALU_DEP_1) | instskip(SKIP_1) | instid1(VALU_DEP_2)
	v_bfe_u32 v10, v4, 16, 1
	v_cmp_o_f32_e32 vcc_lo, v4, v4
	v_add3_u32 v10, v4, v10, 0x7fff
	s_delay_alu instid0(VALU_DEP_1) | instskip(NEXT) | instid1(VALU_DEP_1)
	v_and_b32_e32 v10, 0xffff0000, v10
	v_cndmask_b32_e32 v4, 0x7fc00000, v10, vcc_lo
	s_delay_alu instid0(VALU_DEP_1) | instskip(NEXT) | instid1(VALU_DEP_1)
	v_div_scale_f32 v10, null, v8, v8, v4
	v_rcp_f32_e32 v14, v10
	s_waitcnt_depctr 0xfff
	v_fma_f32 v15, -v10, v14, 1.0
	s_delay_alu instid0(VALU_DEP_1) | instskip(SKIP_1) | instid1(VALU_DEP_1)
	v_fmac_f32_e32 v14, v15, v14
	v_div_scale_f32 v15, vcc_lo, v4, v8, v4
	v_mul_f32_e32 v16, v15, v14
	s_delay_alu instid0(VALU_DEP_1) | instskip(NEXT) | instid1(VALU_DEP_1)
	v_fma_f32 v17, -v10, v16, v15
	v_fmac_f32_e32 v16, v17, v14
	s_delay_alu instid0(VALU_DEP_1) | instskip(NEXT) | instid1(VALU_DEP_1)
	v_fma_f32 v10, -v10, v16, v15
	v_div_fmas_f32 v10, v10, v14, v16
	s_delay_alu instid0(VALU_DEP_1) | instskip(NEXT) | instid1(VALU_DEP_1)
	v_div_fixup_f32 v4, v10, v8, v4
	v_minmax_f32 v4, v4, s5, 0xc3e00000
	s_delay_alu instid0(VALU_DEP_1) | instskip(NEXT) | instid1(VALU_DEP_1)
	v_and_b32_e32 v10, 0x7fffffff, v4
	v_cmpx_gt_u32_e32 0x43f00000, v10
	s_cbranch_execz .LBB12_75
; %bb.173:                              ;   in Loop: Header=BB12_79 Depth=1
	s_mov_b32 s12, exec_lo
                                        ; implicit-def: $vgpr3
	v_cmpx_lt_u32_e32 0x3c7fffff, v10
	s_xor_b32 s12, exec_lo, s12
; %bb.174:                              ;   in Loop: Header=BB12_79 Depth=1
	v_bfe_u32 v3, v4, 20, 1
	s_delay_alu instid0(VALU_DEP_1) | instskip(NEXT) | instid1(VALU_DEP_1)
	v_add3_u32 v3, v4, v3, 0x407ffff
	v_lshrrev_b32_e32 v3, 20, v3
; %bb.175:                              ;   in Loop: Header=BB12_79 Depth=1
	s_and_not1_saveexec_b32 s12, s12
	s_cbranch_execz .LBB12_74
; %bb.176:                              ;   in Loop: Header=BB12_79 Depth=1
	v_add_f32_e64 v3, 0x46800000, |v4|
	s_branch .LBB12_74
.LBB12_177:
	s_nop 0
	s_sendmsg sendmsg(MSG_DEALLOC_VGPRS)
	s_endpgm
	.section	.rodata,"a",@progbits
	.p2align	6, 0x0
	.amdhsa_kernel _ZN4vllm39rms_norm_dynamic_per_token_quant_kernelIN3c108BFloat16ENS1_13Float8_e4m3fnELb1EEEvPT0_PfPKT_S9_PKffiiPS7_
		.amdhsa_group_segment_fixed_size 528
		.amdhsa_private_segment_fixed_size 0
		.amdhsa_kernarg_size 320
		.amdhsa_user_sgpr_count 15
		.amdhsa_user_sgpr_dispatch_ptr 0
		.amdhsa_user_sgpr_queue_ptr 0
		.amdhsa_user_sgpr_kernarg_segment_ptr 1
		.amdhsa_user_sgpr_dispatch_id 0
		.amdhsa_user_sgpr_private_segment_size 0
		.amdhsa_wavefront_size32 1
		.amdhsa_uses_dynamic_stack 0
		.amdhsa_enable_private_segment 0
		.amdhsa_system_sgpr_workgroup_id_x 1
		.amdhsa_system_sgpr_workgroup_id_y 0
		.amdhsa_system_sgpr_workgroup_id_z 0
		.amdhsa_system_sgpr_workgroup_info 0
		.amdhsa_system_vgpr_workitem_id 0
		.amdhsa_next_free_vgpr 29
		.amdhsa_next_free_sgpr 38
		.amdhsa_reserve_vcc 1
		.amdhsa_float_round_mode_32 0
		.amdhsa_float_round_mode_16_64 0
		.amdhsa_float_denorm_mode_32 3
		.amdhsa_float_denorm_mode_16_64 3
		.amdhsa_dx10_clamp 1
		.amdhsa_ieee_mode 1
		.amdhsa_fp16_overflow 0
		.amdhsa_workgroup_processor_mode 1
		.amdhsa_memory_ordered 1
		.amdhsa_forward_progress 0
		.amdhsa_shared_vgpr_count 0
		.amdhsa_exception_fp_ieee_invalid_op 0
		.amdhsa_exception_fp_denorm_src 0
		.amdhsa_exception_fp_ieee_div_zero 0
		.amdhsa_exception_fp_ieee_overflow 0
		.amdhsa_exception_fp_ieee_underflow 0
		.amdhsa_exception_fp_ieee_inexact 0
		.amdhsa_exception_int_div_zero 0
	.end_amdhsa_kernel
	.section	.text._ZN4vllm39rms_norm_dynamic_per_token_quant_kernelIN3c108BFloat16ENS1_13Float8_e4m3fnELb1EEEvPT0_PfPKT_S9_PKffiiPS7_,"axG",@progbits,_ZN4vllm39rms_norm_dynamic_per_token_quant_kernelIN3c108BFloat16ENS1_13Float8_e4m3fnELb1EEEvPT0_PfPKT_S9_PKffiiPS7_,comdat
.Lfunc_end12:
	.size	_ZN4vllm39rms_norm_dynamic_per_token_quant_kernelIN3c108BFloat16ENS1_13Float8_e4m3fnELb1EEEvPT0_PfPKT_S9_PKffiiPS7_, .Lfunc_end12-_ZN4vllm39rms_norm_dynamic_per_token_quant_kernelIN3c108BFloat16ENS1_13Float8_e4m3fnELb1EEEvPT0_PfPKT_S9_PKffiiPS7_
                                        ; -- End function
	.section	.AMDGPU.csdata,"",@progbits
; Kernel info:
; codeLenInByte = 16216
; NumSgprs: 40
; NumVgprs: 29
; ScratchSize: 0
; MemoryBound: 0
; FloatMode: 240
; IeeeMode: 1
; LDSByteSize: 528 bytes/workgroup (compile time only)
; SGPRBlocks: 4
; VGPRBlocks: 3
; NumSGPRsForWavesPerEU: 40
; NumVGPRsForWavesPerEU: 29
; Occupancy: 16
; WaveLimiterHint : 0
; COMPUTE_PGM_RSRC2:SCRATCH_EN: 0
; COMPUTE_PGM_RSRC2:USER_SGPR: 15
; COMPUTE_PGM_RSRC2:TRAP_HANDLER: 0
; COMPUTE_PGM_RSRC2:TGID_X_EN: 1
; COMPUTE_PGM_RSRC2:TGID_Y_EN: 0
; COMPUTE_PGM_RSRC2:TGID_Z_EN: 0
; COMPUTE_PGM_RSRC2:TIDIG_COMP_CNT: 0
	.section	.text._ZN4vllm39rms_norm_dynamic_per_token_quant_kernelIN3c108BFloat16ENS1_15Float8_e4m3fnuzELb1EEEvPT0_PfPKT_S9_PKffiiPS7_,"axG",@progbits,_ZN4vllm39rms_norm_dynamic_per_token_quant_kernelIN3c108BFloat16ENS1_15Float8_e4m3fnuzELb1EEEvPT0_PfPKT_S9_PKffiiPS7_,comdat
	.protected	_ZN4vllm39rms_norm_dynamic_per_token_quant_kernelIN3c108BFloat16ENS1_15Float8_e4m3fnuzELb1EEEvPT0_PfPKT_S9_PKffiiPS7_ ; -- Begin function _ZN4vllm39rms_norm_dynamic_per_token_quant_kernelIN3c108BFloat16ENS1_15Float8_e4m3fnuzELb1EEEvPT0_PfPKT_S9_PKffiiPS7_
	.globl	_ZN4vllm39rms_norm_dynamic_per_token_quant_kernelIN3c108BFloat16ENS1_15Float8_e4m3fnuzELb1EEEvPT0_PfPKT_S9_PKffiiPS7_
	.p2align	8
	.type	_ZN4vllm39rms_norm_dynamic_per_token_quant_kernelIN3c108BFloat16ENS1_15Float8_e4m3fnuzELb1EEEvPT0_PfPKT_S9_PKffiiPS7_,@function
_ZN4vllm39rms_norm_dynamic_per_token_quant_kernelIN3c108BFloat16ENS1_15Float8_e4m3fnuzELb1EEEvPT0_PfPKT_S9_PKffiiPS7_: ; @_ZN4vllm39rms_norm_dynamic_per_token_quant_kernelIN3c108BFloat16ENS1_15Float8_e4m3fnuzELb1EEEvPT0_PfPKT_S9_PKffiiPS7_
; %bb.0:
	s_mov_b32 s24, s15
	s_clause 0x3
	s_load_b128 s[20:23], s[0:1], 0x28
	s_load_b64 s[26:27], s[0:1], 0x20
	s_load_b256 s[12:19], s[0:1], 0x0
	s_load_b64 s[28:29], s[0:1], 0x38
	s_waitcnt lgkmcnt(0)
	s_or_b32 s2, s22, s21
	s_delay_alu instid0(SALU_CYCLE_1) | instskip(NEXT) | instid1(SALU_CYCLE_1)
	s_and_b32 s2, s2, 3
	s_cmp_lg_u32 s2, 0
	s_cbranch_scc0 .LBB13_39
; %bb.1:
	v_cmp_gt_u32_e64 s2, s21, v0
	v_cmp_le_u32_e64 s3, s21, v0
                                        ; implicit-def: $sgpr7
                                        ; implicit-def: $sgpr4_sgpr5
	s_delay_alu instid0(VALU_DEP_1) | instskip(NEXT) | instid1(SALU_CYCLE_1)
	s_and_saveexec_b32 s6, s3
	s_xor_b32 s6, exec_lo, s6
; %bb.2:
	s_add_u32 s4, s0, 64
	s_addc_u32 s5, s1, 0
	s_mov_b32 s7, 0
; %bb.3:
	s_or_saveexec_b32 s6, s6
	v_mov_b32_e32 v1, s4
	v_dual_mov_b32 v5, s7 :: v_dual_mov_b32 v2, s5
	v_mov_b32_e32 v3, s24
	s_xor_b32 exec_lo, exec_lo, s6
	s_cbranch_execz .LBB13_7
; %bb.4:
	s_load_b32 s23, s[0:1], 0x4c
	s_ashr_i32 s5, s22, 31
	s_ashr_i32 s4, s21, 31
	s_mul_hi_u32 s8, s22, s24
	s_mul_i32 s5, s5, s24
	s_mul_i32 s9, s4, s24
	s_add_i32 s5, s8, s5
	s_mul_i32 s4, s22, s24
	s_mul_hi_u32 s7, s21, s24
	s_lshl_b64 s[4:5], s[4:5], 1
	s_add_i32 s11, s7, s9
	s_mul_i32 s10, s21, s24
	s_add_u32 s7, s16, s4
	s_addc_u32 s8, s17, s5
	s_lshl_b64 s[4:5], s[10:11], 1
	v_dual_mov_b32 v2, 0 :: v_dual_mov_b32 v5, 0
	s_add_u32 s9, s28, s4
	v_mov_b32_e32 v1, v0
	s_addc_u32 s10, s29, s5
	s_add_u32 s4, s0, 64
	s_addc_u32 s5, s1, 0
	s_waitcnt lgkmcnt(0)
	s_and_b32 s23, s23, 0xffff
	s_mov_b32 s11, 0
	.p2align	6
.LBB13_5:                               ; =>This Inner Loop Header: Depth=1
	v_lshlrev_b64 v[3:4], 1, v[1:2]
	v_add_nc_u32_e32 v1, s23, v1
	s_delay_alu instid0(VALU_DEP_2) | instskip(NEXT) | instid1(VALU_DEP_3)
	v_add_co_u32 v6, vcc_lo, s9, v3
	v_add_co_ci_u32_e32 v7, vcc_lo, s10, v4, vcc_lo
	v_add_co_u32 v3, vcc_lo, s7, v3
	v_add_co_ci_u32_e32 v4, vcc_lo, s8, v4, vcc_lo
	v_cmp_le_u32_e32 vcc_lo, s21, v1
	global_load_u16 v6, v[6:7], off
	global_load_u16 v3, v[3:4], off
	s_or_b32 s11, vcc_lo, s11
	s_waitcnt vmcnt(1)
	v_lshlrev_b32_e32 v4, 16, v6
	s_waitcnt vmcnt(0)
	v_lshlrev_b32_e32 v3, 16, v3
	s_delay_alu instid0(VALU_DEP_1) | instskip(NEXT) | instid1(VALU_DEP_1)
	v_add_f32_e32 v3, v3, v4
	v_fmac_f32_e32 v5, v3, v3
	s_and_not1_b32 exec_lo, exec_lo, s11
	s_cbranch_execnz .LBB13_5
; %bb.6:
	s_or_b32 exec_lo, exec_lo, s11
	v_dual_mov_b32 v1, s4 :: v_dual_mov_b32 v2, s5
	v_mov_b32_e32 v3, s24
.LBB13_7:
	s_or_b32 exec_lo, exec_lo, s6
	global_load_b32 v4, v[1:2], off
	v_and_b32_e32 v14, 0x3e0, v0
	s_waitcnt vmcnt(0)
	v_cmp_lt_u32_e32 vcc_lo, v3, v4
	v_cndmask_b32_e64 v3, 18, 12, vcc_lo
	s_delay_alu instid0(VALU_DEP_1) | instskip(SKIP_3) | instid1(VALU_DEP_1)
	v_add_co_u32 v1, vcc_lo, v1, v3
	v_add_co_ci_u32_e32 v2, vcc_lo, 0, v2, vcc_lo
	global_load_u16 v1, v[1:2], off
	v_mbcnt_lo_u32_b32 v2, -1, 0
	v_cmp_ne_u32_e32 vcc_lo, 31, v2
	v_cmp_eq_u32_e64 s5, 0, v2
	v_add_co_ci_u32_e32 v3, vcc_lo, 0, v2, vcc_lo
	v_cmp_gt_u32_e32 vcc_lo, 30, v2
	s_delay_alu instid0(VALU_DEP_2)
	v_lshlrev_b32_e32 v3, 2, v3
	v_cndmask_b32_e64 v7, 0, 1, vcc_lo
	ds_bpermute_b32 v6, v3, v5
	s_waitcnt lgkmcnt(0)
	v_dual_add_f32 v8, v5, v6 :: v_dual_lshlrev_b32 v7, 1, v7
	v_add_nc_u32_e32 v4, 1, v2
	s_delay_alu instid0(VALU_DEP_2) | instskip(SKIP_2) | instid1(VALU_DEP_1)
	v_add_lshl_u32 v6, v7, v2, 2
	s_waitcnt vmcnt(0)
	v_sub_nc_u32_e64 v15, v1, v14 clamp
	v_cmp_lt_u32_e32 vcc_lo, v4, v15
	v_cndmask_b32_e32 v5, v5, v8, vcc_lo
	v_cmp_gt_u32_e32 vcc_lo, 28, v2
	ds_bpermute_b32 v7, v6, v5
	v_cndmask_b32_e64 v8, 0, 1, vcc_lo
	s_delay_alu instid0(VALU_DEP_1) | instskip(SKIP_1) | instid1(VALU_DEP_1)
	v_lshlrev_b32_e32 v9, 2, v8
	v_add_nc_u32_e32 v8, 2, v2
	v_cmp_lt_u32_e32 vcc_lo, v8, v15
	s_waitcnt lgkmcnt(0)
	v_add_f32_e32 v10, v5, v7
	v_add_lshl_u32 v7, v9, v2, 2
	s_delay_alu instid0(VALU_DEP_2) | instskip(SKIP_3) | instid1(VALU_DEP_1)
	v_cndmask_b32_e32 v5, v5, v10, vcc_lo
	v_cmp_gt_u32_e32 vcc_lo, 24, v2
	ds_bpermute_b32 v9, v7, v5
	v_cndmask_b32_e64 v10, 0, 1, vcc_lo
	v_lshlrev_b32_e32 v11, 3, v10
	v_add_nc_u32_e32 v10, 4, v2
	s_delay_alu instid0(VALU_DEP_1) | instskip(SKIP_3) | instid1(VALU_DEP_2)
	v_cmp_lt_u32_e32 vcc_lo, v10, v15
	s_waitcnt lgkmcnt(0)
	v_add_f32_e32 v12, v5, v9
	v_add_lshl_u32 v9, v11, v2, 2
	v_cndmask_b32_e32 v5, v5, v12, vcc_lo
	v_cmp_gt_u32_e32 vcc_lo, 16, v2
	ds_bpermute_b32 v11, v9, v5
	v_cndmask_b32_e64 v12, 0, 1, vcc_lo
	s_delay_alu instid0(VALU_DEP_1) | instskip(SKIP_1) | instid1(VALU_DEP_1)
	v_lshlrev_b32_e32 v13, 4, v12
	v_add_nc_u32_e32 v12, 8, v2
	v_cmp_lt_u32_e32 vcc_lo, v12, v15
	s_waitcnt lgkmcnt(0)
	v_add_f32_e32 v16, v5, v11
	v_add_lshl_u32 v11, v13, v2, 2
	v_add_nc_u32_e32 v13, 16, v2
	s_delay_alu instid0(VALU_DEP_3) | instskip(NEXT) | instid1(VALU_DEP_2)
	v_cndmask_b32_e32 v5, v5, v16, vcc_lo
	v_cmp_lt_u32_e32 vcc_lo, v13, v15
	ds_bpermute_b32 v16, v11, v5
	s_waitcnt lgkmcnt(0)
	v_add_f32_e32 v16, v5, v16
	s_delay_alu instid0(VALU_DEP_1)
	v_cndmask_b32_e32 v5, v5, v16, vcc_lo
	s_and_saveexec_b32 s4, s5
	s_cbranch_execz .LBB13_9
; %bb.8:
	v_lshrrev_b32_e32 v15, 3, v0
	s_delay_alu instid0(VALU_DEP_1)
	v_and_b32_e32 v15, 0x7c, v15
	ds_store_b32 v15, v5 offset:256
.LBB13_9:
	s_or_b32 exec_lo, exec_lo, s4
	v_cmp_gt_u32_e64 s6, 32, v0
	v_lshlrev_b32_e32 v15, 2, v2
	s_waitcnt lgkmcnt(0)
	s_barrier
	buffer_gl0_inv
	s_and_saveexec_b32 s4, s6
	s_cbranch_execz .LBB13_11
; %bb.10:
	ds_load_b32 v2, v15 offset:256
	v_add_nc_u32_e32 v1, 31, v1
	s_delay_alu instid0(VALU_DEP_1) | instskip(NEXT) | instid1(VALU_DEP_1)
	v_lshrrev_b32_e32 v1, 5, v1
	v_cmp_lt_u32_e32 vcc_lo, v4, v1
	s_waitcnt lgkmcnt(0)
	ds_bpermute_b32 v5, v3, v2
	s_waitcnt lgkmcnt(0)
	v_add_f32_e32 v5, v2, v5
	s_delay_alu instid0(VALU_DEP_1) | instskip(SKIP_4) | instid1(VALU_DEP_1)
	v_cndmask_b32_e32 v2, v2, v5, vcc_lo
	v_cmp_lt_u32_e32 vcc_lo, v8, v1
	ds_bpermute_b32 v5, v6, v2
	s_waitcnt lgkmcnt(0)
	v_add_f32_e32 v5, v2, v5
	v_cndmask_b32_e32 v2, v2, v5, vcc_lo
	v_cmp_lt_u32_e32 vcc_lo, v10, v1
	ds_bpermute_b32 v5, v7, v2
	s_waitcnt lgkmcnt(0)
	v_add_f32_e32 v5, v2, v5
	s_delay_alu instid0(VALU_DEP_1) | instskip(SKIP_4) | instid1(VALU_DEP_1)
	v_cndmask_b32_e32 v2, v2, v5, vcc_lo
	v_cmp_lt_u32_e32 vcc_lo, v12, v1
	ds_bpermute_b32 v5, v9, v2
	s_waitcnt lgkmcnt(0)
	v_add_f32_e32 v5, v2, v5
	v_cndmask_b32_e32 v2, v2, v5, vcc_lo
	v_cmp_lt_u32_e32 vcc_lo, v13, v1
	ds_bpermute_b32 v5, v11, v2
	s_waitcnt lgkmcnt(0)
	v_add_f32_e32 v5, v2, v5
	s_delay_alu instid0(VALU_DEP_1)
	v_cndmask_b32_e32 v5, v2, v5, vcc_lo
.LBB13_11:
	s_or_b32 exec_lo, exec_lo, s4
	v_cmp_eq_u32_e64 s4, 0, v0
	s_mov_b32 s25, 0
	s_delay_alu instid0(VALU_DEP_1)
	s_and_saveexec_b32 s7, s4
	s_cbranch_execz .LBB13_13
; %bb.12:
	v_cvt_f32_i32_e32 v1, s21
	s_delay_alu instid0(VALU_DEP_1) | instskip(SKIP_1) | instid1(VALU_DEP_2)
	v_div_scale_f32 v2, null, v1, v1, v5
	v_div_scale_f32 v18, vcc_lo, v5, v1, v5
	v_rcp_f32_e32 v16, v2
	s_waitcnt_depctr 0xfff
	v_fma_f32 v17, -v2, v16, 1.0
	s_delay_alu instid0(VALU_DEP_1) | instskip(NEXT) | instid1(VALU_DEP_1)
	v_fmac_f32_e32 v16, v17, v16
	v_mul_f32_e32 v17, v18, v16
	s_delay_alu instid0(VALU_DEP_1) | instskip(NEXT) | instid1(VALU_DEP_1)
	v_fma_f32 v19, -v2, v17, v18
	v_fmac_f32_e32 v17, v19, v16
	s_delay_alu instid0(VALU_DEP_1) | instskip(NEXT) | instid1(VALU_DEP_1)
	v_fma_f32 v2, -v2, v17, v18
	v_div_fmas_f32 v2, v2, v16, v17
	s_delay_alu instid0(VALU_DEP_1) | instskip(NEXT) | instid1(VALU_DEP_1)
	v_div_fixup_f32 v1, v2, v1, v5
	v_add_f32_e32 v1, s20, v1
	s_delay_alu instid0(VALU_DEP_1) | instskip(SKIP_1) | instid1(VALU_DEP_2)
	v_mul_f32_e32 v2, 0x4b800000, v1
	v_cmp_gt_f32_e32 vcc_lo, 0x800000, v1
	v_cndmask_b32_e32 v1, v1, v2, vcc_lo
	s_delay_alu instid0(VALU_DEP_1) | instskip(SKIP_2) | instid1(VALU_DEP_1)
	v_rsq_f32_e32 v1, v1
	s_waitcnt_depctr 0xfff
	v_mul_f32_e32 v2, 0x45800000, v1
	v_dual_cndmask_b32 v1, v1, v2 :: v_dual_mov_b32 v2, 0
	ds_store_b32 v2, v1 offset:520
.LBB13_13:
	s_or_b32 exec_lo, exec_lo, s7
	v_mov_b32_e32 v1, 0
	s_waitcnt lgkmcnt(0)
	s_barrier
	buffer_gl0_inv
                                        ; implicit-def: $sgpr7
                                        ; implicit-def: $sgpr8_sgpr9
	ds_load_b32 v5, v1 offset:520
	s_waitcnt lgkmcnt(0)
	s_barrier
	buffer_gl0_inv
	s_and_saveexec_b32 s10, s3
	s_delay_alu instid0(SALU_CYCLE_1)
	s_xor_b32 s3, exec_lo, s10
; %bb.14:
	s_add_u32 s8, s0, 64
	s_addc_u32 s9, s1, 0
	s_mov_b32 s7, 0
; %bb.15:
	s_or_saveexec_b32 s3, s3
	v_dual_mov_b32 v16, s7 :: v_dual_mov_b32 v1, s8
	v_mov_b32_e32 v2, s9
	s_mul_hi_u32 s11, s21, s24
	s_mul_i32 s30, s21, s24
	s_mul_hi_u32 s23, s22, s24
	s_mul_i32 s34, s22, s24
	s_xor_b32 exec_lo, exec_lo, s3
	s_cbranch_execz .LBB13_19
; %bb.16:
	s_load_b32 s36, s[0:1], 0x4c
	s_ashr_i32 s8, s22, 31
	s_ashr_i32 s7, s21, 31
	s_mul_i32 s8, s8, s24
	s_mul_i32 s7, s7, s24
	s_add_i32 s35, s23, s8
	s_add_i32 s31, s11, s7
	s_lshl_b64 s[8:9], s[34:35], 1
	v_dual_mov_b32 v2, 0 :: v_dual_mov_b32 v1, v0
	s_add_u32 s7, s16, s8
	s_addc_u32 s10, s17, s9
	s_lshl_b64 s[8:9], s[30:31], 1
	v_mov_b32_e32 v16, 0
	s_add_u32 s31, s28, s8
	s_addc_u32 s33, s29, s9
	s_add_u32 s8, s0, 64
	s_addc_u32 s9, s1, 0
	s_mov_b32 s35, 0
	s_waitcnt lgkmcnt(0)
	s_and_b32 s36, s36, 0xffff
.LBB13_17:                              ; =>This Inner Loop Header: Depth=1
	v_lshlrev_b64 v[17:18], 1, v[1:2]
	s_delay_alu instid0(VALU_DEP_2) | instskip(NEXT) | instid1(VALU_DEP_2)
	v_dual_max_f32 v16, v16, v16 :: v_dual_add_nc_u32 v1, s36, v1
	v_add_co_u32 v19, vcc_lo, s31, v17
	s_delay_alu instid0(VALU_DEP_3)
	v_add_co_ci_u32_e32 v20, vcc_lo, s33, v18, vcc_lo
	v_add_co_u32 v21, vcc_lo, s7, v17
	v_add_co_ci_u32_e32 v22, vcc_lo, s10, v18, vcc_lo
	v_add_co_u32 v17, vcc_lo, s18, v17
	global_load_u16 v19, v[19:20], off
	global_load_u16 v20, v[21:22], off
	v_add_co_ci_u32_e32 v18, vcc_lo, s19, v18, vcc_lo
	global_load_u16 v17, v[17:18], off
	s_waitcnt vmcnt(2)
	v_lshlrev_b32_e32 v18, 16, v19
	s_waitcnt vmcnt(1)
	v_lshlrev_b32_e32 v19, 16, v20
	s_delay_alu instid0(VALU_DEP_1) | instskip(NEXT) | instid1(VALU_DEP_1)
	v_add_f32_e32 v18, v19, v18
	v_mul_f32_e32 v18, v5, v18
	s_delay_alu instid0(VALU_DEP_1) | instskip(SKIP_1) | instid1(VALU_DEP_2)
	v_bfe_u32 v19, v18, 16, 1
	v_cmp_o_f32_e32 vcc_lo, v18, v18
	v_add3_u32 v19, v18, v19, 0x7fff
	s_delay_alu instid0(VALU_DEP_1) | instskip(SKIP_1) | instid1(VALU_DEP_1)
	v_and_b32_e32 v19, 0xffff0000, v19
	s_waitcnt vmcnt(0)
	v_dual_cndmask_b32 v18, 0x7fc00000, v19 :: v_dual_lshlrev_b32 v17, 16, v17
	s_delay_alu instid0(VALU_DEP_1) | instskip(NEXT) | instid1(VALU_DEP_1)
	v_mul_f32_e32 v17, v18, v17
	v_bfe_u32 v18, v17, 16, 1
	s_delay_alu instid0(VALU_DEP_1) | instskip(NEXT) | instid1(VALU_DEP_1)
	v_add3_u32 v18, v17, v18, 0x7fff
	v_and_b32_e32 v18, 0xffff0000, v18
	v_cmp_o_f32_e32 vcc_lo, v17, v17
	s_delay_alu instid0(VALU_DEP_2) | instskip(SKIP_1) | instid1(VALU_DEP_2)
	v_cndmask_b32_e64 v17, 0x7fc00000, |v18|, vcc_lo
	v_cmp_le_u32_e32 vcc_lo, s21, v1
	v_max_f32_e32 v17, v17, v17
	s_or_b32 s35, vcc_lo, s35
	s_delay_alu instid0(VALU_DEP_1)
	v_max_f32_e32 v16, v16, v17
	s_and_not1_b32 exec_lo, exec_lo, s35
	s_cbranch_execnz .LBB13_17
; %bb.18:
	s_or_b32 exec_lo, exec_lo, s35
	v_dual_mov_b32 v1, s8 :: v_dual_mov_b32 v2, s9
.LBB13_19:
	s_or_b32 exec_lo, exec_lo, s3
	global_load_b32 v17, v[1:2], off
	s_waitcnt vmcnt(0)
	v_cmp_lt_u32_e32 vcc_lo, s24, v17
	v_cndmask_b32_e64 v17, 18, 12, vcc_lo
	s_delay_alu instid0(VALU_DEP_1)
	v_add_co_u32 v1, vcc_lo, v1, v17
	v_add_co_ci_u32_e32 v2, vcc_lo, 0, v2, vcc_lo
	global_load_u16 v1, v[1:2], off
	ds_bpermute_b32 v2, v3, v16
	s_waitcnt lgkmcnt(0)
	v_cmp_lt_f32_e32 vcc_lo, v16, v2
	v_cndmask_b32_e32 v2, v16, v2, vcc_lo
	s_waitcnt vmcnt(0)
	v_sub_nc_u32_e64 v14, v1, v14 clamp
	s_delay_alu instid0(VALU_DEP_1)
	v_cmp_lt_u32_e32 vcc_lo, v4, v14
	v_cmp_lt_u32_e64 s9, v13, v14
	v_cndmask_b32_e32 v2, v16, v2, vcc_lo
	ds_bpermute_b32 v17, v6, v2
	s_waitcnt lgkmcnt(0)
	v_cmp_lt_f32_e64 s3, v2, v17
	s_delay_alu instid0(VALU_DEP_1) | instskip(SKIP_1) | instid1(VALU_DEP_1)
	v_cndmask_b32_e64 v17, v2, v17, s3
	v_cmp_lt_u32_e64 s3, v8, v14
	v_cndmask_b32_e64 v2, v2, v17, s3
	s_or_b32 s3, vcc_lo, s3
	ds_bpermute_b32 v17, v7, v2
	s_waitcnt lgkmcnt(0)
	v_cmp_lt_f32_e64 s7, v2, v17
	s_delay_alu instid0(VALU_DEP_1) | instskip(SKIP_1) | instid1(VALU_DEP_1)
	v_cndmask_b32_e64 v17, v2, v17, s7
	v_cmp_lt_u32_e64 s7, v10, v14
	v_cndmask_b32_e64 v2, v2, v17, s7
	s_or_b32 s3, s7, s3
	ds_bpermute_b32 v17, v9, v2
	s_waitcnt lgkmcnt(0)
	v_cmp_lt_f32_e64 s8, v2, v17
	s_delay_alu instid0(VALU_DEP_1) | instskip(SKIP_1) | instid1(VALU_DEP_1)
	v_cndmask_b32_e64 v17, v2, v17, s8
	v_cmp_lt_u32_e64 s8, v12, v14
	v_cndmask_b32_e64 v2, v2, v17, s8
	s_or_b32 s3, s8, s3
	ds_bpermute_b32 v17, v11, v2
	s_waitcnt lgkmcnt(0)
	v_cmp_lt_f32_e64 s10, v2, v17
	s_delay_alu instid0(VALU_DEP_1) | instskip(SKIP_2) | instid1(VALU_DEP_1)
	s_and_b32 vcc_lo, s9, s10
	v_cndmask_b32_e32 v2, v2, v17, vcc_lo
	s_or_b32 vcc_lo, s9, s3
	v_cndmask_b32_e32 v2, v16, v2, vcc_lo
	s_and_saveexec_b32 s3, s5
	s_cbranch_execz .LBB13_21
; %bb.20:
	v_lshrrev_b32_e32 v14, 3, v0
	s_delay_alu instid0(VALU_DEP_1)
	v_and_b32_e32 v14, 0x7c, v14
	ds_store_b32 v14, v2 offset:384
.LBB13_21:
	s_or_b32 exec_lo, exec_lo, s3
	s_waitcnt lgkmcnt(0)
	s_barrier
	buffer_gl0_inv
	s_and_saveexec_b32 s9, s6
	s_cbranch_execz .LBB13_23
; %bb.22:
	ds_load_b32 v2, v15 offset:384
	v_add_nc_u32_e32 v1, 31, v1
	s_delay_alu instid0(VALU_DEP_1) | instskip(NEXT) | instid1(VALU_DEP_1)
	v_lshrrev_b32_e32 v1, 5, v1
	v_cmp_lt_u32_e64 s7, v13, v1
	s_waitcnt lgkmcnt(0)
	ds_bpermute_b32 v3, v3, v2
	s_waitcnt lgkmcnt(0)
	v_cmp_lt_f32_e32 vcc_lo, v2, v3
	v_cndmask_b32_e32 v3, v2, v3, vcc_lo
	v_cmp_lt_u32_e32 vcc_lo, v4, v1
	s_delay_alu instid0(VALU_DEP_2) | instskip(SKIP_3) | instid1(VALU_DEP_1)
	v_cndmask_b32_e32 v3, v2, v3, vcc_lo
	ds_bpermute_b32 v4, v6, v3
	s_waitcnt lgkmcnt(0)
	v_cmp_lt_f32_e64 s3, v3, v4
	v_cndmask_b32_e64 v4, v3, v4, s3
	v_cmp_lt_u32_e64 s3, v8, v1
	s_delay_alu instid0(VALU_DEP_1) | instskip(SKIP_4) | instid1(VALU_DEP_1)
	v_cndmask_b32_e64 v3, v3, v4, s3
	s_or_b32 s3, vcc_lo, s3
	ds_bpermute_b32 v4, v7, v3
	s_waitcnt lgkmcnt(0)
	v_cmp_lt_f32_e64 s5, v3, v4
	v_cndmask_b32_e64 v4, v3, v4, s5
	v_cmp_lt_u32_e64 s5, v10, v1
	s_delay_alu instid0(VALU_DEP_1) | instskip(SKIP_4) | instid1(VALU_DEP_1)
	v_cndmask_b32_e64 v3, v3, v4, s5
	s_or_b32 s3, s5, s3
	ds_bpermute_b32 v4, v9, v3
	s_waitcnt lgkmcnt(0)
	v_cmp_lt_f32_e64 s6, v3, v4
	v_cndmask_b32_e64 v4, v3, v4, s6
	v_cmp_lt_u32_e64 s6, v12, v1
	s_delay_alu instid0(VALU_DEP_1) | instskip(SKIP_4) | instid1(VALU_DEP_1)
	v_cndmask_b32_e64 v3, v3, v4, s6
	s_or_b32 s3, s6, s3
	ds_bpermute_b32 v4, v11, v3
	s_waitcnt lgkmcnt(0)
	v_cmp_lt_f32_e64 s8, v3, v4
	s_and_b32 vcc_lo, s7, s8
	v_cndmask_b32_e32 v1, v3, v4, vcc_lo
	s_or_b32 vcc_lo, s7, s3
	s_delay_alu instid0(VALU_DEP_1)
	v_cndmask_b32_e32 v2, v2, v1, vcc_lo
.LBB13_23:
	s_or_b32 exec_lo, exec_lo, s9
	s_and_saveexec_b32 s3, s4
	s_cbranch_execz .LBB13_27
; %bb.24:
	s_cmp_eq_u64 s[26:27], 0
	s_cbranch_scc1 .LBB13_26
; %bb.25:
	s_load_b32 s4, s[26:27], 0x0
	v_max_f32_e32 v1, v2, v2
	s_waitcnt lgkmcnt(0)
	v_max_f32_e64 v2, s4, s4
	s_delay_alu instid0(VALU_DEP_1)
	v_min_f32_e32 v2, v1, v2
.LBB13_26:
	s_delay_alu instid0(VALU_DEP_1) | instskip(SKIP_2) | instid1(VALU_DEP_2)
	v_div_scale_f32 v1, null, 0x43600000, 0x43600000, v2
	v_div_scale_f32 v6, vcc_lo, v2, 0x43600000, v2
	s_lshl_b64 s[4:5], s[24:25], 2
	v_rcp_f32_e32 v3, v1
	s_add_u32 s4, s14, s4
	s_addc_u32 s5, s15, s5
	s_waitcnt_depctr 0xfff
	v_fma_f32 v4, -v1, v3, 1.0
	s_delay_alu instid0(VALU_DEP_1) | instskip(NEXT) | instid1(VALU_DEP_1)
	v_fmac_f32_e32 v3, v4, v3
	v_mul_f32_e32 v4, v6, v3
	s_delay_alu instid0(VALU_DEP_1) | instskip(NEXT) | instid1(VALU_DEP_1)
	v_fma_f32 v7, -v1, v4, v6
	v_fmac_f32_e32 v4, v7, v3
	s_delay_alu instid0(VALU_DEP_1) | instskip(NEXT) | instid1(VALU_DEP_1)
	v_fma_f32 v1, -v1, v4, v6
	v_div_fmas_f32 v1, v1, v3, v4
	s_delay_alu instid0(VALU_DEP_1) | instskip(NEXT) | instid1(VALU_DEP_1)
	v_div_fixup_f32 v1, v1, 0x43600000, v2
	v_dual_mov_b32 v2, 0 :: v_dual_max_f32 v1, 0x37124925, v1
	ds_store_b32 v2, v1 offset:524
	global_store_b32 v2, v1, s[4:5]
.LBB13_27:
	s_or_b32 exec_lo, exec_lo, s3
	s_waitcnt lgkmcnt(0)
	s_waitcnt_vscnt null, 0x0
	s_barrier
	buffer_gl0_inv
	s_and_saveexec_b32 s3, s2
	s_cbranch_execz .LBB13_38
; %bb.28:
	v_dual_mov_b32 v2, 0 :: v_dual_mov_b32 v1, v0
	s_load_b32 s2, s[0:1], 0x4c
	s_ashr_i32 s4, s22, 31
	s_ashr_i32 s5, s21, 31
	ds_load_b32 v6, v2 offset:524
	s_mul_i32 s4, s4, s24
	s_mul_i32 s5, s5, s24
	s_add_i32 s35, s23, s4
	s_add_i32 s4, s11, s5
	s_lshl_b64 s[6:7], s[34:35], 1
	s_mov_b32 s8, 0
	s_add_u32 s5, s16, s6
	s_addc_u32 s6, s17, s7
	s_mov_b32 s9, 0x43600000
	s_waitcnt lgkmcnt(0)
	s_and_b32 s7, s2, 0xffff
	s_branch .LBB13_31
.LBB13_29:                              ;   in Loop: Header=BB13_31 Depth=1
	s_or_b32 exec_lo, exec_lo, s11
.LBB13_30:                              ;   in Loop: Header=BB13_31 Depth=1
	s_delay_alu instid0(SALU_CYCLE_1) | instskip(SKIP_2) | instid1(VALU_DEP_1)
	s_or_b32 exec_lo, exec_lo, s2
	v_add_nc_u32_e32 v1, s7, v1
	v_add_co_u32 v3, s2, s12, v3
	v_add_co_ci_u32_e64 v4, s2, s13, v4, s2
	s_delay_alu instid0(VALU_DEP_3) | instskip(SKIP_2) | instid1(SALU_CYCLE_1)
	v_cmp_le_u32_e32 vcc_lo, s21, v1
	global_store_b8 v[3:4], v9, off
	s_or_b32 s8, vcc_lo, s8
	s_and_not1_b32 exec_lo, exec_lo, s8
	s_cbranch_execz .LBB13_38
.LBB13_31:                              ; =>This Inner Loop Header: Depth=1
	v_add_co_u32 v3, s2, s30, v1
	s_delay_alu instid0(VALU_DEP_1) | instskip(SKIP_2) | instid1(VALU_DEP_2)
	v_add_co_ci_u32_e64 v4, null, s4, 0, s2
	v_lshlrev_b64 v[7:8], 1, v[1:2]
	s_mov_b32 s2, exec_lo
	v_lshlrev_b64 v[9:10], 1, v[3:4]
	s_delay_alu instid0(VALU_DEP_2) | instskip(NEXT) | instid1(VALU_DEP_3)
	v_add_co_u32 v11, vcc_lo, s5, v7
	v_add_co_ci_u32_e32 v12, vcc_lo, s6, v8, vcc_lo
	s_delay_alu instid0(VALU_DEP_3) | instskip(NEXT) | instid1(VALU_DEP_4)
	v_add_co_u32 v13, vcc_lo, s28, v9
	v_add_co_ci_u32_e32 v14, vcc_lo, s29, v10, vcc_lo
	v_add_co_u32 v7, vcc_lo, s18, v7
	global_load_u16 v9, v[11:12], off
	global_load_u16 v10, v[13:14], off
	v_add_co_ci_u32_e32 v8, vcc_lo, s19, v8, vcc_lo
	global_load_u16 v7, v[7:8], off
	s_waitcnt vmcnt(2)
	v_lshlrev_b32_e32 v8, 16, v9
	s_waitcnt vmcnt(1)
	v_lshlrev_b32_e32 v9, 16, v10
	s_delay_alu instid0(VALU_DEP_1) | instskip(SKIP_1) | instid1(VALU_DEP_1)
	v_add_f32_e32 v9, v8, v9
	s_waitcnt vmcnt(0)
	v_dual_mul_f32 v8, v5, v9 :: v_dual_lshlrev_b32 v7, 16, v7
	s_delay_alu instid0(VALU_DEP_1) | instskip(SKIP_1) | instid1(VALU_DEP_2)
	v_bfe_u32 v10, v8, 16, 1
	v_cmp_o_f32_e32 vcc_lo, v8, v8
	v_add3_u32 v10, v8, v10, 0x7fff
	s_delay_alu instid0(VALU_DEP_1) | instskip(NEXT) | instid1(VALU_DEP_1)
	v_and_b32_e32 v10, 0xffff0000, v10
	v_cndmask_b32_e32 v8, 0x7fc00000, v10, vcc_lo
	s_delay_alu instid0(VALU_DEP_1) | instskip(NEXT) | instid1(VALU_DEP_1)
	v_mul_f32_e32 v7, v8, v7
	v_bfe_u32 v8, v7, 16, 1
	s_delay_alu instid0(VALU_DEP_1) | instskip(NEXT) | instid1(VALU_DEP_1)
	v_add3_u32 v8, v7, v8, 0x7fff
	v_and_b32_e32 v8, 0xffff0000, v8
	v_cmp_o_f32_e32 vcc_lo, v7, v7
	s_delay_alu instid0(VALU_DEP_2) | instskip(NEXT) | instid1(VALU_DEP_1)
	v_cndmask_b32_e32 v7, 0x7fc00000, v8, vcc_lo
	v_div_scale_f32 v8, null, v6, v6, v7
	s_delay_alu instid0(VALU_DEP_1) | instskip(SKIP_2) | instid1(VALU_DEP_1)
	v_rcp_f32_e32 v10, v8
	s_waitcnt_depctr 0xfff
	v_fma_f32 v11, -v8, v10, 1.0
	v_fmac_f32_e32 v10, v11, v10
	v_div_scale_f32 v12, vcc_lo, v7, v6, v7
	s_delay_alu instid0(VALU_DEP_1) | instskip(NEXT) | instid1(VALU_DEP_1)
	v_mul_f32_e32 v11, v12, v10
	v_fma_f32 v15, -v8, v11, v12
	s_delay_alu instid0(VALU_DEP_1) | instskip(NEXT) | instid1(VALU_DEP_1)
	v_fmac_f32_e32 v11, v15, v10
	v_fma_f32 v8, -v8, v11, v12
	s_delay_alu instid0(VALU_DEP_1) | instskip(SKIP_2) | instid1(VALU_DEP_3)
	v_div_fmas_f32 v8, v8, v10, v11
	v_bfe_u32 v10, v9, 16, 1
	v_cmp_o_f32_e32 vcc_lo, v9, v9
	v_div_fixup_f32 v7, v8, v6, v7
	s_delay_alu instid0(VALU_DEP_3) | instskip(SKIP_1) | instid1(VALU_DEP_3)
	v_add3_u32 v8, v9, v10, 0x7fff
	v_mov_b32_e32 v9, 0x80
	v_minmax_f32 v7, v7, s9, 0xc3600000
	s_delay_alu instid0(VALU_DEP_3) | instskip(NEXT) | instid1(VALU_DEP_2)
	v_lshrrev_b32_e32 v10, 16, v8
	v_and_b32_e32 v8, 0x7fffffff, v7
	s_delay_alu instid0(VALU_DEP_2)
	v_cndmask_b32_e32 v10, 0x7fc0, v10, vcc_lo
	global_store_b16 v[13:14], v10, off
	v_cmpx_gt_u32_e32 0x43800000, v8
	s_cbranch_execz .LBB13_30
; %bb.32:                               ;   in Loop: Header=BB13_31 Depth=1
	v_cmp_lt_u32_e32 vcc_lo, 0x3bffffff, v8
	s_mov_b32 s10, 0
                                        ; implicit-def: $vgpr8
	s_and_saveexec_b32 s11, vcc_lo
	s_delay_alu instid0(SALU_CYCLE_1)
	s_xor_b32 s11, exec_lo, s11
	s_cbranch_execnz .LBB13_35
; %bb.33:                               ;   in Loop: Header=BB13_31 Depth=1
	s_or_saveexec_b32 s11, s11
                                        ; implicit-def: $sgpr23
	s_delay_alu instid0(SALU_CYCLE_1)
	s_xor_b32 exec_lo, exec_lo, s11
	s_cbranch_execnz .LBB13_36
.LBB13_34:                              ;   in Loop: Header=BB13_31 Depth=1
	s_or_b32 exec_lo, exec_lo, s11
	v_mov_b32_e32 v9, s23
	s_and_saveexec_b32 s11, s10
	s_cbranch_execz .LBB13_29
	s_branch .LBB13_37
.LBB13_35:                              ;   in Loop: Header=BB13_31 Depth=1
	v_bfe_u32 v8, v7, 20, 1
	s_mov_b32 s10, exec_lo
	s_delay_alu instid0(VALU_DEP_1) | instskip(NEXT) | instid1(VALU_DEP_1)
	v_add3_u32 v8, v7, v8, 0x487ffff
	v_lshrrev_b32_e32 v8, 20, v8
	s_or_saveexec_b32 s11, s11
                                        ; implicit-def: $sgpr23
	s_delay_alu instid0(SALU_CYCLE_1)
	s_xor_b32 exec_lo, exec_lo, s11
	s_cbranch_execz .LBB13_34
.LBB13_36:                              ;   in Loop: Header=BB13_31 Depth=1
	v_add_f32_e64 v8, 0x46000000, |v7|
	s_and_not1_b32 s10, s10, exec_lo
	s_mov_b32 s23, 0
	s_delay_alu instid0(VALU_DEP_1) | instskip(NEXT) | instid1(VALU_DEP_1)
	v_and_b32_e32 v8, 0xff, v8
	v_cmp_ne_u32_e32 vcc_lo, 0, v8
	s_and_b32 s25, vcc_lo, exec_lo
	s_delay_alu instid0(SALU_CYCLE_1)
	s_or_b32 s10, s10, s25
	s_or_b32 exec_lo, exec_lo, s11
	v_mov_b32_e32 v9, s23
	s_and_saveexec_b32 s11, s10
	s_cbranch_execz .LBB13_29
.LBB13_37:                              ;   in Loop: Header=BB13_31 Depth=1
	v_lshrrev_b32_e32 v7, 24, v7
	s_delay_alu instid0(VALU_DEP_1)
	v_and_or_b32 v9, 0x80, v7, v8
	s_branch .LBB13_29
.LBB13_38:
	s_or_b32 exec_lo, exec_lo, s3
	s_branch .LBB13_211
.LBB13_39:
	s_cbranch_execz .LBB13_211
; %bb.40:
	s_ashr_i32 s2, s22, 31
	s_mul_hi_u32 s3, s22, s24
	s_mul_i32 s2, s2, s24
	s_ashr_i32 s4, s21, 31
	s_add_i32 s5, s3, s2
	s_load_b32 s3, s[0:1], 0x40
	s_mul_i32 s6, s4, s24
	s_mul_i32 s4, s22, s24
	s_mul_hi_u32 s2, s21, s24
	s_lshl_b64 s[4:5], s[4:5], 1
	s_add_i32 s11, s2, s6
	s_mul_i32 s10, s21, s24
	s_add_u32 s9, s16, s4
	s_addc_u32 s16, s17, s5
	s_lshl_b64 s[4:5], s[10:11], 1
	v_mov_b32_e32 v7, 0
	s_add_u32 s17, s28, s4
	s_addc_u32 s22, s29, s5
	s_ashr_i32 s23, s21, 2
	s_add_u32 s0, s0, 64
	v_cmp_gt_u32_e64 s2, s23, v0
	s_mov_b32 s25, 0
	s_addc_u32 s1, s1, 0
	s_delay_alu instid0(VALU_DEP_1)
	s_and_saveexec_b32 s4, s2
	s_cbranch_execz .LBB13_50
; %bb.41:
	s_waitcnt lgkmcnt(0)
	s_cmp_lt_u32 s24, s3
	v_mov_b32_e32 v2, 0
	s_cselect_b32 s5, 12, 18
	v_mov_b32_e32 v1, v0
	s_add_u32 s6, s0, s5
	s_addc_u32 s7, s1, 0
	s_mov_b32 s5, s25
	global_load_u16 v6, v2, s[6:7]
                                        ; implicit-def: $sgpr6
	s_waitcnt vmcnt(0)
	v_lshlrev_b32_e32 v9, 1, v6
	v_mul_lo_u32 v8, v6, 3
	v_add_nc_u32_e32 v10, v6, v6
	v_mov_b32_e32 v7, v2
	s_branch .LBB13_45
.LBB13_42:                              ;   in Loop: Header=BB13_45 Depth=1
	s_or_b32 exec_lo, exec_lo, s28
	s_delay_alu instid0(SALU_CYCLE_1)
	s_or_not1_b32 s28, s29, exec_lo
.LBB13_43:                              ;   in Loop: Header=BB13_45 Depth=1
	s_or_b32 exec_lo, exec_lo, s8
	s_delay_alu instid0(SALU_CYCLE_1) | instskip(SKIP_1) | instid1(SALU_CYCLE_1)
	s_and_not1_b32 s6, s6, exec_lo
	s_and_b32 s8, s28, exec_lo
	s_or_b32 s6, s6, s8
.LBB13_44:                              ;   in Loop: Header=BB13_45 Depth=1
	s_or_b32 exec_lo, exec_lo, s7
	s_delay_alu instid0(SALU_CYCLE_1) | instskip(NEXT) | instid1(SALU_CYCLE_1)
	s_and_b32 s7, exec_lo, s6
	s_or_b32 s5, s7, s5
	s_delay_alu instid0(SALU_CYCLE_1)
	s_and_not1_b32 exec_lo, exec_lo, s5
	s_cbranch_execz .LBB13_49
.LBB13_45:                              ; =>This Inner Loop Header: Depth=1
	v_lshlrev_b64 v[3:4], 3, v[1:2]
	s_or_b32 s6, s6, exec_lo
	s_mov_b32 s7, exec_lo
	s_delay_alu instid0(VALU_DEP_1) | instskip(NEXT) | instid1(VALU_DEP_2)
	v_add_co_u32 v11, vcc_lo, s9, v3
	v_add_co_ci_u32_e32 v12, vcc_lo, s16, v4, vcc_lo
	v_add_co_u32 v3, vcc_lo, s17, v3
	v_add_co_ci_u32_e32 v4, vcc_lo, s22, v4, vcc_lo
	global_load_b64 v[11:12], v[11:12], off
	global_load_b64 v[3:4], v[3:4], off
	s_waitcnt vmcnt(1)
	v_lshlrev_b32_e32 v5, 16, v11
	s_waitcnt vmcnt(0)
	v_lshlrev_b32_e32 v13, 16, v3
	v_and_b32_e32 v14, 0xffff0000, v11
	v_alignbit_b32 v11, v12, v11, 16
	v_and_b32_e32 v15, 0xffff0000, v3
	v_alignbit_b32 v3, v4, v3, 16
	v_dual_add_f32 v5, v5, v13 :: v_dual_and_b32 v4, 0xffff0000, v4
	s_delay_alu instid0(VALU_DEP_4) | instskip(NEXT) | instid1(VALU_DEP_4)
	v_and_b32_e32 v11, 0xffff0000, v11
	v_add_f32_e32 v13, v14, v15
	s_delay_alu instid0(VALU_DEP_4) | instskip(NEXT) | instid1(VALU_DEP_4)
	v_and_b32_e32 v3, 0xffff0000, v3
	v_fmac_f32_e32 v7, v5, v5
	v_and_b32_e32 v5, 0xffff0000, v12
	s_delay_alu instid0(VALU_DEP_3) | instskip(NEXT) | instid1(VALU_DEP_3)
	v_add_f32_e32 v3, v11, v3
	v_fmac_f32_e32 v7, v13, v13
	s_delay_alu instid0(VALU_DEP_1) | instskip(SKIP_1) | instid1(VALU_DEP_2)
	v_dual_add_f32 v4, v5, v4 :: v_dual_fmac_f32 v7, v3, v3
	v_add_nc_u32_e32 v3, v1, v6
	v_fmac_f32_e32 v7, v4, v4
	s_delay_alu instid0(VALU_DEP_2)
	v_cmpx_gt_u32_e64 s23, v3
	s_cbranch_execz .LBB13_44
; %bb.46:                               ;   in Loop: Header=BB13_45 Depth=1
	v_mov_b32_e32 v4, v2
	s_mov_b32 s28, -1
	s_mov_b32 s8, exec_lo
	s_delay_alu instid0(VALU_DEP_1) | instskip(NEXT) | instid1(VALU_DEP_1)
	v_lshlrev_b64 v[4:5], 3, v[3:4]
	v_add_co_u32 v11, vcc_lo, s9, v4
	s_delay_alu instid0(VALU_DEP_2)
	v_add_co_ci_u32_e32 v12, vcc_lo, s16, v5, vcc_lo
	v_add_co_u32 v4, vcc_lo, s17, v4
	v_add_co_ci_u32_e32 v5, vcc_lo, s22, v5, vcc_lo
	global_load_b64 v[11:12], v[11:12], off
	global_load_b64 v[4:5], v[4:5], off
	s_waitcnt vmcnt(1)
	v_lshlrev_b32_e32 v13, 16, v11
	s_waitcnt vmcnt(0)
	v_lshlrev_b32_e32 v14, 16, v4
	v_and_b32_e32 v16, 0xffff0000, v4
	v_alignbit_b32 v4, v5, v4, 16
	v_and_b32_e32 v5, 0xffff0000, v5
	s_delay_alu instid0(VALU_DEP_4) | instskip(NEXT) | instid1(VALU_DEP_1)
	v_add_f32_e32 v13, v13, v14
	v_dual_fmac_f32 v7, v13, v13 :: v_dual_and_b32 v4, 0xffff0000, v4
	v_and_b32_e32 v15, 0xffff0000, v11
	v_alignbit_b32 v11, v12, v11, 16
	s_delay_alu instid0(VALU_DEP_1) | instskip(NEXT) | instid1(VALU_DEP_1)
	v_and_b32_e32 v11, 0xffff0000, v11
	v_add_f32_e32 v4, v11, v4
	s_delay_alu instid0(VALU_DEP_4) | instskip(NEXT) | instid1(VALU_DEP_1)
	v_add_f32_e32 v14, v15, v16
	v_fmac_f32_e32 v7, v14, v14
	s_delay_alu instid0(VALU_DEP_1) | instskip(SKIP_1) | instid1(VALU_DEP_1)
	v_dual_fmac_f32 v7, v4, v4 :: v_dual_add_nc_u32 v4, v9, v1
	v_and_b32_e32 v12, 0xffff0000, v12
	v_add_f32_e32 v5, v12, v5
	s_delay_alu instid0(VALU_DEP_1) | instskip(NEXT) | instid1(VALU_DEP_4)
	v_fmac_f32_e32 v7, v5, v5
	v_cmpx_gt_u32_e64 s23, v4
	s_cbranch_execz .LBB13_43
; %bb.47:                               ;   in Loop: Header=BB13_45 Depth=1
	v_mov_b32_e32 v5, v2
	v_add_nc_u32_e32 v1, v8, v1
	s_mov_b32 s29, -1
	s_mov_b32 s28, exec_lo
	s_delay_alu instid0(VALU_DEP_2) | instskip(NEXT) | instid1(VALU_DEP_1)
	v_lshlrev_b64 v[4:5], 3, v[4:5]
	v_add_co_u32 v11, vcc_lo, s9, v4
	s_delay_alu instid0(VALU_DEP_2)
	v_add_co_ci_u32_e32 v12, vcc_lo, s16, v5, vcc_lo
	v_add_co_u32 v4, vcc_lo, s17, v4
	v_add_co_ci_u32_e32 v5, vcc_lo, s22, v5, vcc_lo
	global_load_b64 v[11:12], v[11:12], off
	global_load_b64 v[4:5], v[4:5], off
	s_waitcnt vmcnt(0)
	v_lshlrev_b32_e32 v14, 16, v4
	v_and_b32_e32 v16, 0xffff0000, v4
	v_alignbit_b32 v4, v5, v4, 16
	v_and_b32_e32 v5, 0xffff0000, v5
	s_delay_alu instid0(VALU_DEP_2) | instskip(SKIP_3) | instid1(VALU_DEP_2)
	v_and_b32_e32 v4, 0xffff0000, v4
	v_and_b32_e32 v15, 0xffff0000, v11
	v_lshlrev_b32_e32 v13, 16, v11
	v_alignbit_b32 v11, v12, v11, 16
	v_add_f32_e32 v13, v13, v14
	s_delay_alu instid0(VALU_DEP_2) | instskip(NEXT) | instid1(VALU_DEP_1)
	v_and_b32_e32 v11, 0xffff0000, v11
	v_dual_fmac_f32 v7, v13, v13 :: v_dual_add_f32 v4, v11, v4
	v_add_f32_e32 v14, v15, v16
	s_delay_alu instid0(VALU_DEP_1) | instskip(NEXT) | instid1(VALU_DEP_1)
	v_dual_fmac_f32 v7, v14, v14 :: v_dual_and_b32 v12, 0xffff0000, v12
	v_add_f32_e32 v5, v12, v5
	s_delay_alu instid0(VALU_DEP_2) | instskip(NEXT) | instid1(VALU_DEP_1)
	v_fmac_f32_e32 v7, v4, v4
	v_fmac_f32_e32 v7, v5, v5
	v_cmpx_gt_u32_e64 s23, v1
	s_xor_b32 s28, exec_lo, s28
	s_cbranch_execz .LBB13_42
; %bb.48:                               ;   in Loop: Header=BB13_45 Depth=1
	v_lshlrev_b64 v[4:5], 3, v[1:2]
	s_delay_alu instid0(VALU_DEP_1) | instskip(NEXT) | instid1(VALU_DEP_2)
	v_add_co_u32 v11, vcc_lo, s9, v4
	v_add_co_ci_u32_e32 v12, vcc_lo, s16, v5, vcc_lo
	v_add_co_u32 v4, vcc_lo, s17, v4
	v_add_co_ci_u32_e32 v5, vcc_lo, s22, v5, vcc_lo
	global_load_b64 v[11:12], v[11:12], off
	global_load_b64 v[4:5], v[4:5], off
	s_waitcnt vmcnt(0)
	v_lshlrev_b32_e32 v13, 16, v4
	v_and_b32_e32 v14, 0xffff0000, v11
	v_alignbit_b32 v15, v5, v4, 16
	v_and_b32_e32 v4, 0xffff0000, v4
	v_lshlrev_b32_e32 v1, 16, v11
	v_alignbit_b32 v11, v12, v11, 16
	s_delay_alu instid0(VALU_DEP_3) | instskip(NEXT) | instid1(VALU_DEP_3)
	v_dual_add_f32 v4, v14, v4 :: v_dual_and_b32 v5, 0xffff0000, v5
	v_add_f32_e32 v1, v1, v13
	s_delay_alu instid0(VALU_DEP_3) | instskip(SKIP_1) | instid1(VALU_DEP_3)
	v_and_b32_e32 v11, 0xffff0000, v11
	v_and_b32_e32 v13, 0xffff0000, v15
	v_dual_fmac_f32 v7, v1, v1 :: v_dual_and_b32 v12, 0xffff0000, v12
	v_add3_u32 v1, v10, v6, v3
	s_delay_alu instid0(VALU_DEP_3) | instskip(NEXT) | instid1(VALU_DEP_3)
	v_add_f32_e32 v11, v11, v13
	v_add_f32_e32 v3, v12, v5
	s_delay_alu instid0(VALU_DEP_4) | instskip(NEXT) | instid1(VALU_DEP_4)
	v_fmac_f32_e32 v7, v4, v4
	v_cmp_le_u32_e32 vcc_lo, s23, v1
	s_delay_alu instid0(VALU_DEP_2) | instskip(SKIP_1) | instid1(VALU_DEP_1)
	v_fmac_f32_e32 v7, v11, v11
	s_or_not1_b32 s29, vcc_lo, exec_lo
	v_fmac_f32_e32 v7, v3, v3
	s_branch .LBB13_42
.LBB13_49:
	s_or_b32 exec_lo, exec_lo, s5
.LBB13_50:
	s_delay_alu instid0(SALU_CYCLE_1)
	s_or_b32 exec_lo, exec_lo, s4
	v_mbcnt_lo_u32_b32 v6, -1, 0
	s_waitcnt lgkmcnt(0)
	s_cmp_lt_u32 s24, s3
	v_and_b32_e32 v4, 0x3e0, v0
	s_cselect_b32 s3, 12, 18
	s_delay_alu instid0(SALU_CYCLE_1)
	s_add_u32 s0, s0, s3
	v_cmp_ne_u32_e32 vcc_lo, 31, v6
	s_addc_u32 s1, s1, 0
	v_add_nc_u32_e32 v9, 1, v6
	v_add_nc_u32_e32 v12, 2, v6
	;; [unrolled: 1-line block ×3, first 2 shown]
	v_add_co_ci_u32_e32 v2, vcc_lo, 0, v6, vcc_lo
	v_mov_b32_e32 v1, 0
	v_cmp_gt_u32_e32 vcc_lo, 30, v6
	v_add_nc_u32_e32 v16, 8, v6
	s_delay_alu instid0(VALU_DEP_4)
	v_lshlrev_b32_e32 v8, 2, v2
	v_add_nc_u32_e32 v17, 16, v6
	global_load_u16 v1, v1, s[0:1]
	v_cndmask_b32_e64 v3, 0, 1, vcc_lo
	v_cmp_gt_u32_e32 vcc_lo, 28, v6
	ds_bpermute_b32 v2, v8, v7
	v_cmp_eq_u32_e64 s6, 0, v6
	v_lshlrev_b32_e32 v3, 1, v3
	v_cndmask_b32_e64 v5, 0, 1, vcc_lo
	v_cmp_gt_u32_e32 vcc_lo, 24, v6
	s_delay_alu instid0(VALU_DEP_2) | instskip(NEXT) | instid1(VALU_DEP_1)
	v_lshlrev_b32_e32 v5, 2, v5
	v_add_lshl_u32 v11, v5, v6, 2
	v_cndmask_b32_e64 v5, 0, 1, vcc_lo
	v_cmp_gt_u32_e32 vcc_lo, 16, v6
	s_waitcnt lgkmcnt(0)
	v_add_f32_e32 v2, v7, v2
	v_add_lshl_u32 v10, v3, v6, 2
	v_lshlrev_b32_e32 v5, 3, v5
	s_delay_alu instid0(VALU_DEP_1) | instskip(SKIP_1) | instid1(VALU_DEP_1)
	v_add_lshl_u32 v13, v5, v6, 2
	v_cndmask_b32_e64 v5, 0, 1, vcc_lo
	v_lshlrev_b32_e32 v5, 4, v5
	s_delay_alu instid0(VALU_DEP_1) | instskip(SKIP_3) | instid1(VALU_DEP_2)
	v_add_lshl_u32 v15, v5, v6, 2
	s_waitcnt vmcnt(0)
	v_sub_nc_u32_e64 v4, v1, v4 clamp
	v_readfirstlane_b32 s28, v1
	v_cmp_lt_u32_e64 s0, v9, v4
	v_cmp_lt_u32_e64 s1, v12, v4
	;; [unrolled: 1-line block ×5, first 2 shown]
	v_cndmask_b32_e64 v2, v7, v2, s0
	ds_bpermute_b32 v3, v10, v2
	s_waitcnt lgkmcnt(0)
	v_add_f32_e32 v3, v2, v3
	s_delay_alu instid0(VALU_DEP_1) | instskip(SKIP_3) | instid1(VALU_DEP_1)
	v_cndmask_b32_e64 v2, v2, v3, s1
	ds_bpermute_b32 v3, v11, v2
	s_waitcnt lgkmcnt(0)
	v_add_f32_e32 v3, v2, v3
	v_cndmask_b32_e64 v2, v2, v3, s3
	ds_bpermute_b32 v3, v13, v2
	s_waitcnt lgkmcnt(0)
	v_add_f32_e32 v3, v2, v3
	s_delay_alu instid0(VALU_DEP_1) | instskip(SKIP_3) | instid1(VALU_DEP_1)
	v_cndmask_b32_e64 v2, v2, v3, s5
	ds_bpermute_b32 v3, v15, v2
	s_waitcnt lgkmcnt(0)
	v_add_f32_e32 v3, v2, v3
	v_cndmask_b32_e64 v1, v2, v3, s8
	s_and_saveexec_b32 s4, s6
	s_cbranch_execz .LBB13_52
; %bb.51:
	v_lshrrev_b32_e32 v2, 3, v0
	s_delay_alu instid0(VALU_DEP_1)
	v_and_b32_e32 v2, 0x7c, v2
	ds_store_b32 v2, v1
.LBB13_52:
	s_or_b32 exec_lo, exec_lo, s4
	v_cmp_gt_u32_e64 s7, 32, v0
	s_waitcnt lgkmcnt(0)
	s_waitcnt_vscnt null, 0x0
	s_barrier
	buffer_gl0_inv
	s_and_saveexec_b32 s4, s7
	s_cbranch_execz .LBB13_54
; %bb.53:
	v_lshlrev_b32_e32 v1, 2, v6
	s_add_i32 s29, s28, 31
	s_delay_alu instid0(SALU_CYCLE_1) | instskip(NEXT) | instid1(SALU_CYCLE_1)
	s_lshr_b32 s29, s29, 5
	v_cmp_gt_u32_e32 vcc_lo, s29, v9
	ds_load_b32 v1, v1
	s_waitcnt lgkmcnt(0)
	ds_bpermute_b32 v2, v8, v1
	s_waitcnt lgkmcnt(0)
	v_add_f32_e32 v2, v1, v2
	s_delay_alu instid0(VALU_DEP_1) | instskip(SKIP_4) | instid1(VALU_DEP_1)
	v_cndmask_b32_e32 v1, v1, v2, vcc_lo
	v_cmp_gt_u32_e32 vcc_lo, s29, v12
	ds_bpermute_b32 v2, v10, v1
	s_waitcnt lgkmcnt(0)
	v_add_f32_e32 v2, v1, v2
	v_cndmask_b32_e32 v1, v1, v2, vcc_lo
	v_cmp_gt_u32_e32 vcc_lo, s29, v14
	ds_bpermute_b32 v2, v11, v1
	s_waitcnt lgkmcnt(0)
	v_add_f32_e32 v2, v1, v2
	s_delay_alu instid0(VALU_DEP_1) | instskip(SKIP_4) | instid1(VALU_DEP_1)
	v_cndmask_b32_e32 v1, v1, v2, vcc_lo
	v_cmp_gt_u32_e32 vcc_lo, s29, v16
	ds_bpermute_b32 v2, v13, v1
	s_waitcnt lgkmcnt(0)
	v_add_f32_e32 v2, v1, v2
	v_cndmask_b32_e32 v1, v1, v2, vcc_lo
	v_cmp_gt_u32_e32 vcc_lo, s29, v17
	ds_bpermute_b32 v2, v15, v1
	s_waitcnt lgkmcnt(0)
	v_add_f32_e32 v2, v1, v2
	s_delay_alu instid0(VALU_DEP_1)
	v_cndmask_b32_e32 v1, v1, v2, vcc_lo
.LBB13_54:
	s_or_b32 exec_lo, exec_lo, s4
	v_cmp_eq_u32_e64 s4, 0, v0
	s_delay_alu instid0(VALU_DEP_1)
	s_and_saveexec_b32 s29, s4
	s_cbranch_execz .LBB13_56
; %bb.55:
	v_cvt_f32_i32_e32 v2, s21
	s_delay_alu instid0(VALU_DEP_1) | instskip(SKIP_1) | instid1(VALU_DEP_2)
	v_div_scale_f32 v3, null, v2, v2, v1
	v_div_scale_f32 v7, vcc_lo, v1, v2, v1
	v_rcp_f32_e32 v4, v3
	s_waitcnt_depctr 0xfff
	v_fma_f32 v5, -v3, v4, 1.0
	s_delay_alu instid0(VALU_DEP_1) | instskip(NEXT) | instid1(VALU_DEP_1)
	v_fmac_f32_e32 v4, v5, v4
	v_mul_f32_e32 v5, v7, v4
	s_delay_alu instid0(VALU_DEP_1) | instskip(NEXT) | instid1(VALU_DEP_1)
	v_fma_f32 v18, -v3, v5, v7
	v_fmac_f32_e32 v5, v18, v4
	s_delay_alu instid0(VALU_DEP_1) | instskip(NEXT) | instid1(VALU_DEP_1)
	v_fma_f32 v3, -v3, v5, v7
	v_div_fmas_f32 v3, v3, v4, v5
	s_delay_alu instid0(VALU_DEP_1) | instskip(NEXT) | instid1(VALU_DEP_1)
	v_div_fixup_f32 v1, v3, v2, v1
	v_add_f32_e32 v1, s20, v1
	s_delay_alu instid0(VALU_DEP_1) | instskip(SKIP_1) | instid1(VALU_DEP_2)
	v_mul_f32_e32 v2, 0x4b800000, v1
	v_cmp_gt_f32_e32 vcc_lo, 0x800000, v1
	v_cndmask_b32_e32 v1, v1, v2, vcc_lo
	s_delay_alu instid0(VALU_DEP_1) | instskip(SKIP_2) | instid1(VALU_DEP_1)
	v_rsq_f32_e32 v1, v1
	s_waitcnt_depctr 0xfff
	v_mul_f32_e32 v2, 0x45800000, v1
	v_dual_cndmask_b32 v1, v1, v2 :: v_dual_mov_b32 v2, 0
	ds_store_b32 v2, v1 offset:512
.LBB13_56:
	s_or_b32 exec_lo, exec_lo, s29
	v_mov_b32_e32 v18, 0
	s_waitcnt lgkmcnt(0)
	s_barrier
	buffer_gl0_inv
	ds_load_b32 v7, v18 offset:512
	s_and_saveexec_b32 s20, s2
	s_cbranch_execz .LBB13_66
; %bb.57:
	v_dual_mov_b32 v2, 0 :: v_dual_mov_b32 v1, v0
	v_mov_b32_e32 v18, 0
	s_mul_i32 s21, s28, 3
	s_lshl_b32 s30, s28, 1
	s_mov_b32 s29, 0
	s_add_i32 s31, s28, s28
                                        ; implicit-def: $sgpr33
	s_branch .LBB13_61
.LBB13_58:                              ;   in Loop: Header=BB13_61 Depth=1
	s_or_b32 exec_lo, exec_lo, s36
	s_delay_alu instid0(SALU_CYCLE_1)
	s_or_not1_b32 s36, s37, exec_lo
.LBB13_59:                              ;   in Loop: Header=BB13_61 Depth=1
	s_or_b32 exec_lo, exec_lo, s35
	s_delay_alu instid0(SALU_CYCLE_1) | instskip(SKIP_1) | instid1(SALU_CYCLE_1)
	s_and_not1_b32 s33, s33, exec_lo
	s_and_b32 s35, s36, exec_lo
	s_or_b32 s33, s33, s35
.LBB13_60:                              ;   in Loop: Header=BB13_61 Depth=1
	s_or_b32 exec_lo, exec_lo, s34
	s_delay_alu instid0(SALU_CYCLE_1) | instskip(NEXT) | instid1(SALU_CYCLE_1)
	s_and_b32 s34, exec_lo, s33
	s_or_b32 s29, s34, s29
	s_delay_alu instid0(SALU_CYCLE_1)
	s_and_not1_b32 exec_lo, exec_lo, s29
	s_cbranch_execz .LBB13_65
.LBB13_61:                              ; =>This Inner Loop Header: Depth=1
	v_lshlrev_b64 v[3:4], 3, v[1:2]
	s_or_b32 s33, s33, exec_lo
	s_mov_b32 s34, exec_lo
	s_delay_alu instid0(VALU_DEP_1) | instskip(NEXT) | instid1(VALU_DEP_2)
	v_add_co_u32 v19, vcc_lo, s9, v3
	v_add_co_ci_u32_e32 v20, vcc_lo, s16, v4, vcc_lo
	v_add_co_u32 v21, vcc_lo, s18, v3
	v_add_co_ci_u32_e32 v22, vcc_lo, s19, v4, vcc_lo
	;; [unrolled: 2-line block ×3, first 2 shown]
	global_load_b64 v[19:20], v[19:20], off
	global_load_b64 v[21:22], v[21:22], off
	;; [unrolled: 1-line block ×3, first 2 shown]
	s_waitcnt vmcnt(0)
	v_lshlrev_b32_e32 v25, 16, v3
	v_and_b32_e32 v26, 0xffff0000, v3
	v_lshlrev_b32_e32 v24, 16, v19
	v_and_b32_e32 v5, 0xffff0000, v19
	v_alignbit_b32 v19, v20, v19, 16
	v_alignbit_b32 v3, v4, v3, 16
	s_delay_alu instid0(VALU_DEP_3) | instskip(SKIP_1) | instid1(VALU_DEP_4)
	v_dual_add_f32 v24, v24, v25 :: v_dual_add_f32 v5, v5, v26
	v_and_b32_e32 v20, 0xffff0000, v20
	v_and_b32_e32 v19, 0xffff0000, v19
	s_delay_alu instid0(VALU_DEP_4)
	v_and_b32_e32 v3, 0xffff0000, v3
	v_and_b32_e32 v4, 0xffff0000, v4
	s_waitcnt lgkmcnt(0)
	v_mul_f32_e32 v24, v7, v24
	v_mul_f32_e32 v5, v7, v5
	v_add_f32_e32 v3, v19, v3
	v_dual_add_f32 v4, v20, v4 :: v_dual_and_b32 v23, 0xffff0000, v21
	v_lshlrev_b32_e32 v20, 16, v21
	v_alignbit_b32 v19, v22, v21, 16
	s_delay_alu instid0(VALU_DEP_4)
	v_mul_f32_e32 v3, v7, v3
	v_bfe_u32 v21, v24, 16, 1
	v_mul_f32_e32 v4, v7, v4
	v_bfe_u32 v25, v5, 16, 1
	v_cmp_o_f32_e32 vcc_lo, v24, v24
	v_bfe_u32 v27, v3, 16, 1
	v_add3_u32 v21, v24, v21, 0x7fff
	v_bfe_u32 v26, v4, 16, 1
	v_add3_u32 v25, v5, v25, 0x7fff
	s_delay_alu instid0(VALU_DEP_4) | instskip(NEXT) | instid1(VALU_DEP_4)
	v_add3_u32 v27, v3, v27, 0x7fff
	v_and_b32_e32 v21, 0xffff0000, v21
	s_delay_alu instid0(VALU_DEP_4) | instskip(NEXT) | instid1(VALU_DEP_4)
	v_add3_u32 v26, v4, v26, 0x7fff
	v_and_b32_e32 v25, 0xffff0000, v25
	s_delay_alu instid0(VALU_DEP_4) | instskip(NEXT) | instid1(VALU_DEP_4)
	v_and_b32_e32 v24, 0xffff0000, v27
	v_cndmask_b32_e32 v21, 0x7fc00000, v21, vcc_lo
	v_cmp_o_f32_e32 vcc_lo, v5, v5
	v_and_b32_e32 v26, 0xffff0000, v26
	s_delay_alu instid0(VALU_DEP_3) | instskip(SKIP_2) | instid1(VALU_DEP_3)
	v_dual_mul_f32 v20, v21, v20 :: v_dual_cndmask_b32 v5, 0x7fc00000, v25
	v_cmp_o_f32_e32 vcc_lo, v4, v4
	v_and_b32_e32 v22, 0xffff0000, v22
	v_bfe_u32 v21, v20, 16, 1
	s_delay_alu instid0(VALU_DEP_4) | instskip(SKIP_2) | instid1(VALU_DEP_4)
	v_dual_mul_f32 v5, v5, v23 :: v_dual_cndmask_b32 v4, 0x7fc00000, v26
	v_cmp_o_f32_e32 vcc_lo, v3, v3
	v_and_b32_e32 v19, 0xffff0000, v19
	v_add3_u32 v21, v20, v21, 0x7fff
	s_delay_alu instid0(VALU_DEP_4) | instskip(SKIP_1) | instid1(VALU_DEP_3)
	v_dual_mul_f32 v4, v4, v22 :: v_dual_cndmask_b32 v3, 0x7fc00000, v24
	v_bfe_u32 v22, v5, 16, 1
	v_and_b32_e32 v21, 0xffff0000, v21
	v_cmp_o_f32_e32 vcc_lo, v20, v20
	s_delay_alu instid0(VALU_DEP_4)
	v_mul_f32_e32 v3, v3, v19
	v_bfe_u32 v19, v4, 16, 1
	v_add3_u32 v22, v5, v22, 0x7fff
	v_cndmask_b32_e64 v20, 0x7fc00000, |v21|, vcc_lo
	v_cmp_o_f32_e32 vcc_lo, v5, v5
	v_bfe_u32 v23, v3, 16, 1
	v_add3_u32 v19, v4, v19, 0x7fff
	v_and_b32_e32 v22, 0xffff0000, v22
	s_delay_alu instid0(VALU_DEP_3) | instskip(NEXT) | instid1(VALU_DEP_3)
	v_add3_u32 v23, v3, v23, 0x7fff
	v_and_b32_e32 v19, 0xffff0000, v19
	s_delay_alu instid0(VALU_DEP_3) | instskip(SKIP_1) | instid1(VALU_DEP_4)
	v_cndmask_b32_e64 v5, 0x7fc00000, |v22|, vcc_lo
	v_cmp_o_f32_e32 vcc_lo, v4, v4
	v_and_b32_e32 v21, 0xffff0000, v23
	s_delay_alu instid0(VALU_DEP_3) | instskip(SKIP_4) | instid1(VALU_DEP_1)
	v_max3_f32 v5, v18, v20, v5
	v_cndmask_b32_e64 v4, 0x7fc00000, |v19|, vcc_lo
	v_cmp_o_f32_e32 vcc_lo, v3, v3
	v_add_nc_u32_e32 v3, s28, v1
	v_cndmask_b32_e64 v18, 0x7fc00000, |v21|, vcc_lo
	v_max3_f32 v18, v5, v18, v4
	s_delay_alu instid0(VALU_DEP_3)
	v_cmpx_gt_u32_e64 s23, v3
	s_cbranch_execz .LBB13_60
; %bb.62:                               ;   in Loop: Header=BB13_61 Depth=1
	v_mov_b32_e32 v4, v2
	s_mov_b32 s36, -1
	s_mov_b32 s35, exec_lo
	s_delay_alu instid0(VALU_DEP_1) | instskip(NEXT) | instid1(VALU_DEP_1)
	v_lshlrev_b64 v[4:5], 3, v[3:4]
	v_add_co_u32 v19, vcc_lo, s9, v4
	s_delay_alu instid0(VALU_DEP_2)
	v_add_co_ci_u32_e32 v20, vcc_lo, s16, v5, vcc_lo
	v_add_co_u32 v21, vcc_lo, s18, v4
	v_add_co_ci_u32_e32 v22, vcc_lo, s19, v5, vcc_lo
	v_add_co_u32 v4, vcc_lo, s17, v4
	v_add_co_ci_u32_e32 v5, vcc_lo, s22, v5, vcc_lo
	global_load_b64 v[19:20], v[19:20], off
	global_load_b64 v[21:22], v[21:22], off
	global_load_b64 v[4:5], v[4:5], off
	s_waitcnt vmcnt(2)
	v_and_b32_e32 v23, 0xffff0000, v19
	s_waitcnt vmcnt(0)
	v_lshlrev_b32_e32 v26, 16, v4
	v_and_b32_e32 v27, 0xffff0000, v4
	v_alignbit_b32 v4, v5, v4, 16
	s_delay_alu instid0(VALU_DEP_1) | instskip(SKIP_2) | instid1(VALU_DEP_3)
	v_dual_add_f32 v23, v23, v27 :: v_dual_and_b32 v4, 0xffff0000, v4
	v_lshlrev_b32_e32 v25, 16, v19
	v_alignbit_b32 v19, v20, v19, 16
	v_dual_mul_f32 v23, v7, v23 :: v_dual_and_b32 v20, 0xffff0000, v20
	s_delay_alu instid0(VALU_DEP_2) | instskip(NEXT) | instid1(VALU_DEP_1)
	v_and_b32_e32 v19, 0xffff0000, v19
	v_dual_add_f32 v4, v19, v4 :: v_dual_and_b32 v5, 0xffff0000, v5
	v_alignbit_b32 v19, v22, v21, 16
	v_and_b32_e32 v22, 0xffff0000, v22
	s_delay_alu instid0(VALU_DEP_3) | instskip(SKIP_3) | instid1(VALU_DEP_4)
	v_dual_mul_f32 v4, v7, v4 :: v_dual_add_f32 v5, v20, v5
	v_dual_add_f32 v25, v25, v26 :: v_dual_and_b32 v24, 0xffff0000, v21
	v_lshlrev_b32_e32 v20, 16, v21
	v_bfe_u32 v26, v23, 16, 1
	v_mul_f32_e32 v5, v7, v5
	v_bfe_u32 v28, v4, 16, 1
	v_mul_f32_e32 v25, v7, v25
	v_and_b32_e32 v19, 0xffff0000, v19
	v_add3_u32 v26, v23, v26, 0x7fff
	v_bfe_u32 v27, v5, 16, 1
	v_add3_u32 v28, v4, v28, 0x7fff
	v_bfe_u32 v21, v25, 16, 1
	v_cmp_o_f32_e32 vcc_lo, v25, v25
	v_and_b32_e32 v26, 0xffff0000, v26
	v_add3_u32 v27, v5, v27, 0x7fff
	s_delay_alu instid0(VALU_DEP_4) | instskip(SKIP_1) | instid1(VALU_DEP_3)
	v_add3_u32 v21, v25, v21, 0x7fff
	v_and_b32_e32 v25, 0xffff0000, v28
	v_and_b32_e32 v27, 0xffff0000, v27
	s_delay_alu instid0(VALU_DEP_3) | instskip(NEXT) | instid1(VALU_DEP_1)
	v_and_b32_e32 v21, 0xffff0000, v21
	v_cndmask_b32_e32 v21, 0x7fc00000, v21, vcc_lo
	v_cmp_o_f32_e32 vcc_lo, v23, v23
	s_delay_alu instid0(VALU_DEP_2) | instskip(SKIP_1) | instid1(VALU_DEP_2)
	v_dual_mul_f32 v20, v21, v20 :: v_dual_cndmask_b32 v23, 0x7fc00000, v26
	v_cmp_o_f32_e32 vcc_lo, v5, v5
	v_mul_f32_e32 v21, v23, v24
	v_cndmask_b32_e32 v5, 0x7fc00000, v27, vcc_lo
	v_cmp_o_f32_e32 vcc_lo, v4, v4
	s_delay_alu instid0(VALU_DEP_3) | instskip(NEXT) | instid1(VALU_DEP_3)
	v_bfe_u32 v23, v21, 16, 1
	v_dual_mul_f32 v5, v5, v22 :: v_dual_cndmask_b32 v4, 0x7fc00000, v25
	v_bfe_u32 v22, v20, 16, 1
	v_cmp_o_f32_e32 vcc_lo, v20, v20
	s_delay_alu instid0(VALU_DEP_4) | instskip(NEXT) | instid1(VALU_DEP_4)
	v_add3_u32 v23, v21, v23, 0x7fff
	v_mul_f32_e32 v4, v4, v19
	s_delay_alu instid0(VALU_DEP_4) | instskip(SKIP_1) | instid1(VALU_DEP_4)
	v_add3_u32 v22, v20, v22, 0x7fff
	v_bfe_u32 v19, v5, 16, 1
	v_and_b32_e32 v23, 0xffff0000, v23
	s_delay_alu instid0(VALU_DEP_4) | instskip(NEXT) | instid1(VALU_DEP_4)
	v_bfe_u32 v24, v4, 16, 1
	v_and_b32_e32 v22, 0xffff0000, v22
	s_delay_alu instid0(VALU_DEP_4) | instskip(NEXT) | instid1(VALU_DEP_3)
	v_add3_u32 v19, v5, v19, 0x7fff
	v_add3_u32 v24, v4, v24, 0x7fff
	s_delay_alu instid0(VALU_DEP_3) | instskip(SKIP_1) | instid1(VALU_DEP_4)
	v_cndmask_b32_e64 v20, 0x7fc00000, |v22|, vcc_lo
	v_cmp_o_f32_e32 vcc_lo, v21, v21
	v_and_b32_e32 v19, 0xffff0000, v19
	s_delay_alu instid0(VALU_DEP_4) | instskip(SKIP_2) | instid1(VALU_DEP_2)
	v_and_b32_e32 v22, 0xffff0000, v24
	v_cndmask_b32_e64 v21, 0x7fc00000, |v23|, vcc_lo
	v_cmp_o_f32_e32 vcc_lo, v5, v5
	v_max3_f32 v18, v18, v20, v21
	v_cndmask_b32_e64 v5, 0x7fc00000, |v19|, vcc_lo
	v_cmp_o_f32_e32 vcc_lo, v4, v4
	v_add_nc_u32_e32 v4, s30, v1
	v_cndmask_b32_e64 v19, 0x7fc00000, |v22|, vcc_lo
	s_delay_alu instid0(VALU_DEP_1) | instskip(NEXT) | instid1(VALU_DEP_3)
	v_max3_f32 v18, v18, v19, v5
	v_cmpx_gt_u32_e64 s23, v4
	s_cbranch_execz .LBB13_59
; %bb.63:                               ;   in Loop: Header=BB13_61 Depth=1
	v_mov_b32_e32 v5, v2
	v_add_nc_u32_e32 v1, s21, v1
	s_mov_b32 s37, -1
	s_mov_b32 s36, exec_lo
	s_delay_alu instid0(VALU_DEP_2) | instskip(NEXT) | instid1(VALU_DEP_1)
	v_lshlrev_b64 v[4:5], 3, v[4:5]
	v_add_co_u32 v19, vcc_lo, s9, v4
	s_delay_alu instid0(VALU_DEP_2)
	v_add_co_ci_u32_e32 v20, vcc_lo, s16, v5, vcc_lo
	v_add_co_u32 v21, vcc_lo, s18, v4
	v_add_co_ci_u32_e32 v22, vcc_lo, s19, v5, vcc_lo
	v_add_co_u32 v4, vcc_lo, s17, v4
	v_add_co_ci_u32_e32 v5, vcc_lo, s22, v5, vcc_lo
	global_load_b64 v[19:20], v[19:20], off
	global_load_b64 v[21:22], v[21:22], off
	;; [unrolled: 1-line block ×3, first 2 shown]
	s_waitcnt vmcnt(2)
	v_lshlrev_b32_e32 v25, 16, v19
	s_waitcnt vmcnt(1)
	v_and_b32_e32 v24, 0xffff0000, v21
	s_waitcnt vmcnt(0)
	v_and_b32_e32 v27, 0xffff0000, v4
	v_lshlrev_b32_e32 v26, 16, v4
	v_alignbit_b32 v4, v5, v4, 16
	v_and_b32_e32 v5, 0xffff0000, v5
	s_delay_alu instid0(VALU_DEP_2) | instskip(SKIP_2) | instid1(VALU_DEP_1)
	v_and_b32_e32 v4, 0xffff0000, v4
	v_and_b32_e32 v23, 0xffff0000, v19
	v_alignbit_b32 v19, v20, v19, 16
	v_and_b32_e32 v19, 0xffff0000, v19
	s_delay_alu instid0(VALU_DEP_1) | instskip(NEXT) | instid1(VALU_DEP_4)
	v_add_f32_e32 v4, v19, v4
	v_add_f32_e32 v23, v23, v27
	v_alignbit_b32 v19, v22, v21, 16
	v_and_b32_e32 v22, 0xffff0000, v22
	s_delay_alu instid0(VALU_DEP_4) | instskip(SKIP_3) | instid1(VALU_DEP_4)
	v_mul_f32_e32 v4, v7, v4
	v_dual_add_f32 v25, v25, v26 :: v_dual_and_b32 v20, 0xffff0000, v20
	v_mul_f32_e32 v23, v7, v23
	v_and_b32_e32 v19, 0xffff0000, v19
	v_bfe_u32 v28, v4, 16, 1
	s_delay_alu instid0(VALU_DEP_4) | instskip(SKIP_4) | instid1(VALU_DEP_3)
	v_add_f32_e32 v5, v20, v5
	v_lshlrev_b32_e32 v20, 16, v21
	v_mul_f32_e32 v25, v7, v25
	v_bfe_u32 v26, v23, 16, 1
	v_add3_u32 v28, v4, v28, 0x7fff
	v_bfe_u32 v21, v25, 16, 1
	s_delay_alu instid0(VALU_DEP_3) | instskip(SKIP_2) | instid1(VALU_DEP_4)
	v_add3_u32 v26, v23, v26, 0x7fff
	v_mul_f32_e32 v5, v7, v5
	v_cmp_o_f32_e32 vcc_lo, v25, v25
	v_add3_u32 v21, v25, v21, 0x7fff
	s_delay_alu instid0(VALU_DEP_4) | instskip(NEXT) | instid1(VALU_DEP_4)
	v_and_b32_e32 v26, 0xffff0000, v26
	v_bfe_u32 v27, v5, 16, 1
	v_and_b32_e32 v25, 0xffff0000, v28
	s_delay_alu instid0(VALU_DEP_4) | instskip(NEXT) | instid1(VALU_DEP_3)
	v_and_b32_e32 v21, 0xffff0000, v21
	v_add3_u32 v27, v5, v27, 0x7fff
	s_delay_alu instid0(VALU_DEP_2) | instskip(SKIP_1) | instid1(VALU_DEP_2)
	v_cndmask_b32_e32 v21, 0x7fc00000, v21, vcc_lo
	v_cmp_o_f32_e32 vcc_lo, v23, v23
	v_dual_mul_f32 v20, v21, v20 :: v_dual_and_b32 v27, 0xffff0000, v27
	v_cndmask_b32_e32 v23, 0x7fc00000, v26, vcc_lo
	v_cmp_o_f32_e32 vcc_lo, v5, v5
	s_delay_alu instid0(VALU_DEP_3) | instskip(SKIP_1) | instid1(VALU_DEP_4)
	v_cndmask_b32_e32 v5, 0x7fc00000, v27, vcc_lo
	v_cmp_o_f32_e32 vcc_lo, v4, v4
	v_dual_mul_f32 v21, v23, v24 :: v_dual_cndmask_b32 v4, 0x7fc00000, v25
	s_delay_alu instid0(VALU_DEP_1) | instskip(SKIP_1) | instid1(VALU_DEP_3)
	v_bfe_u32 v23, v21, 16, 1
	v_cmp_o_f32_e32 vcc_lo, v20, v20
	v_mul_f32_e32 v4, v4, v19
	s_delay_alu instid0(VALU_DEP_3) | instskip(NEXT) | instid1(VALU_DEP_2)
	v_add3_u32 v23, v21, v23, 0x7fff
	v_bfe_u32 v24, v4, 16, 1
	s_delay_alu instid0(VALU_DEP_2) | instskip(NEXT) | instid1(VALU_DEP_2)
	v_and_b32_e32 v23, 0xffff0000, v23
	v_add3_u32 v24, v4, v24, 0x7fff
	v_mul_f32_e32 v5, v5, v22
	v_bfe_u32 v22, v20, 16, 1
	s_delay_alu instid0(VALU_DEP_1) | instskip(NEXT) | instid1(VALU_DEP_1)
	v_add3_u32 v22, v20, v22, 0x7fff
	v_and_b32_e32 v22, 0xffff0000, v22
	s_delay_alu instid0(VALU_DEP_1) | instskip(SKIP_3) | instid1(VALU_DEP_2)
	v_cndmask_b32_e64 v20, 0x7fc00000, |v22|, vcc_lo
	v_and_b32_e32 v22, 0xffff0000, v24
	v_bfe_u32 v19, v5, 16, 1
	v_cmp_o_f32_e32 vcc_lo, v21, v21
	v_add3_u32 v19, v5, v19, 0x7fff
	v_cndmask_b32_e64 v21, 0x7fc00000, |v23|, vcc_lo
	v_cmp_o_f32_e32 vcc_lo, v5, v5
	s_delay_alu instid0(VALU_DEP_3) | instskip(NEXT) | instid1(VALU_DEP_3)
	v_and_b32_e32 v19, 0xffff0000, v19
	v_max3_f32 v18, v18, v20, v21
	s_delay_alu instid0(VALU_DEP_2) | instskip(SKIP_2) | instid1(VALU_DEP_1)
	v_cndmask_b32_e64 v5, 0x7fc00000, |v19|, vcc_lo
	v_cmp_o_f32_e32 vcc_lo, v4, v4
	v_cndmask_b32_e64 v4, 0x7fc00000, |v22|, vcc_lo
	v_max3_f32 v18, v18, v4, v5
	v_cmpx_gt_u32_e64 s23, v1
	s_xor_b32 s36, exec_lo, s36
	s_cbranch_execz .LBB13_58
; %bb.64:                               ;   in Loop: Header=BB13_61 Depth=1
	v_lshlrev_b64 v[4:5], 3, v[1:2]
	s_delay_alu instid0(VALU_DEP_1) | instskip(NEXT) | instid1(VALU_DEP_2)
	v_add_co_u32 v19, vcc_lo, s9, v4
	v_add_co_ci_u32_e32 v20, vcc_lo, s16, v5, vcc_lo
	v_add_co_u32 v21, vcc_lo, s18, v4
	v_add_co_ci_u32_e32 v22, vcc_lo, s19, v5, vcc_lo
	;; [unrolled: 2-line block ×3, first 2 shown]
	global_load_b64 v[19:20], v[19:20], off
	global_load_b64 v[21:22], v[21:22], off
	;; [unrolled: 1-line block ×3, first 2 shown]
	s_waitcnt vmcnt(0)
	v_lshlrev_b32_e32 v25, 16, v4
	v_and_b32_e32 v26, 0xffff0000, v4
	v_lshlrev_b32_e32 v24, 16, v19
	v_and_b32_e32 v1, 0xffff0000, v19
	v_alignbit_b32 v19, v20, v19, 16
	v_alignbit_b32 v4, v5, v4, 16
	s_delay_alu instid0(VALU_DEP_3) | instskip(SKIP_1) | instid1(VALU_DEP_4)
	v_dual_add_f32 v24, v24, v25 :: v_dual_add_f32 v1, v1, v26
	v_and_b32_e32 v20, 0xffff0000, v20
	v_and_b32_e32 v19, 0xffff0000, v19
	s_delay_alu instid0(VALU_DEP_4) | instskip(SKIP_3) | instid1(VALU_DEP_3)
	v_and_b32_e32 v4, 0xffff0000, v4
	v_and_b32_e32 v5, 0xffff0000, v5
	v_mul_f32_e32 v1, v7, v1
	v_dual_mul_f32 v24, v7, v24 :: v_dual_and_b32 v23, 0xffff0000, v21
	v_dual_add_f32 v4, v19, v4 :: v_dual_add_f32 v5, v20, v5
	v_alignbit_b32 v19, v22, v21, 16
	s_delay_alu instid0(VALU_DEP_4) | instskip(NEXT) | instid1(VALU_DEP_4)
	v_bfe_u32 v25, v1, 16, 1
	v_cmp_o_f32_e32 vcc_lo, v24, v24
	s_delay_alu instid0(VALU_DEP_4) | instskip(SKIP_1) | instid1(VALU_DEP_4)
	v_mul_f32_e32 v4, v7, v4
	v_mul_f32_e32 v5, v7, v5
	v_add3_u32 v25, v1, v25, 0x7fff
	s_delay_alu instid0(VALU_DEP_3) | instskip(NEXT) | instid1(VALU_DEP_3)
	v_bfe_u32 v27, v4, 16, 1
	v_bfe_u32 v26, v5, 16, 1
	s_delay_alu instid0(VALU_DEP_3) | instskip(NEXT) | instid1(VALU_DEP_3)
	v_and_b32_e32 v25, 0xffff0000, v25
	v_add3_u32 v27, v4, v27, 0x7fff
	s_delay_alu instid0(VALU_DEP_3) | instskip(NEXT) | instid1(VALU_DEP_1)
	v_add3_u32 v26, v5, v26, 0x7fff
	v_and_b32_e32 v26, 0xffff0000, v26
	v_lshlrev_b32_e32 v20, 16, v21
	v_bfe_u32 v21, v24, 16, 1
	s_delay_alu instid0(VALU_DEP_1) | instskip(NEXT) | instid1(VALU_DEP_1)
	v_add3_u32 v21, v24, v21, 0x7fff
	v_and_b32_e32 v21, 0xffff0000, v21
	s_delay_alu instid0(VALU_DEP_1) | instskip(SKIP_3) | instid1(VALU_DEP_2)
	v_cndmask_b32_e32 v21, 0x7fc00000, v21, vcc_lo
	v_cmp_o_f32_e32 vcc_lo, v1, v1
	v_cndmask_b32_e32 v1, 0x7fc00000, v25, vcc_lo
	v_cmp_o_f32_e32 vcc_lo, v5, v5
	v_dual_mul_f32 v1, v1, v23 :: v_dual_and_b32 v22, 0xffff0000, v22
	v_cndmask_b32_e32 v5, 0x7fc00000, v26, vcc_lo
	v_dual_mul_f32 v20, v21, v20 :: v_dual_and_b32 v19, 0xffff0000, v19
	v_and_b32_e32 v24, 0xffff0000, v27
	v_cmp_o_f32_e32 vcc_lo, v4, v4
	s_delay_alu instid0(VALU_DEP_4) | instskip(SKIP_4) | instid1(VALU_DEP_4)
	v_mul_f32_e32 v5, v5, v22
	v_bfe_u32 v22, v1, 16, 1
	v_bfe_u32 v21, v20, 16, 1
	v_cndmask_b32_e32 v4, 0x7fc00000, v24, vcc_lo
	v_cmp_o_f32_e32 vcc_lo, v20, v20
	v_add3_u32 v22, v1, v22, 0x7fff
	s_delay_alu instid0(VALU_DEP_3) | instskip(SKIP_2) | instid1(VALU_DEP_4)
	v_mul_f32_e32 v4, v4, v19
	v_add3_u32 v19, v20, v21, 0x7fff
	v_bfe_u32 v21, v5, 16, 1
	v_and_b32_e32 v22, 0xffff0000, v22
	s_delay_alu instid0(VALU_DEP_4) | instskip(NEXT) | instid1(VALU_DEP_4)
	v_bfe_u32 v23, v4, 16, 1
	v_and_b32_e32 v19, 0xffff0000, v19
	s_delay_alu instid0(VALU_DEP_4) | instskip(NEXT) | instid1(VALU_DEP_3)
	v_add3_u32 v21, v5, v21, 0x7fff
	v_add3_u32 v23, v4, v23, 0x7fff
	s_delay_alu instid0(VALU_DEP_3)
	v_cndmask_b32_e64 v19, 0x7fc00000, |v19|, vcc_lo
	v_cmp_o_f32_e32 vcc_lo, v1, v1
	v_add3_u32 v1, s31, s28, v3
	v_and_b32_e32 v3, 0xffff0000, v21
	v_cndmask_b32_e64 v20, 0x7fc00000, |v22|, vcc_lo
	v_and_b32_e32 v22, 0xffff0000, v23
	v_cmp_o_f32_e32 vcc_lo, v4, v4
	s_delay_alu instid0(VALU_DEP_3) | instskip(NEXT) | instid1(VALU_DEP_3)
	v_max3_f32 v18, v18, v19, v20
	v_cndmask_b32_e64 v4, 0x7fc00000, |v22|, vcc_lo
	v_cmp_o_f32_e32 vcc_lo, v5, v5
	v_cndmask_b32_e64 v3, 0x7fc00000, |v3|, vcc_lo
	v_cmp_le_u32_e32 vcc_lo, s23, v1
	s_delay_alu instid0(VALU_DEP_2)
	v_max3_f32 v18, v18, v4, v3
	s_or_not1_b32 s37, vcc_lo, exec_lo
	s_branch .LBB13_58
.LBB13_65:
	s_or_b32 exec_lo, exec_lo, s29
.LBB13_66:
	s_delay_alu instid0(SALU_CYCLE_1) | instskip(SKIP_4) | instid1(VALU_DEP_1)
	s_or_b32 exec_lo, exec_lo, s20
	ds_bpermute_b32 v1, v8, v18
	s_waitcnt lgkmcnt(0)
	v_cmp_lt_f32_e32 vcc_lo, v18, v1
	v_cndmask_b32_e32 v1, v18, v1, vcc_lo
	v_cndmask_b32_e64 v1, v18, v1, s0
	s_or_b32 s0, s0, s1
	s_delay_alu instid0(SALU_CYCLE_1) | instskip(NEXT) | instid1(SALU_CYCLE_1)
	s_or_b32 s0, s3, s0
	s_or_b32 s0, s5, s0
	ds_bpermute_b32 v2, v10, v1
	s_waitcnt lgkmcnt(0)
	v_cmp_lt_f32_e32 vcc_lo, v1, v2
	v_cndmask_b32_e32 v2, v1, v2, vcc_lo
	s_delay_alu instid0(VALU_DEP_1) | instskip(SKIP_4) | instid1(VALU_DEP_1)
	v_cndmask_b32_e64 v1, v1, v2, s1
	ds_bpermute_b32 v2, v11, v1
	s_waitcnt lgkmcnt(0)
	v_cmp_lt_f32_e32 vcc_lo, v1, v2
	v_cndmask_b32_e32 v2, v1, v2, vcc_lo
	v_cndmask_b32_e64 v1, v1, v2, s3
	ds_bpermute_b32 v2, v13, v1
	s_waitcnt lgkmcnt(0)
	v_cmp_lt_f32_e32 vcc_lo, v1, v2
	v_cndmask_b32_e32 v2, v1, v2, vcc_lo
	s_delay_alu instid0(VALU_DEP_1)
	v_cndmask_b32_e64 v1, v1, v2, s5
	ds_bpermute_b32 v2, v15, v1
	s_waitcnt lgkmcnt(0)
	v_cmp_lt_f32_e32 vcc_lo, v1, v2
	s_and_b32 vcc_lo, s8, vcc_lo
	v_cndmask_b32_e32 v1, v1, v2, vcc_lo
	s_or_b32 vcc_lo, s8, s0
	s_delay_alu instid0(VALU_DEP_1)
	v_cndmask_b32_e32 v1, v18, v1, vcc_lo
	s_and_saveexec_b32 s0, s6
	s_cbranch_execz .LBB13_68
; %bb.67:
	v_lshrrev_b32_e32 v2, 3, v0
	s_delay_alu instid0(VALU_DEP_1)
	v_and_b32_e32 v2, 0x7c, v2
	ds_store_b32 v2, v1 offset:128
.LBB13_68:
	s_or_b32 exec_lo, exec_lo, s0
	s_waitcnt lgkmcnt(0)
	s_barrier
	buffer_gl0_inv
	s_and_saveexec_b32 s8, s7
	s_cbranch_execz .LBB13_70
; %bb.69:
	v_lshlrev_b32_e32 v1, 2, v6
	s_add_i32 s0, s28, 31
	s_delay_alu instid0(SALU_CYCLE_1)
	s_lshr_b32 s5, s0, 5
	ds_load_b32 v1, v1 offset:128
	s_waitcnt lgkmcnt(0)
	ds_bpermute_b32 v2, v8, v1
	s_waitcnt lgkmcnt(0)
	v_cmp_lt_f32_e32 vcc_lo, v1, v2
	v_cndmask_b32_e32 v2, v1, v2, vcc_lo
	v_cmp_gt_u32_e32 vcc_lo, s5, v9
	s_delay_alu instid0(VALU_DEP_2) | instskip(SKIP_3) | instid1(VALU_DEP_1)
	v_cndmask_b32_e32 v2, v1, v2, vcc_lo
	ds_bpermute_b32 v3, v10, v2
	s_waitcnt lgkmcnt(0)
	v_cmp_lt_f32_e64 s0, v2, v3
	v_cndmask_b32_e64 v3, v2, v3, s0
	v_cmp_gt_u32_e64 s0, s5, v12
	s_delay_alu instid0(VALU_DEP_1) | instskip(SKIP_4) | instid1(VALU_DEP_1)
	v_cndmask_b32_e64 v2, v2, v3, s0
	s_or_b32 s0, vcc_lo, s0
	ds_bpermute_b32 v3, v11, v2
	s_waitcnt lgkmcnt(0)
	v_cmp_lt_f32_e64 s1, v2, v3
	v_cndmask_b32_e64 v3, v2, v3, s1
	v_cmp_gt_u32_e64 s1, s5, v14
	s_delay_alu instid0(VALU_DEP_1) | instskip(SKIP_4) | instid1(VALU_DEP_1)
	v_cndmask_b32_e64 v2, v2, v3, s1
	s_or_b32 s0, s1, s0
	ds_bpermute_b32 v3, v13, v2
	s_waitcnt lgkmcnt(0)
	v_cmp_lt_f32_e64 s3, v2, v3
	v_cndmask_b32_e64 v3, v2, v3, s3
	v_cmp_gt_u32_e64 s3, s5, v16
	v_cmp_gt_u32_e64 s5, s5, v17
	s_delay_alu instid0(VALU_DEP_2) | instskip(SKIP_4) | instid1(VALU_DEP_1)
	v_cndmask_b32_e64 v2, v2, v3, s3
	s_or_b32 s0, s3, s0
	ds_bpermute_b32 v3, v15, v2
	s_waitcnt lgkmcnt(0)
	v_cmp_lt_f32_e64 s6, v2, v3
	s_and_b32 vcc_lo, s5, s6
	v_cndmask_b32_e32 v2, v2, v3, vcc_lo
	s_or_b32 vcc_lo, s5, s0
	s_delay_alu instid0(VALU_DEP_1)
	v_cndmask_b32_e32 v1, v1, v2, vcc_lo
.LBB13_70:
	s_or_b32 exec_lo, exec_lo, s8
	s_and_saveexec_b32 s0, s4
	s_cbranch_execz .LBB13_74
; %bb.71:
	s_cmp_eq_u64 s[26:27], 0
	s_cbranch_scc1 .LBB13_73
; %bb.72:
	s_load_b32 s1, s[26:27], 0x0
	v_max_f32_e32 v1, v1, v1
	s_waitcnt lgkmcnt(0)
	v_max_f32_e64 v2, s1, s1
	s_delay_alu instid0(VALU_DEP_1)
	v_min_f32_e32 v1, v1, v2
.LBB13_73:
	s_delay_alu instid0(VALU_DEP_1) | instskip(SKIP_2) | instid1(VALU_DEP_2)
	v_div_scale_f32 v2, null, 0x43600000, 0x43600000, v1
	v_div_scale_f32 v5, vcc_lo, v1, 0x43600000, v1
	s_lshl_b64 s[4:5], s[24:25], 2
	v_rcp_f32_e32 v3, v2
	s_add_u32 s4, s14, s4
	s_addc_u32 s5, s15, s5
	s_waitcnt_depctr 0xfff
	v_fma_f32 v4, -v2, v3, 1.0
	s_delay_alu instid0(VALU_DEP_1) | instskip(NEXT) | instid1(VALU_DEP_1)
	v_fmac_f32_e32 v3, v4, v3
	v_mul_f32_e32 v4, v5, v3
	s_delay_alu instid0(VALU_DEP_1) | instskip(NEXT) | instid1(VALU_DEP_1)
	v_fma_f32 v6, -v2, v4, v5
	v_fmac_f32_e32 v4, v6, v3
	s_delay_alu instid0(VALU_DEP_1) | instskip(NEXT) | instid1(VALU_DEP_1)
	v_fma_f32 v2, -v2, v4, v5
	v_div_fmas_f32 v2, v2, v3, v4
	s_delay_alu instid0(VALU_DEP_1) | instskip(NEXT) | instid1(VALU_DEP_1)
	v_div_fixup_f32 v1, v2, 0x43600000, v1
	v_dual_mov_b32 v2, 0 :: v_dual_max_f32 v1, 0x37124925, v1
	ds_store_b32 v2, v1 offset:516
	global_store_b32 v2, v1, s[4:5]
.LBB13_74:
	s_or_b32 exec_lo, exec_lo, s0
	s_waitcnt lgkmcnt(0)
	s_waitcnt_vscnt null, 0x0
	s_barrier
	buffer_gl0_inv
	s_and_saveexec_b32 s0, s2
	s_cbranch_execz .LBB13_211
; %bb.75:
	v_mov_b32_e32 v1, 0
	s_add_u32 s0, s12, s10
	s_addc_u32 s1, s13, s11
	s_mul_i32 s2, s28, 3
	s_lshl_b32 s3, s28, 1
	ds_load_b32 v8, v1 offset:516
	s_mov_b32 s4, 0
	s_mov_b32 s5, 0x43600000
	s_branch .LBB13_81
.LBB13_76:                              ;   in Loop: Header=BB13_81 Depth=1
	s_or_b32 exec_lo, exec_lo, s12
.LBB13_77:                              ;   in Loop: Header=BB13_81 Depth=1
	s_delay_alu instid0(SALU_CYCLE_1)
	s_or_b32 exec_lo, exec_lo, s10
	v_lshlrev_b32_e32 v4, 16, v10
	v_lshlrev_b64 v[9:10], 2, v[0:1]
	v_lshlrev_b32_e32 v6, 8, v6
	s_add_i32 s10, s28, s28
	v_and_b32_e32 v5, 0xff, v5
	v_add3_u32 v0, s10, s28, v2
	v_perm_b32 v4, v3, v4, 0x4020c0c
	v_and_b32_e32 v6, 0xff00, v6
	v_add_co_u32 v2, vcc_lo, s0, v9
	v_add_co_ci_u32_e32 v3, vcc_lo, s1, v10, vcc_lo
	v_cmp_le_u32_e32 vcc_lo, s23, v0
	s_delay_alu instid0(VALU_DEP_4)
	v_or3_b32 v4, v4, v6, v5
	s_or_not1_b32 s10, vcc_lo, exec_lo
	global_store_b32 v[2:3], v4, off
.LBB13_78:                              ;   in Loop: Header=BB13_81 Depth=1
	s_or_b32 exec_lo, exec_lo, s8
	s_delay_alu instid0(SALU_CYCLE_1)
	s_or_not1_b32 s8, s10, exec_lo
.LBB13_79:                              ;   in Loop: Header=BB13_81 Depth=1
	s_or_b32 exec_lo, exec_lo, s7
	s_delay_alu instid0(SALU_CYCLE_1)
	s_or_not1_b32 s7, s8, exec_lo
.LBB13_80:                              ;   in Loop: Header=BB13_81 Depth=1
	s_or_b32 exec_lo, exec_lo, s6
	s_delay_alu instid0(SALU_CYCLE_1) | instskip(NEXT) | instid1(SALU_CYCLE_1)
	s_and_b32 s6, exec_lo, s7
	s_or_b32 s4, s6, s4
	s_delay_alu instid0(SALU_CYCLE_1)
	s_and_not1_b32 exec_lo, exec_lo, s4
	s_cbranch_execz .LBB13_211
.LBB13_81:                              ; =>This Inner Loop Header: Depth=1
	v_lshlrev_b64 v[2:3], 3, v[0:1]
	s_mov_b32 s6, exec_lo
	s_delay_alu instid0(VALU_DEP_1) | instskip(NEXT) | instid1(VALU_DEP_2)
	v_add_co_u32 v4, vcc_lo, s9, v2
	v_add_co_ci_u32_e32 v5, vcc_lo, s16, v3, vcc_lo
	v_add_co_u32 v13, vcc_lo, s17, v2
	v_add_co_ci_u32_e32 v14, vcc_lo, s22, v3, vcc_lo
	v_add_co_u32 v2, vcc_lo, s18, v2
	global_load_b64 v[4:5], v[4:5], off
	global_load_b64 v[9:10], v[13:14], off
	v_add_co_ci_u32_e32 v3, vcc_lo, s19, v3, vcc_lo
	global_load_b64 v[2:3], v[2:3], off
	s_waitcnt vmcnt(2)
	v_lshlrev_b32_e32 v6, 16, v4
	s_waitcnt vmcnt(1)
	v_lshlrev_b32_e32 v11, 16, v9
	v_and_b32_e32 v17, 0xffff0000, v4
	v_alignbit_b32 v4, v5, v4, 16
	v_and_b32_e32 v5, 0xffff0000, v5
	s_delay_alu instid0(VALU_DEP_4) | instskip(SKIP_3) | instid1(VALU_DEP_3)
	v_add_f32_e32 v11, v6, v11
	s_waitcnt vmcnt(0)
	v_lshlrev_b32_e32 v15, 16, v2
	v_and_b32_e32 v4, 0xffff0000, v4
	v_mul_f32_e32 v6, v7, v11
	s_delay_alu instid0(VALU_DEP_1) | instskip(SKIP_1) | instid1(VALU_DEP_2)
	v_bfe_u32 v12, v6, 16, 1
	v_cmp_o_f32_e32 vcc_lo, v6, v6
	v_add3_u32 v12, v6, v12, 0x7fff
	s_delay_alu instid0(VALU_DEP_1) | instskip(NEXT) | instid1(VALU_DEP_1)
	v_and_b32_e32 v12, 0xffff0000, v12
	v_cndmask_b32_e32 v6, 0x7fc00000, v12, vcc_lo
	s_delay_alu instid0(VALU_DEP_1) | instskip(NEXT) | instid1(VALU_DEP_1)
	v_mul_f32_e32 v6, v6, v15
	v_bfe_u32 v12, v6, 16, 1
	v_cmp_o_f32_e32 vcc_lo, v6, v6
	s_delay_alu instid0(VALU_DEP_2) | instskip(NEXT) | instid1(VALU_DEP_1)
	v_add3_u32 v12, v6, v12, 0x7fff
	v_and_b32_e32 v12, 0xffff0000, v12
	s_delay_alu instid0(VALU_DEP_1) | instskip(SKIP_1) | instid1(VALU_DEP_1)
	v_cndmask_b32_e32 v12, 0x7fc00000, v12, vcc_lo
	s_waitcnt lgkmcnt(0)
	v_div_scale_f32 v15, null, v8, v8, v12
	v_div_scale_f32 v18, vcc_lo, v12, v8, v12
	s_delay_alu instid0(VALU_DEP_2) | instskip(SKIP_2) | instid1(VALU_DEP_1)
	v_rcp_f32_e32 v16, v15
	s_waitcnt_depctr 0xfff
	v_fma_f32 v6, -v15, v16, 1.0
	v_fmac_f32_e32 v16, v6, v16
	v_alignbit_b32 v6, v10, v9, 16
	s_delay_alu instid0(VALU_DEP_2) | instskip(NEXT) | instid1(VALU_DEP_1)
	v_dual_mul_f32 v20, v18, v16 :: v_dual_and_b32 v9, 0xffff0000, v9
	v_dual_add_f32 v10, v17, v9 :: v_dual_and_b32 v19, 0xffff0000, v10
	s_delay_alu instid0(VALU_DEP_3) | instskip(NEXT) | instid1(VALU_DEP_3)
	v_and_b32_e32 v21, 0xffff0000, v6
	v_fma_f32 v17, -v15, v20, v18
	s_delay_alu instid0(VALU_DEP_3) | instskip(NEXT) | instid1(VALU_DEP_4)
	v_add_f32_e32 v6, v5, v19
	v_bfe_u32 v5, v10, 16, 1
	s_delay_alu instid0(VALU_DEP_4) | instskip(SKIP_1) | instid1(VALU_DEP_3)
	v_add_f32_e32 v9, v4, v21
	v_bfe_u32 v4, v11, 16, 1
	v_add3_u32 v5, v10, v5, 0x7fff
	v_fmac_f32_e32 v20, v17, v16
	v_bfe_u32 v17, v6, 16, 1
	s_delay_alu instid0(VALU_DEP_4)
	v_add3_u32 v4, v11, v4, 0x7fff
	v_bfe_u32 v19, v9, 16, 1
	v_and_b32_e32 v5, 0xffff0000, v5
	v_fma_f32 v15, -v15, v20, v18
	v_add3_u32 v17, v6, v17, 0x7fff
	v_lshrrev_b32_e32 v4, 16, v4
	v_add3_u32 v18, v9, v19, 0x7fff
	s_delay_alu instid0(VALU_DEP_4) | instskip(SKIP_2) | instid1(VALU_DEP_4)
	v_div_fmas_f32 v15, v15, v16, v20
	v_cmp_o_f32_e32 vcc_lo, v10, v10
	v_and_b32_e32 v16, 0xffff0000, v17
	v_lshrrev_b32_e32 v17, 16, v18
	s_delay_alu instid0(VALU_DEP_4) | instskip(SKIP_2) | instid1(VALU_DEP_3)
	v_div_fixup_f32 v12, v15, v8, v12
	v_cndmask_b32_e32 v5, 0x7fc00000, v5, vcc_lo
	v_cmp_o_f32_e32 vcc_lo, v11, v11
	v_minmax_f32 v11, v12, s5, 0xc3600000
	v_cndmask_b32_e32 v4, 0x7fc0, v4, vcc_lo
	v_cmp_o_f32_e32 vcc_lo, v6, v6
	s_delay_alu instid0(VALU_DEP_3) | instskip(NEXT) | instid1(VALU_DEP_3)
	v_and_b32_e32 v12, 0x7fffffff, v11
	v_or_b32_e32 v5, v4, v5
	v_cndmask_b32_e32 v15, 0x7fc00000, v16, vcc_lo
	v_cmp_o_f32_e32 vcc_lo, v9, v9
	v_mov_b32_e32 v4, 0x80
	v_cndmask_b32_e32 v16, 0x7fc0, v17, vcc_lo
	s_delay_alu instid0(VALU_DEP_1)
	v_or3_b32 v16, 0, v16, v15
	v_or3_b32 v15, v5, 0, 0
	v_mov_b32_e32 v5, 0x80
	global_store_b64 v[13:14], v[15:16], off
	v_cmpx_gt_u32_e32 0x43800000, v12
	s_cbranch_execz .LBB13_87
; %bb.82:                               ;   in Loop: Header=BB13_81 Depth=1
	v_cmp_lt_u32_e32 vcc_lo, 0x3bffffff, v12
	s_mov_b32 s7, 0
                                        ; implicit-def: $vgpr12
	s_and_saveexec_b32 s8, vcc_lo
	s_delay_alu instid0(SALU_CYCLE_1)
	s_xor_b32 s8, exec_lo, s8
	s_cbranch_execnz .LBB13_178
; %bb.83:                               ;   in Loop: Header=BB13_81 Depth=1
	s_or_saveexec_b32 s8, s8
                                        ; implicit-def: $sgpr10
	s_delay_alu instid0(SALU_CYCLE_1)
	s_xor_b32 exec_lo, exec_lo, s8
	s_cbranch_execnz .LBB13_179
.LBB13_84:                              ;   in Loop: Header=BB13_81 Depth=1
	s_or_b32 exec_lo, exec_lo, s8
	v_mov_b32_e32 v5, s10
	s_and_saveexec_b32 s8, s7
.LBB13_85:                              ;   in Loop: Header=BB13_81 Depth=1
	v_lshrrev_b32_e32 v5, 24, v11
	s_delay_alu instid0(VALU_DEP_1)
	v_and_or_b32 v5, 0x80, v5, v12
.LBB13_86:                              ;   in Loop: Header=BB13_81 Depth=1
	s_or_b32 exec_lo, exec_lo, s8
.LBB13_87:                              ;   in Loop: Header=BB13_81 Depth=1
	s_delay_alu instid0(SALU_CYCLE_1) | instskip(SKIP_3) | instid1(VALU_DEP_2)
	s_or_b32 exec_lo, exec_lo, s6
	v_mul_f32_e32 v10, v7, v10
	v_and_b32_e32 v12, 0xffff0000, v2
	s_mov_b32 s6, exec_lo
	v_bfe_u32 v11, v10, 16, 1
	s_delay_alu instid0(VALU_DEP_1) | instskip(NEXT) | instid1(VALU_DEP_1)
	v_add3_u32 v11, v10, v11, 0x7fff
	v_and_b32_e32 v11, 0xffff0000, v11
	v_cmp_o_f32_e32 vcc_lo, v10, v10
	s_delay_alu instid0(VALU_DEP_2) | instskip(NEXT) | instid1(VALU_DEP_1)
	v_cndmask_b32_e32 v10, 0x7fc00000, v11, vcc_lo
	v_mul_f32_e32 v10, v10, v12
	s_delay_alu instid0(VALU_DEP_1) | instskip(NEXT) | instid1(VALU_DEP_1)
	v_bfe_u32 v11, v10, 16, 1
	v_add3_u32 v11, v10, v11, 0x7fff
	s_delay_alu instid0(VALU_DEP_1) | instskip(SKIP_1) | instid1(VALU_DEP_2)
	v_and_b32_e32 v11, 0xffff0000, v11
	v_cmp_o_f32_e32 vcc_lo, v10, v10
	v_cndmask_b32_e32 v10, 0x7fc00000, v11, vcc_lo
	s_delay_alu instid0(VALU_DEP_1) | instskip(NEXT) | instid1(VALU_DEP_1)
	v_div_scale_f32 v11, null, v8, v8, v10
	v_rcp_f32_e32 v12, v11
	s_waitcnt_depctr 0xfff
	v_fma_f32 v13, -v11, v12, 1.0
	s_delay_alu instid0(VALU_DEP_1) | instskip(SKIP_1) | instid1(VALU_DEP_1)
	v_fmac_f32_e32 v12, v13, v12
	v_div_scale_f32 v13, vcc_lo, v10, v8, v10
	v_mul_f32_e32 v14, v13, v12
	s_delay_alu instid0(VALU_DEP_1) | instskip(NEXT) | instid1(VALU_DEP_1)
	v_fma_f32 v15, -v11, v14, v13
	v_fmac_f32_e32 v14, v15, v12
	s_delay_alu instid0(VALU_DEP_1) | instskip(NEXT) | instid1(VALU_DEP_1)
	v_fma_f32 v11, -v11, v14, v13
	v_div_fmas_f32 v11, v11, v12, v14
	s_delay_alu instid0(VALU_DEP_1) | instskip(NEXT) | instid1(VALU_DEP_1)
	v_div_fixup_f32 v10, v11, v8, v10
	v_minmax_f32 v10, v10, s5, 0xc3600000
	s_delay_alu instid0(VALU_DEP_1) | instskip(NEXT) | instid1(VALU_DEP_1)
	v_and_b32_e32 v11, 0x7fffffff, v10
	v_cmpx_gt_u32_e32 0x43800000, v11
	s_cbranch_execz .LBB13_93
; %bb.88:                               ;   in Loop: Header=BB13_81 Depth=1
	v_cmp_lt_u32_e32 vcc_lo, 0x3bffffff, v11
	s_mov_b32 s7, 0
                                        ; implicit-def: $vgpr11
	s_and_saveexec_b32 s8, vcc_lo
	s_delay_alu instid0(SALU_CYCLE_1)
	s_xor_b32 s8, exec_lo, s8
	s_cbranch_execnz .LBB13_180
; %bb.89:                               ;   in Loop: Header=BB13_81 Depth=1
	s_or_saveexec_b32 s8, s8
                                        ; implicit-def: $sgpr10
	s_delay_alu instid0(SALU_CYCLE_1)
	s_xor_b32 exec_lo, exec_lo, s8
	s_cbranch_execnz .LBB13_181
.LBB13_90:                              ;   in Loop: Header=BB13_81 Depth=1
	s_or_b32 exec_lo, exec_lo, s8
	v_mov_b32_e32 v4, s10
	s_and_saveexec_b32 s8, s7
.LBB13_91:                              ;   in Loop: Header=BB13_81 Depth=1
	v_lshrrev_b32_e32 v4, 24, v10
	s_delay_alu instid0(VALU_DEP_1)
	v_and_or_b32 v4, 0x80, v4, v11
.LBB13_92:                              ;   in Loop: Header=BB13_81 Depth=1
	s_or_b32 exec_lo, exec_lo, s8
.LBB13_93:                              ;   in Loop: Header=BB13_81 Depth=1
	s_delay_alu instid0(SALU_CYCLE_1) | instskip(SKIP_3) | instid1(VALU_DEP_2)
	s_or_b32 exec_lo, exec_lo, s6
	v_mul_f32_e32 v9, v7, v9
	v_alignbit_b32 v2, v3, v2, 16
	s_mov_b32 s6, exec_lo
	v_bfe_u32 v10, v9, 16, 1
	s_delay_alu instid0(VALU_DEP_2) | instskip(NEXT) | instid1(VALU_DEP_2)
	v_and_b32_e32 v2, 0xffff0000, v2
	v_add3_u32 v10, v9, v10, 0x7fff
	s_delay_alu instid0(VALU_DEP_1) | instskip(SKIP_1) | instid1(VALU_DEP_2)
	v_and_b32_e32 v10, 0xffff0000, v10
	v_cmp_o_f32_e32 vcc_lo, v9, v9
	v_cndmask_b32_e32 v9, 0x7fc00000, v10, vcc_lo
	s_delay_alu instid0(VALU_DEP_1) | instskip(NEXT) | instid1(VALU_DEP_1)
	v_mul_f32_e32 v2, v9, v2
	v_bfe_u32 v9, v2, 16, 1
	s_delay_alu instid0(VALU_DEP_1) | instskip(NEXT) | instid1(VALU_DEP_1)
	v_add3_u32 v9, v2, v9, 0x7fff
	v_and_b32_e32 v9, 0xffff0000, v9
	v_cmp_o_f32_e32 vcc_lo, v2, v2
	s_delay_alu instid0(VALU_DEP_2) | instskip(NEXT) | instid1(VALU_DEP_1)
	v_cndmask_b32_e32 v2, 0x7fc00000, v9, vcc_lo
	v_div_scale_f32 v9, null, v8, v8, v2
	v_div_scale_f32 v12, vcc_lo, v2, v8, v2
	s_delay_alu instid0(VALU_DEP_2) | instskip(SKIP_2) | instid1(VALU_DEP_1)
	v_rcp_f32_e32 v10, v9
	s_waitcnt_depctr 0xfff
	v_fma_f32 v11, -v9, v10, 1.0
	v_fmac_f32_e32 v10, v11, v10
	s_delay_alu instid0(VALU_DEP_1) | instskip(NEXT) | instid1(VALU_DEP_1)
	v_mul_f32_e32 v11, v12, v10
	v_fma_f32 v13, -v9, v11, v12
	s_delay_alu instid0(VALU_DEP_1) | instskip(NEXT) | instid1(VALU_DEP_1)
	v_fmac_f32_e32 v11, v13, v10
	v_fma_f32 v9, -v9, v11, v12
	s_delay_alu instid0(VALU_DEP_1) | instskip(NEXT) | instid1(VALU_DEP_1)
	v_div_fmas_f32 v9, v9, v10, v11
	v_div_fixup_f32 v2, v9, v8, v2
	v_mov_b32_e32 v9, 0x80
	s_delay_alu instid0(VALU_DEP_2) | instskip(SKIP_1) | instid1(VALU_DEP_2)
	v_minmax_f32 v10, v2, s5, 0xc3600000
	v_mov_b32_e32 v2, 0x80
	v_and_b32_e32 v11, 0x7fffffff, v10
	s_delay_alu instid0(VALU_DEP_1)
	v_cmpx_gt_u32_e32 0x43800000, v11
	s_cbranch_execz .LBB13_99
; %bb.94:                               ;   in Loop: Header=BB13_81 Depth=1
	v_cmp_lt_u32_e32 vcc_lo, 0x3bffffff, v11
	s_mov_b32 s7, 0
                                        ; implicit-def: $vgpr11
	s_and_saveexec_b32 s8, vcc_lo
	s_delay_alu instid0(SALU_CYCLE_1)
	s_xor_b32 s8, exec_lo, s8
	s_cbranch_execnz .LBB13_182
; %bb.95:                               ;   in Loop: Header=BB13_81 Depth=1
	s_or_saveexec_b32 s8, s8
                                        ; implicit-def: $sgpr10
	s_delay_alu instid0(SALU_CYCLE_1)
	s_xor_b32 exec_lo, exec_lo, s8
	s_cbranch_execnz .LBB13_183
.LBB13_96:                              ;   in Loop: Header=BB13_81 Depth=1
	s_or_b32 exec_lo, exec_lo, s8
	v_mov_b32_e32 v9, s10
	s_and_saveexec_b32 s8, s7
.LBB13_97:                              ;   in Loop: Header=BB13_81 Depth=1
	v_lshrrev_b32_e32 v9, 24, v10
	s_delay_alu instid0(VALU_DEP_1)
	v_and_or_b32 v9, 0x80, v9, v11
.LBB13_98:                              ;   in Loop: Header=BB13_81 Depth=1
	s_or_b32 exec_lo, exec_lo, s8
.LBB13_99:                              ;   in Loop: Header=BB13_81 Depth=1
	s_delay_alu instid0(SALU_CYCLE_1) | instskip(SKIP_2) | instid1(VALU_DEP_1)
	s_or_b32 exec_lo, exec_lo, s6
	v_dual_mul_f32 v6, v7, v6 :: v_dual_and_b32 v3, 0xffff0000, v3
	s_mov_b32 s6, exec_lo
	v_bfe_u32 v10, v6, 16, 1
	v_cmp_o_f32_e32 vcc_lo, v6, v6
	s_delay_alu instid0(VALU_DEP_2) | instskip(NEXT) | instid1(VALU_DEP_1)
	v_add3_u32 v10, v6, v10, 0x7fff
	v_and_b32_e32 v10, 0xffff0000, v10
	s_delay_alu instid0(VALU_DEP_1) | instskip(NEXT) | instid1(VALU_DEP_1)
	v_cndmask_b32_e32 v6, 0x7fc00000, v10, vcc_lo
	v_mul_f32_e32 v3, v6, v3
	s_delay_alu instid0(VALU_DEP_1) | instskip(SKIP_1) | instid1(VALU_DEP_2)
	v_bfe_u32 v6, v3, 16, 1
	v_cmp_o_f32_e32 vcc_lo, v3, v3
	v_add3_u32 v6, v3, v6, 0x7fff
	s_delay_alu instid0(VALU_DEP_1) | instskip(NEXT) | instid1(VALU_DEP_1)
	v_and_b32_e32 v6, 0xffff0000, v6
	v_cndmask_b32_e32 v3, 0x7fc00000, v6, vcc_lo
	s_delay_alu instid0(VALU_DEP_1) | instskip(NEXT) | instid1(VALU_DEP_1)
	v_div_scale_f32 v6, null, v8, v8, v3
	v_rcp_f32_e32 v10, v6
	s_waitcnt_depctr 0xfff
	v_fma_f32 v11, -v6, v10, 1.0
	s_delay_alu instid0(VALU_DEP_1) | instskip(SKIP_1) | instid1(VALU_DEP_1)
	v_fmac_f32_e32 v10, v11, v10
	v_div_scale_f32 v11, vcc_lo, v3, v8, v3
	v_mul_f32_e32 v12, v11, v10
	s_delay_alu instid0(VALU_DEP_1) | instskip(NEXT) | instid1(VALU_DEP_1)
	v_fma_f32 v13, -v6, v12, v11
	v_fmac_f32_e32 v12, v13, v10
	s_delay_alu instid0(VALU_DEP_1) | instskip(NEXT) | instid1(VALU_DEP_1)
	v_fma_f32 v6, -v6, v12, v11
	v_div_fmas_f32 v6, v6, v10, v12
	s_delay_alu instid0(VALU_DEP_1) | instskip(NEXT) | instid1(VALU_DEP_1)
	v_div_fixup_f32 v3, v6, v8, v3
	v_minmax_f32 v3, v3, s5, 0xc3600000
	s_delay_alu instid0(VALU_DEP_1) | instskip(NEXT) | instid1(VALU_DEP_1)
	v_and_b32_e32 v6, 0x7fffffff, v3
	v_cmpx_gt_u32_e32 0x43800000, v6
	s_cbranch_execz .LBB13_105
; %bb.100:                              ;   in Loop: Header=BB13_81 Depth=1
	v_cmp_lt_u32_e32 vcc_lo, 0x3bffffff, v6
	s_mov_b32 s7, 0
                                        ; implicit-def: $vgpr6
	s_and_saveexec_b32 s8, vcc_lo
	s_delay_alu instid0(SALU_CYCLE_1)
	s_xor_b32 s8, exec_lo, s8
	s_cbranch_execnz .LBB13_184
; %bb.101:                              ;   in Loop: Header=BB13_81 Depth=1
	s_or_saveexec_b32 s8, s8
                                        ; implicit-def: $sgpr10
	s_delay_alu instid0(SALU_CYCLE_1)
	s_xor_b32 exec_lo, exec_lo, s8
	s_cbranch_execnz .LBB13_185
.LBB13_102:                             ;   in Loop: Header=BB13_81 Depth=1
	s_or_b32 exec_lo, exec_lo, s8
	v_mov_b32_e32 v2, s10
	s_and_saveexec_b32 s8, s7
.LBB13_103:                             ;   in Loop: Header=BB13_81 Depth=1
	v_lshrrev_b32_e32 v2, 24, v3
	s_delay_alu instid0(VALU_DEP_1)
	v_and_or_b32 v2, 0x80, v2, v6
.LBB13_104:                             ;   in Loop: Header=BB13_81 Depth=1
	s_or_b32 exec_lo, exec_lo, s8
.LBB13_105:                             ;   in Loop: Header=BB13_81 Depth=1
	s_delay_alu instid0(SALU_CYCLE_1)
	s_or_b32 exec_lo, exec_lo, s6
	v_lshlrev_b32_e32 v6, 16, v9
	v_lshlrev_b32_e32 v9, 8, v4
	v_lshlrev_b64 v[3:4], 2, v[0:1]
	v_and_b32_e32 v5, 0xff, v5
	s_mov_b32 s7, -1
	v_perm_b32 v6, v2, v6, 0x4020c0c
	v_and_b32_e32 v9, 0xff00, v9
	v_add_nc_u32_e32 v2, s28, v0
	v_add_co_u32 v3, vcc_lo, s0, v3
	v_add_co_ci_u32_e32 v4, vcc_lo, s1, v4, vcc_lo
	s_delay_alu instid0(VALU_DEP_4)
	v_or3_b32 v5, v6, v9, v5
	s_mov_b32 s6, exec_lo
	global_store_b32 v[3:4], v5, off
	v_cmpx_gt_u32_e64 s23, v2
	s_cbranch_execz .LBB13_80
; %bb.106:                              ;   in Loop: Header=BB13_81 Depth=1
	v_mov_b32_e32 v3, v1
	s_mov_b32 s7, exec_lo
	s_delay_alu instid0(VALU_DEP_1) | instskip(NEXT) | instid1(VALU_DEP_1)
	v_lshlrev_b64 v[4:5], 3, v[2:3]
	v_add_co_u32 v9, vcc_lo, s9, v4
	s_delay_alu instid0(VALU_DEP_2)
	v_add_co_ci_u32_e32 v10, vcc_lo, s16, v5, vcc_lo
	v_add_co_u32 v15, vcc_lo, s17, v4
	v_add_co_ci_u32_e32 v16, vcc_lo, s22, v5, vcc_lo
	v_add_co_u32 v4, vcc_lo, s18, v4
	global_load_b64 v[9:10], v[9:10], off
	global_load_b64 v[11:12], v[15:16], off
	v_add_co_ci_u32_e32 v5, vcc_lo, s19, v5, vcc_lo
	global_load_b64 v[4:5], v[4:5], off
	s_waitcnt vmcnt(2)
	v_lshlrev_b32_e32 v6, 16, v9
	s_waitcnt vmcnt(1)
	v_lshlrev_b32_e32 v13, 16, v11
	v_and_b32_e32 v19, 0xffff0000, v9
	v_alignbit_b32 v9, v10, v9, 16
	v_and_b32_e32 v10, 0xffff0000, v10
	s_delay_alu instid0(VALU_DEP_4) | instskip(SKIP_3) | instid1(VALU_DEP_3)
	v_dual_add_f32 v6, v6, v13 :: v_dual_and_b32 v21, 0xffff0000, v12
	s_waitcnt vmcnt(0)
	v_lshlrev_b32_e32 v17, 16, v4
	v_and_b32_e32 v9, 0xffff0000, v9
	v_dual_add_f32 v10, v10, v21 :: v_dual_mul_f32 v13, v7, v6
	s_delay_alu instid0(VALU_DEP_1) | instskip(SKIP_1) | instid1(VALU_DEP_2)
	v_bfe_u32 v14, v13, 16, 1
	v_cmp_o_f32_e32 vcc_lo, v13, v13
	v_add3_u32 v14, v13, v14, 0x7fff
	s_delay_alu instid0(VALU_DEP_1) | instskip(NEXT) | instid1(VALU_DEP_1)
	v_and_b32_e32 v14, 0xffff0000, v14
	v_cndmask_b32_e32 v13, 0x7fc00000, v14, vcc_lo
	s_delay_alu instid0(VALU_DEP_1) | instskip(NEXT) | instid1(VALU_DEP_1)
	v_mul_f32_e32 v13, v13, v17
	v_bfe_u32 v14, v13, 16, 1
	v_cmp_o_f32_e32 vcc_lo, v13, v13
	s_delay_alu instid0(VALU_DEP_2) | instskip(NEXT) | instid1(VALU_DEP_1)
	v_add3_u32 v14, v13, v14, 0x7fff
	v_and_b32_e32 v14, 0xffff0000, v14
	s_delay_alu instid0(VALU_DEP_1) | instskip(NEXT) | instid1(VALU_DEP_1)
	v_cndmask_b32_e32 v13, 0x7fc00000, v14, vcc_lo
	v_div_scale_f32 v14, null, v8, v8, v13
	v_div_scale_f32 v20, vcc_lo, v13, v8, v13
	s_delay_alu instid0(VALU_DEP_2) | instskip(SKIP_2) | instid1(VALU_DEP_1)
	v_rcp_f32_e32 v17, v14
	s_waitcnt_depctr 0xfff
	v_fma_f32 v18, -v14, v17, 1.0
	v_fmac_f32_e32 v17, v18, v17
	v_alignbit_b32 v18, v12, v11, 16
	s_delay_alu instid0(VALU_DEP_2) | instskip(NEXT) | instid1(VALU_DEP_2)
	v_dual_mul_f32 v22, v20, v17 :: v_dual_and_b32 v11, 0xffff0000, v11
	v_and_b32_e32 v18, 0xffff0000, v18
	s_delay_alu instid0(VALU_DEP_2) | instskip(NEXT) | instid1(VALU_DEP_3)
	v_add_f32_e32 v12, v19, v11
	v_fma_f32 v19, -v14, v22, v20
	s_delay_alu instid0(VALU_DEP_1) | instskip(SKIP_1) | instid1(VALU_DEP_2)
	v_fmac_f32_e32 v22, v19, v17
	v_bfe_u32 v19, v10, 16, 1
	v_fma_f32 v14, -v14, v22, v20
	s_delay_alu instid0(VALU_DEP_2)
	v_add3_u32 v19, v10, v19, 0x7fff
	v_add_f32_e32 v11, v9, v18
	v_bfe_u32 v18, v12, 16, 1
	v_bfe_u32 v9, v6, 16, 1
	v_div_fmas_f32 v14, v14, v17, v22
	v_cmp_o_f32_e32 vcc_lo, v12, v12
	s_delay_alu instid0(VALU_DEP_4) | instskip(NEXT) | instid1(VALU_DEP_4)
	v_add3_u32 v18, v12, v18, 0x7fff
	v_add3_u32 v9, v6, v9, 0x7fff
	s_delay_alu instid0(VALU_DEP_4) | instskip(NEXT) | instid1(VALU_DEP_3)
	v_div_fixup_f32 v13, v14, v8, v13
	v_and_b32_e32 v17, 0xffff0000, v18
	v_and_b32_e32 v18, 0xffff0000, v19
	v_bfe_u32 v21, v11, 16, 1
	v_lshrrev_b32_e32 v9, 16, v9
	v_minmax_f32 v13, v13, s5, 0xc3600000
	v_cndmask_b32_e32 v14, 0x7fc00000, v17, vcc_lo
	v_cmp_o_f32_e32 vcc_lo, v6, v6
	v_add3_u32 v20, v11, v21, 0x7fff
	v_cndmask_b32_e32 v6, 0x7fc0, v9, vcc_lo
	v_cmp_o_f32_e32 vcc_lo, v10, v10
	s_delay_alu instid0(VALU_DEP_3) | instskip(SKIP_2) | instid1(VALU_DEP_3)
	v_lshrrev_b32_e32 v19, 16, v20
	v_cndmask_b32_e32 v9, 0x7fc00000, v18, vcc_lo
	v_cmp_o_f32_e32 vcc_lo, v11, v11
	v_cndmask_b32_e32 v17, 0x7fc0, v19, vcc_lo
	v_or_b32_e32 v19, v6, v14
	v_and_b32_e32 v14, 0x7fffffff, v13
	v_mov_b32_e32 v6, 0x80
	s_delay_alu instid0(VALU_DEP_4)
	v_or3_b32 v18, 0, v17, v9
	v_mov_b32_e32 v9, 0x80
	v_or3_b32 v17, v19, 0, 0
	global_store_b64 v[15:16], v[17:18], off
	v_cmpx_gt_u32_e32 0x43800000, v14
	s_cbranch_execz .LBB13_112
; %bb.107:                              ;   in Loop: Header=BB13_81 Depth=1
	v_cmp_lt_u32_e32 vcc_lo, 0x3bffffff, v14
	s_mov_b32 s8, 0
                                        ; implicit-def: $vgpr14
	s_and_saveexec_b32 s10, vcc_lo
	s_delay_alu instid0(SALU_CYCLE_1)
	s_xor_b32 s10, exec_lo, s10
	s_cbranch_execnz .LBB13_186
; %bb.108:                              ;   in Loop: Header=BB13_81 Depth=1
	s_or_saveexec_b32 s10, s10
                                        ; implicit-def: $sgpr11
	s_delay_alu instid0(SALU_CYCLE_1)
	s_xor_b32 exec_lo, exec_lo, s10
	s_cbranch_execnz .LBB13_187
.LBB13_109:                             ;   in Loop: Header=BB13_81 Depth=1
	s_or_b32 exec_lo, exec_lo, s10
	v_mov_b32_e32 v9, s11
	s_and_saveexec_b32 s10, s8
.LBB13_110:                             ;   in Loop: Header=BB13_81 Depth=1
	v_lshrrev_b32_e32 v9, 24, v13
	s_delay_alu instid0(VALU_DEP_1)
	v_and_or_b32 v9, 0x80, v9, v14
.LBB13_111:                             ;   in Loop: Header=BB13_81 Depth=1
	s_or_b32 exec_lo, exec_lo, s10
.LBB13_112:                             ;   in Loop: Header=BB13_81 Depth=1
	s_delay_alu instid0(SALU_CYCLE_1) | instskip(SKIP_3) | instid1(VALU_DEP_2)
	s_or_b32 exec_lo, exec_lo, s7
	v_mul_f32_e32 v12, v7, v12
	v_and_b32_e32 v14, 0xffff0000, v4
	s_mov_b32 s7, exec_lo
	v_bfe_u32 v13, v12, 16, 1
	s_delay_alu instid0(VALU_DEP_1) | instskip(NEXT) | instid1(VALU_DEP_1)
	v_add3_u32 v13, v12, v13, 0x7fff
	v_and_b32_e32 v13, 0xffff0000, v13
	v_cmp_o_f32_e32 vcc_lo, v12, v12
	s_delay_alu instid0(VALU_DEP_2) | instskip(NEXT) | instid1(VALU_DEP_1)
	v_cndmask_b32_e32 v12, 0x7fc00000, v13, vcc_lo
	v_mul_f32_e32 v12, v12, v14
	s_delay_alu instid0(VALU_DEP_1) | instskip(NEXT) | instid1(VALU_DEP_1)
	v_bfe_u32 v13, v12, 16, 1
	v_add3_u32 v13, v12, v13, 0x7fff
	s_delay_alu instid0(VALU_DEP_1) | instskip(SKIP_1) | instid1(VALU_DEP_2)
	v_and_b32_e32 v13, 0xffff0000, v13
	v_cmp_o_f32_e32 vcc_lo, v12, v12
	v_cndmask_b32_e32 v12, 0x7fc00000, v13, vcc_lo
	s_delay_alu instid0(VALU_DEP_1) | instskip(NEXT) | instid1(VALU_DEP_1)
	v_div_scale_f32 v13, null, v8, v8, v12
	v_rcp_f32_e32 v14, v13
	s_waitcnt_depctr 0xfff
	v_fma_f32 v15, -v13, v14, 1.0
	s_delay_alu instid0(VALU_DEP_1) | instskip(SKIP_1) | instid1(VALU_DEP_1)
	v_fmac_f32_e32 v14, v15, v14
	v_div_scale_f32 v15, vcc_lo, v12, v8, v12
	v_mul_f32_e32 v16, v15, v14
	s_delay_alu instid0(VALU_DEP_1) | instskip(NEXT) | instid1(VALU_DEP_1)
	v_fma_f32 v17, -v13, v16, v15
	v_fmac_f32_e32 v16, v17, v14
	s_delay_alu instid0(VALU_DEP_1) | instskip(NEXT) | instid1(VALU_DEP_1)
	v_fma_f32 v13, -v13, v16, v15
	v_div_fmas_f32 v13, v13, v14, v16
	s_delay_alu instid0(VALU_DEP_1) | instskip(NEXT) | instid1(VALU_DEP_1)
	v_div_fixup_f32 v12, v13, v8, v12
	v_minmax_f32 v12, v12, s5, 0xc3600000
	s_delay_alu instid0(VALU_DEP_1) | instskip(NEXT) | instid1(VALU_DEP_1)
	v_and_b32_e32 v13, 0x7fffffff, v12
	v_cmpx_gt_u32_e32 0x43800000, v13
	s_cbranch_execz .LBB13_118
; %bb.113:                              ;   in Loop: Header=BB13_81 Depth=1
	v_cmp_lt_u32_e32 vcc_lo, 0x3bffffff, v13
	s_mov_b32 s8, 0
                                        ; implicit-def: $vgpr13
	s_and_saveexec_b32 s10, vcc_lo
	s_delay_alu instid0(SALU_CYCLE_1)
	s_xor_b32 s10, exec_lo, s10
	s_cbranch_execnz .LBB13_188
; %bb.114:                              ;   in Loop: Header=BB13_81 Depth=1
	s_or_saveexec_b32 s10, s10
                                        ; implicit-def: $sgpr11
	s_delay_alu instid0(SALU_CYCLE_1)
	s_xor_b32 exec_lo, exec_lo, s10
	s_cbranch_execnz .LBB13_189
.LBB13_115:                             ;   in Loop: Header=BB13_81 Depth=1
	s_or_b32 exec_lo, exec_lo, s10
	v_mov_b32_e32 v6, s11
	s_and_saveexec_b32 s10, s8
.LBB13_116:                             ;   in Loop: Header=BB13_81 Depth=1
	v_lshrrev_b32_e32 v6, 24, v12
	s_delay_alu instid0(VALU_DEP_1)
	v_and_or_b32 v6, 0x80, v6, v13
.LBB13_117:                             ;   in Loop: Header=BB13_81 Depth=1
	s_or_b32 exec_lo, exec_lo, s10
.LBB13_118:                             ;   in Loop: Header=BB13_81 Depth=1
	s_delay_alu instid0(SALU_CYCLE_1) | instskip(SKIP_3) | instid1(VALU_DEP_2)
	s_or_b32 exec_lo, exec_lo, s7
	v_mul_f32_e32 v11, v7, v11
	v_alignbit_b32 v4, v5, v4, 16
	s_mov_b32 s7, exec_lo
	v_bfe_u32 v12, v11, 16, 1
	s_delay_alu instid0(VALU_DEP_2) | instskip(NEXT) | instid1(VALU_DEP_2)
	v_and_b32_e32 v4, 0xffff0000, v4
	v_add3_u32 v12, v11, v12, 0x7fff
	s_delay_alu instid0(VALU_DEP_1) | instskip(SKIP_1) | instid1(VALU_DEP_2)
	v_and_b32_e32 v12, 0xffff0000, v12
	v_cmp_o_f32_e32 vcc_lo, v11, v11
	v_cndmask_b32_e32 v11, 0x7fc00000, v12, vcc_lo
	s_delay_alu instid0(VALU_DEP_1) | instskip(NEXT) | instid1(VALU_DEP_1)
	v_mul_f32_e32 v4, v11, v4
	v_bfe_u32 v11, v4, 16, 1
	s_delay_alu instid0(VALU_DEP_1) | instskip(NEXT) | instid1(VALU_DEP_1)
	v_add3_u32 v11, v4, v11, 0x7fff
	v_and_b32_e32 v11, 0xffff0000, v11
	v_cmp_o_f32_e32 vcc_lo, v4, v4
	s_delay_alu instid0(VALU_DEP_2) | instskip(NEXT) | instid1(VALU_DEP_1)
	v_cndmask_b32_e32 v4, 0x7fc00000, v11, vcc_lo
	v_div_scale_f32 v11, null, v8, v8, v4
	v_div_scale_f32 v14, vcc_lo, v4, v8, v4
	s_delay_alu instid0(VALU_DEP_2) | instskip(SKIP_2) | instid1(VALU_DEP_1)
	v_rcp_f32_e32 v12, v11
	s_waitcnt_depctr 0xfff
	v_fma_f32 v13, -v11, v12, 1.0
	v_fmac_f32_e32 v12, v13, v12
	s_delay_alu instid0(VALU_DEP_1) | instskip(NEXT) | instid1(VALU_DEP_1)
	v_mul_f32_e32 v13, v14, v12
	v_fma_f32 v15, -v11, v13, v14
	s_delay_alu instid0(VALU_DEP_1) | instskip(NEXT) | instid1(VALU_DEP_1)
	v_fmac_f32_e32 v13, v15, v12
	v_fma_f32 v11, -v11, v13, v14
	s_delay_alu instid0(VALU_DEP_1) | instskip(NEXT) | instid1(VALU_DEP_1)
	v_div_fmas_f32 v11, v11, v12, v13
	v_div_fixup_f32 v4, v11, v8, v4
	v_mov_b32_e32 v11, 0x80
	s_delay_alu instid0(VALU_DEP_2) | instskip(SKIP_1) | instid1(VALU_DEP_2)
	v_minmax_f32 v12, v4, s5, 0xc3600000
	v_mov_b32_e32 v4, 0x80
	v_and_b32_e32 v13, 0x7fffffff, v12
	s_delay_alu instid0(VALU_DEP_1)
	v_cmpx_gt_u32_e32 0x43800000, v13
	s_cbranch_execz .LBB13_124
; %bb.119:                              ;   in Loop: Header=BB13_81 Depth=1
	v_cmp_lt_u32_e32 vcc_lo, 0x3bffffff, v13
	s_mov_b32 s8, 0
                                        ; implicit-def: $vgpr13
	s_and_saveexec_b32 s10, vcc_lo
	s_delay_alu instid0(SALU_CYCLE_1)
	s_xor_b32 s10, exec_lo, s10
	s_cbranch_execnz .LBB13_190
; %bb.120:                              ;   in Loop: Header=BB13_81 Depth=1
	s_or_saveexec_b32 s10, s10
                                        ; implicit-def: $sgpr11
	s_delay_alu instid0(SALU_CYCLE_1)
	s_xor_b32 exec_lo, exec_lo, s10
	s_cbranch_execnz .LBB13_191
.LBB13_121:                             ;   in Loop: Header=BB13_81 Depth=1
	s_or_b32 exec_lo, exec_lo, s10
	v_mov_b32_e32 v11, s11
	s_and_saveexec_b32 s10, s8
.LBB13_122:                             ;   in Loop: Header=BB13_81 Depth=1
	v_lshrrev_b32_e32 v11, 24, v12
	s_delay_alu instid0(VALU_DEP_1)
	v_and_or_b32 v11, 0x80, v11, v13
.LBB13_123:                             ;   in Loop: Header=BB13_81 Depth=1
	s_or_b32 exec_lo, exec_lo, s10
.LBB13_124:                             ;   in Loop: Header=BB13_81 Depth=1
	s_delay_alu instid0(SALU_CYCLE_1) | instskip(SKIP_2) | instid1(VALU_DEP_1)
	s_or_b32 exec_lo, exec_lo, s7
	v_dual_mul_f32 v10, v7, v10 :: v_dual_and_b32 v5, 0xffff0000, v5
	s_mov_b32 s7, exec_lo
	v_bfe_u32 v12, v10, 16, 1
	v_cmp_o_f32_e32 vcc_lo, v10, v10
	s_delay_alu instid0(VALU_DEP_2) | instskip(NEXT) | instid1(VALU_DEP_1)
	v_add3_u32 v12, v10, v12, 0x7fff
	v_and_b32_e32 v12, 0xffff0000, v12
	s_delay_alu instid0(VALU_DEP_1) | instskip(NEXT) | instid1(VALU_DEP_1)
	v_cndmask_b32_e32 v10, 0x7fc00000, v12, vcc_lo
	v_mul_f32_e32 v5, v10, v5
	s_delay_alu instid0(VALU_DEP_1) | instskip(SKIP_1) | instid1(VALU_DEP_2)
	v_bfe_u32 v10, v5, 16, 1
	v_cmp_o_f32_e32 vcc_lo, v5, v5
	v_add3_u32 v10, v5, v10, 0x7fff
	s_delay_alu instid0(VALU_DEP_1) | instskip(NEXT) | instid1(VALU_DEP_1)
	v_and_b32_e32 v10, 0xffff0000, v10
	v_cndmask_b32_e32 v5, 0x7fc00000, v10, vcc_lo
	s_delay_alu instid0(VALU_DEP_1) | instskip(NEXT) | instid1(VALU_DEP_1)
	v_div_scale_f32 v10, null, v8, v8, v5
	v_rcp_f32_e32 v12, v10
	s_waitcnt_depctr 0xfff
	v_fma_f32 v13, -v10, v12, 1.0
	s_delay_alu instid0(VALU_DEP_1) | instskip(SKIP_1) | instid1(VALU_DEP_1)
	v_fmac_f32_e32 v12, v13, v12
	v_div_scale_f32 v13, vcc_lo, v5, v8, v5
	v_mul_f32_e32 v14, v13, v12
	s_delay_alu instid0(VALU_DEP_1) | instskip(NEXT) | instid1(VALU_DEP_1)
	v_fma_f32 v15, -v10, v14, v13
	v_fmac_f32_e32 v14, v15, v12
	s_delay_alu instid0(VALU_DEP_1) | instskip(NEXT) | instid1(VALU_DEP_1)
	v_fma_f32 v10, -v10, v14, v13
	v_div_fmas_f32 v10, v10, v12, v14
	s_delay_alu instid0(VALU_DEP_1) | instskip(NEXT) | instid1(VALU_DEP_1)
	v_div_fixup_f32 v5, v10, v8, v5
	v_minmax_f32 v5, v5, s5, 0xc3600000
	s_delay_alu instid0(VALU_DEP_1) | instskip(NEXT) | instid1(VALU_DEP_1)
	v_and_b32_e32 v10, 0x7fffffff, v5
	v_cmpx_gt_u32_e32 0x43800000, v10
	s_cbranch_execz .LBB13_130
; %bb.125:                              ;   in Loop: Header=BB13_81 Depth=1
	v_cmp_lt_u32_e32 vcc_lo, 0x3bffffff, v10
	s_mov_b32 s8, 0
                                        ; implicit-def: $vgpr10
	s_and_saveexec_b32 s10, vcc_lo
	s_delay_alu instid0(SALU_CYCLE_1)
	s_xor_b32 s10, exec_lo, s10
	s_cbranch_execnz .LBB13_192
; %bb.126:                              ;   in Loop: Header=BB13_81 Depth=1
	s_or_saveexec_b32 s10, s10
                                        ; implicit-def: $sgpr11
	s_delay_alu instid0(SALU_CYCLE_1)
	s_xor_b32 exec_lo, exec_lo, s10
	s_cbranch_execnz .LBB13_193
.LBB13_127:                             ;   in Loop: Header=BB13_81 Depth=1
	s_or_b32 exec_lo, exec_lo, s10
	v_mov_b32_e32 v4, s11
	s_and_saveexec_b32 s10, s8
.LBB13_128:                             ;   in Loop: Header=BB13_81 Depth=1
	v_lshrrev_b32_e32 v4, 24, v5
	s_delay_alu instid0(VALU_DEP_1)
	v_and_or_b32 v4, 0x80, v4, v10
.LBB13_129:                             ;   in Loop: Header=BB13_81 Depth=1
	s_or_b32 exec_lo, exec_lo, s10
.LBB13_130:                             ;   in Loop: Header=BB13_81 Depth=1
	s_delay_alu instid0(SALU_CYCLE_1)
	s_or_b32 exec_lo, exec_lo, s7
	v_lshlrev_b32_e32 v10, 16, v11
	v_lshlrev_b32_e32 v11, 8, v6
	v_lshlrev_b64 v[5:6], 2, v[2:3]
	v_and_b32_e32 v9, 0xff, v9
	v_add_nc_u32_e32 v3, s3, v0
	v_perm_b32 v10, v4, v10, 0x4020c0c
	v_and_b32_e32 v11, 0xff00, v11
	s_mov_b32 s8, -1
	v_add_co_u32 v4, vcc_lo, s0, v5
	v_add_co_ci_u32_e32 v5, vcc_lo, s1, v6, vcc_lo
	s_delay_alu instid0(VALU_DEP_3)
	v_or3_b32 v6, v10, v11, v9
	s_mov_b32 s7, exec_lo
	global_store_b32 v[4:5], v6, off
	v_cmpx_gt_u32_e64 s23, v3
	s_cbranch_execz .LBB13_79
; %bb.131:                              ;   in Loop: Header=BB13_81 Depth=1
	v_mov_b32_e32 v4, v1
	s_mov_b32 s8, exec_lo
	s_delay_alu instid0(VALU_DEP_1) | instskip(NEXT) | instid1(VALU_DEP_1)
	v_lshlrev_b64 v[5:6], 3, v[3:4]
	v_add_co_u32 v9, vcc_lo, s9, v5
	s_delay_alu instid0(VALU_DEP_2)
	v_add_co_ci_u32_e32 v10, vcc_lo, s16, v6, vcc_lo
	v_add_co_u32 v16, vcc_lo, s17, v5
	v_add_co_ci_u32_e32 v17, vcc_lo, s22, v6, vcc_lo
	v_add_co_u32 v5, vcc_lo, s18, v5
	v_add_co_ci_u32_e32 v6, vcc_lo, s19, v6, vcc_lo
	global_load_b64 v[9:10], v[9:10], off
	global_load_b64 v[11:12], v[16:17], off
	;; [unrolled: 1-line block ×3, first 2 shown]
	s_waitcnt vmcnt(2)
	v_lshlrev_b32_e32 v13, 16, v9
	v_and_b32_e32 v20, 0xffff0000, v9
	v_alignbit_b32 v9, v10, v9, 16
	v_and_b32_e32 v10, 0xffff0000, v10
	s_waitcnt vmcnt(0)
	v_lshlrev_b32_e32 v18, 16, v5
	v_lshlrev_b32_e32 v14, 16, v11
	s_delay_alu instid0(VALU_DEP_1) | instskip(NEXT) | instid1(VALU_DEP_1)
	v_dual_add_f32 v14, v13, v14 :: v_dual_and_b32 v9, 0xffff0000, v9
	v_mul_f32_e32 v13, v7, v14
	s_delay_alu instid0(VALU_DEP_1) | instskip(SKIP_1) | instid1(VALU_DEP_2)
	v_bfe_u32 v15, v13, 16, 1
	v_cmp_o_f32_e32 vcc_lo, v13, v13
	v_add3_u32 v15, v13, v15, 0x7fff
	s_delay_alu instid0(VALU_DEP_1) | instskip(NEXT) | instid1(VALU_DEP_1)
	v_and_b32_e32 v15, 0xffff0000, v15
	v_cndmask_b32_e32 v13, 0x7fc00000, v15, vcc_lo
	s_delay_alu instid0(VALU_DEP_1) | instskip(NEXT) | instid1(VALU_DEP_1)
	v_mul_f32_e32 v13, v13, v18
	v_bfe_u32 v15, v13, 16, 1
	v_cmp_o_f32_e32 vcc_lo, v13, v13
	s_delay_alu instid0(VALU_DEP_2) | instskip(NEXT) | instid1(VALU_DEP_1)
	v_add3_u32 v15, v13, v15, 0x7fff
	v_and_b32_e32 v15, 0xffff0000, v15
	s_delay_alu instid0(VALU_DEP_1) | instskip(NEXT) | instid1(VALU_DEP_1)
	v_cndmask_b32_e32 v15, 0x7fc00000, v15, vcc_lo
	v_div_scale_f32 v18, null, v8, v8, v15
	v_div_scale_f32 v21, vcc_lo, v15, v8, v15
	s_delay_alu instid0(VALU_DEP_2) | instskip(SKIP_2) | instid1(VALU_DEP_1)
	v_rcp_f32_e32 v19, v18
	s_waitcnt_depctr 0xfff
	v_fma_f32 v13, -v18, v19, 1.0
	v_fmac_f32_e32 v19, v13, v19
	v_alignbit_b32 v13, v12, v11, 16
	v_and_b32_e32 v11, 0xffff0000, v11
	v_and_b32_e32 v12, 0xffff0000, v12
	s_delay_alu instid0(VALU_DEP_3) | instskip(NEXT) | instid1(VALU_DEP_3)
	v_dual_mul_f32 v22, v21, v19 :: v_dual_and_b32 v23, 0xffff0000, v13
	v_add_f32_e32 v13, v20, v11
	s_delay_alu instid0(VALU_DEP_2) | instskip(NEXT) | instid1(VALU_DEP_1)
	v_fma_f32 v20, -v18, v22, v21
	v_dual_fmac_f32 v22, v20, v19 :: v_dual_add_f32 v11, v10, v12
	s_delay_alu instid0(VALU_DEP_4) | instskip(NEXT) | instid1(VALU_DEP_4)
	v_add_f32_e32 v12, v9, v23
	v_bfe_u32 v10, v13, 16, 1
	v_bfe_u32 v9, v14, 16, 1
	s_delay_alu instid0(VALU_DEP_4)
	v_fma_f32 v18, -v18, v22, v21
	v_bfe_u32 v20, v11, 16, 1
	v_bfe_u32 v23, v12, 16, 1
	v_add3_u32 v10, v13, v10, 0x7fff
	v_add3_u32 v9, v14, v9, 0x7fff
	v_div_fmas_f32 v18, v18, v19, v22
	v_cmp_o_f32_e32 vcc_lo, v13, v13
	v_add3_u32 v20, v11, v20, 0x7fff
	v_and_b32_e32 v10, 0xffff0000, v10
	v_lshrrev_b32_e32 v9, 16, v9
	v_add3_u32 v21, v12, v23, 0x7fff
	v_div_fixup_f32 v15, v18, v8, v15
	v_and_b32_e32 v19, 0xffff0000, v20
	v_cndmask_b32_e32 v10, 0x7fc00000, v10, vcc_lo
	v_cmp_o_f32_e32 vcc_lo, v14, v14
	v_lshrrev_b32_e32 v20, 16, v21
	v_minmax_f32 v14, v15, s5, 0xc3600000
	v_cndmask_b32_e32 v9, 0x7fc0, v9, vcc_lo
	v_cmp_o_f32_e32 vcc_lo, v11, v11
	s_delay_alu instid0(VALU_DEP_3) | instskip(NEXT) | instid1(VALU_DEP_3)
	v_and_b32_e32 v15, 0x7fffffff, v14
	v_or_b32_e32 v10, v9, v10
	v_cndmask_b32_e32 v18, 0x7fc00000, v19, vcc_lo
	v_cmp_o_f32_e32 vcc_lo, v12, v12
	v_mov_b32_e32 v9, 0x80
	v_cndmask_b32_e32 v19, 0x7fc0, v20, vcc_lo
	s_delay_alu instid0(VALU_DEP_1)
	v_or3_b32 v19, 0, v19, v18
	v_or3_b32 v18, v10, 0, 0
	v_mov_b32_e32 v10, 0x80
	global_store_b64 v[16:17], v[18:19], off
	v_cmpx_gt_u32_e32 0x43800000, v15
	s_cbranch_execz .LBB13_137
; %bb.132:                              ;   in Loop: Header=BB13_81 Depth=1
	v_cmp_lt_u32_e32 vcc_lo, 0x3bffffff, v15
	s_mov_b32 s10, 0
                                        ; implicit-def: $vgpr15
	s_and_saveexec_b32 s11, vcc_lo
	s_delay_alu instid0(SALU_CYCLE_1)
	s_xor_b32 s11, exec_lo, s11
	s_cbranch_execnz .LBB13_194
; %bb.133:                              ;   in Loop: Header=BB13_81 Depth=1
	s_or_saveexec_b32 s11, s11
                                        ; implicit-def: $sgpr12
	s_delay_alu instid0(SALU_CYCLE_1)
	s_xor_b32 exec_lo, exec_lo, s11
	s_cbranch_execnz .LBB13_195
.LBB13_134:                             ;   in Loop: Header=BB13_81 Depth=1
	s_or_b32 exec_lo, exec_lo, s11
	v_mov_b32_e32 v10, s12
	s_and_saveexec_b32 s11, s10
.LBB13_135:                             ;   in Loop: Header=BB13_81 Depth=1
	v_lshrrev_b32_e32 v10, 24, v14
	s_delay_alu instid0(VALU_DEP_1)
	v_and_or_b32 v10, 0x80, v10, v15
.LBB13_136:                             ;   in Loop: Header=BB13_81 Depth=1
	s_or_b32 exec_lo, exec_lo, s11
.LBB13_137:                             ;   in Loop: Header=BB13_81 Depth=1
	s_delay_alu instid0(SALU_CYCLE_1) | instskip(SKIP_3) | instid1(VALU_DEP_2)
	s_or_b32 exec_lo, exec_lo, s8
	v_mul_f32_e32 v13, v7, v13
	v_and_b32_e32 v15, 0xffff0000, v5
	s_mov_b32 s8, exec_lo
	v_bfe_u32 v14, v13, 16, 1
	s_delay_alu instid0(VALU_DEP_1) | instskip(NEXT) | instid1(VALU_DEP_1)
	v_add3_u32 v14, v13, v14, 0x7fff
	v_and_b32_e32 v14, 0xffff0000, v14
	v_cmp_o_f32_e32 vcc_lo, v13, v13
	s_delay_alu instid0(VALU_DEP_2) | instskip(NEXT) | instid1(VALU_DEP_1)
	v_cndmask_b32_e32 v13, 0x7fc00000, v14, vcc_lo
	v_mul_f32_e32 v13, v13, v15
	s_delay_alu instid0(VALU_DEP_1) | instskip(NEXT) | instid1(VALU_DEP_1)
	v_bfe_u32 v14, v13, 16, 1
	v_add3_u32 v14, v13, v14, 0x7fff
	s_delay_alu instid0(VALU_DEP_1) | instskip(SKIP_1) | instid1(VALU_DEP_2)
	v_and_b32_e32 v14, 0xffff0000, v14
	v_cmp_o_f32_e32 vcc_lo, v13, v13
	v_cndmask_b32_e32 v13, 0x7fc00000, v14, vcc_lo
	s_delay_alu instid0(VALU_DEP_1) | instskip(NEXT) | instid1(VALU_DEP_1)
	v_div_scale_f32 v14, null, v8, v8, v13
	v_rcp_f32_e32 v15, v14
	s_waitcnt_depctr 0xfff
	v_fma_f32 v16, -v14, v15, 1.0
	s_delay_alu instid0(VALU_DEP_1) | instskip(SKIP_1) | instid1(VALU_DEP_1)
	v_fmac_f32_e32 v15, v16, v15
	v_div_scale_f32 v16, vcc_lo, v13, v8, v13
	v_mul_f32_e32 v17, v16, v15
	s_delay_alu instid0(VALU_DEP_1) | instskip(NEXT) | instid1(VALU_DEP_1)
	v_fma_f32 v18, -v14, v17, v16
	v_fmac_f32_e32 v17, v18, v15
	s_delay_alu instid0(VALU_DEP_1) | instskip(NEXT) | instid1(VALU_DEP_1)
	v_fma_f32 v14, -v14, v17, v16
	v_div_fmas_f32 v14, v14, v15, v17
	s_delay_alu instid0(VALU_DEP_1) | instskip(NEXT) | instid1(VALU_DEP_1)
	v_div_fixup_f32 v13, v14, v8, v13
	v_minmax_f32 v13, v13, s5, 0xc3600000
	s_delay_alu instid0(VALU_DEP_1) | instskip(NEXT) | instid1(VALU_DEP_1)
	v_and_b32_e32 v14, 0x7fffffff, v13
	v_cmpx_gt_u32_e32 0x43800000, v14
	s_cbranch_execz .LBB13_143
; %bb.138:                              ;   in Loop: Header=BB13_81 Depth=1
	v_cmp_lt_u32_e32 vcc_lo, 0x3bffffff, v14
	s_mov_b32 s10, 0
                                        ; implicit-def: $vgpr14
	s_and_saveexec_b32 s11, vcc_lo
	s_delay_alu instid0(SALU_CYCLE_1)
	s_xor_b32 s11, exec_lo, s11
	s_cbranch_execnz .LBB13_196
; %bb.139:                              ;   in Loop: Header=BB13_81 Depth=1
	s_or_saveexec_b32 s11, s11
                                        ; implicit-def: $sgpr12
	s_delay_alu instid0(SALU_CYCLE_1)
	s_xor_b32 exec_lo, exec_lo, s11
	s_cbranch_execnz .LBB13_197
.LBB13_140:                             ;   in Loop: Header=BB13_81 Depth=1
	s_or_b32 exec_lo, exec_lo, s11
	v_mov_b32_e32 v9, s12
	s_and_saveexec_b32 s11, s10
.LBB13_141:                             ;   in Loop: Header=BB13_81 Depth=1
	v_lshrrev_b32_e32 v9, 24, v13
	s_delay_alu instid0(VALU_DEP_1)
	v_and_or_b32 v9, 0x80, v9, v14
.LBB13_142:                             ;   in Loop: Header=BB13_81 Depth=1
	s_or_b32 exec_lo, exec_lo, s11
.LBB13_143:                             ;   in Loop: Header=BB13_81 Depth=1
	s_delay_alu instid0(SALU_CYCLE_1) | instskip(SKIP_3) | instid1(VALU_DEP_2)
	s_or_b32 exec_lo, exec_lo, s8
	v_mul_f32_e32 v12, v7, v12
	v_alignbit_b32 v5, v6, v5, 16
	s_mov_b32 s8, exec_lo
	v_bfe_u32 v13, v12, 16, 1
	s_delay_alu instid0(VALU_DEP_2) | instskip(NEXT) | instid1(VALU_DEP_2)
	v_and_b32_e32 v5, 0xffff0000, v5
	v_add3_u32 v13, v12, v13, 0x7fff
	s_delay_alu instid0(VALU_DEP_1) | instskip(SKIP_1) | instid1(VALU_DEP_2)
	v_and_b32_e32 v13, 0xffff0000, v13
	v_cmp_o_f32_e32 vcc_lo, v12, v12
	v_cndmask_b32_e32 v12, 0x7fc00000, v13, vcc_lo
	s_delay_alu instid0(VALU_DEP_1) | instskip(NEXT) | instid1(VALU_DEP_1)
	v_mul_f32_e32 v5, v12, v5
	v_bfe_u32 v12, v5, 16, 1
	s_delay_alu instid0(VALU_DEP_1) | instskip(NEXT) | instid1(VALU_DEP_1)
	v_add3_u32 v12, v5, v12, 0x7fff
	v_and_b32_e32 v12, 0xffff0000, v12
	v_cmp_o_f32_e32 vcc_lo, v5, v5
	s_delay_alu instid0(VALU_DEP_2) | instskip(NEXT) | instid1(VALU_DEP_1)
	v_cndmask_b32_e32 v5, 0x7fc00000, v12, vcc_lo
	v_div_scale_f32 v12, null, v8, v8, v5
	v_div_scale_f32 v15, vcc_lo, v5, v8, v5
	s_delay_alu instid0(VALU_DEP_2) | instskip(SKIP_2) | instid1(VALU_DEP_1)
	v_rcp_f32_e32 v13, v12
	s_waitcnt_depctr 0xfff
	v_fma_f32 v14, -v12, v13, 1.0
	v_fmac_f32_e32 v13, v14, v13
	s_delay_alu instid0(VALU_DEP_1) | instskip(NEXT) | instid1(VALU_DEP_1)
	v_mul_f32_e32 v14, v15, v13
	v_fma_f32 v16, -v12, v14, v15
	s_delay_alu instid0(VALU_DEP_1) | instskip(NEXT) | instid1(VALU_DEP_1)
	v_fmac_f32_e32 v14, v16, v13
	v_fma_f32 v12, -v12, v14, v15
	s_delay_alu instid0(VALU_DEP_1) | instskip(NEXT) | instid1(VALU_DEP_1)
	v_div_fmas_f32 v12, v12, v13, v14
	v_div_fixup_f32 v5, v12, v8, v5
	v_mov_b32_e32 v12, 0x80
	s_delay_alu instid0(VALU_DEP_2) | instskip(SKIP_1) | instid1(VALU_DEP_2)
	v_minmax_f32 v13, v5, s5, 0xc3600000
	v_mov_b32_e32 v5, 0x80
	v_and_b32_e32 v14, 0x7fffffff, v13
	s_delay_alu instid0(VALU_DEP_1)
	v_cmpx_gt_u32_e32 0x43800000, v14
	s_cbranch_execz .LBB13_149
; %bb.144:                              ;   in Loop: Header=BB13_81 Depth=1
	v_cmp_lt_u32_e32 vcc_lo, 0x3bffffff, v14
	s_mov_b32 s10, 0
                                        ; implicit-def: $vgpr14
	s_and_saveexec_b32 s11, vcc_lo
	s_delay_alu instid0(SALU_CYCLE_1)
	s_xor_b32 s11, exec_lo, s11
	s_cbranch_execnz .LBB13_198
; %bb.145:                              ;   in Loop: Header=BB13_81 Depth=1
	s_or_saveexec_b32 s11, s11
                                        ; implicit-def: $sgpr12
	s_delay_alu instid0(SALU_CYCLE_1)
	s_xor_b32 exec_lo, exec_lo, s11
	s_cbranch_execnz .LBB13_199
.LBB13_146:                             ;   in Loop: Header=BB13_81 Depth=1
	s_or_b32 exec_lo, exec_lo, s11
	v_mov_b32_e32 v12, s12
	s_and_saveexec_b32 s11, s10
.LBB13_147:                             ;   in Loop: Header=BB13_81 Depth=1
	v_lshrrev_b32_e32 v12, 24, v13
	s_delay_alu instid0(VALU_DEP_1)
	v_and_or_b32 v12, 0x80, v12, v14
.LBB13_148:                             ;   in Loop: Header=BB13_81 Depth=1
	s_or_b32 exec_lo, exec_lo, s11
.LBB13_149:                             ;   in Loop: Header=BB13_81 Depth=1
	s_delay_alu instid0(SALU_CYCLE_1) | instskip(SKIP_2) | instid1(VALU_DEP_1)
	s_or_b32 exec_lo, exec_lo, s8
	v_dual_mul_f32 v11, v7, v11 :: v_dual_and_b32 v6, 0xffff0000, v6
	s_mov_b32 s8, exec_lo
	v_bfe_u32 v13, v11, 16, 1
	v_cmp_o_f32_e32 vcc_lo, v11, v11
	s_delay_alu instid0(VALU_DEP_2) | instskip(NEXT) | instid1(VALU_DEP_1)
	v_add3_u32 v13, v11, v13, 0x7fff
	v_and_b32_e32 v13, 0xffff0000, v13
	s_delay_alu instid0(VALU_DEP_1) | instskip(NEXT) | instid1(VALU_DEP_1)
	v_cndmask_b32_e32 v11, 0x7fc00000, v13, vcc_lo
	v_mul_f32_e32 v6, v11, v6
	s_delay_alu instid0(VALU_DEP_1) | instskip(SKIP_1) | instid1(VALU_DEP_2)
	v_bfe_u32 v11, v6, 16, 1
	v_cmp_o_f32_e32 vcc_lo, v6, v6
	v_add3_u32 v11, v6, v11, 0x7fff
	s_delay_alu instid0(VALU_DEP_1) | instskip(NEXT) | instid1(VALU_DEP_1)
	v_and_b32_e32 v11, 0xffff0000, v11
	v_cndmask_b32_e32 v6, 0x7fc00000, v11, vcc_lo
	s_delay_alu instid0(VALU_DEP_1) | instskip(NEXT) | instid1(VALU_DEP_1)
	v_div_scale_f32 v11, null, v8, v8, v6
	v_rcp_f32_e32 v13, v11
	s_waitcnt_depctr 0xfff
	v_fma_f32 v14, -v11, v13, 1.0
	s_delay_alu instid0(VALU_DEP_1) | instskip(SKIP_1) | instid1(VALU_DEP_1)
	v_fmac_f32_e32 v13, v14, v13
	v_div_scale_f32 v14, vcc_lo, v6, v8, v6
	v_mul_f32_e32 v15, v14, v13
	s_delay_alu instid0(VALU_DEP_1) | instskip(NEXT) | instid1(VALU_DEP_1)
	v_fma_f32 v16, -v11, v15, v14
	v_fmac_f32_e32 v15, v16, v13
	s_delay_alu instid0(VALU_DEP_1) | instskip(NEXT) | instid1(VALU_DEP_1)
	v_fma_f32 v11, -v11, v15, v14
	v_div_fmas_f32 v11, v11, v13, v15
	s_delay_alu instid0(VALU_DEP_1) | instskip(NEXT) | instid1(VALU_DEP_1)
	v_div_fixup_f32 v6, v11, v8, v6
	v_minmax_f32 v6, v6, s5, 0xc3600000
	s_delay_alu instid0(VALU_DEP_1) | instskip(NEXT) | instid1(VALU_DEP_1)
	v_and_b32_e32 v11, 0x7fffffff, v6
	v_cmpx_gt_u32_e32 0x43800000, v11
	s_cbranch_execz .LBB13_155
; %bb.150:                              ;   in Loop: Header=BB13_81 Depth=1
	v_cmp_lt_u32_e32 vcc_lo, 0x3bffffff, v11
	s_mov_b32 s10, 0
                                        ; implicit-def: $vgpr11
	s_and_saveexec_b32 s11, vcc_lo
	s_delay_alu instid0(SALU_CYCLE_1)
	s_xor_b32 s11, exec_lo, s11
	s_cbranch_execnz .LBB13_200
; %bb.151:                              ;   in Loop: Header=BB13_81 Depth=1
	s_or_saveexec_b32 s11, s11
                                        ; implicit-def: $sgpr12
	s_delay_alu instid0(SALU_CYCLE_1)
	s_xor_b32 exec_lo, exec_lo, s11
	s_cbranch_execnz .LBB13_201
.LBB13_152:                             ;   in Loop: Header=BB13_81 Depth=1
	s_or_b32 exec_lo, exec_lo, s11
	v_mov_b32_e32 v5, s12
	s_and_saveexec_b32 s11, s10
.LBB13_153:                             ;   in Loop: Header=BB13_81 Depth=1
	v_lshrrev_b32_e32 v5, 24, v6
	s_delay_alu instid0(VALU_DEP_1)
	v_and_or_b32 v5, 0x80, v5, v11
.LBB13_154:                             ;   in Loop: Header=BB13_81 Depth=1
	s_or_b32 exec_lo, exec_lo, s11
.LBB13_155:                             ;   in Loop: Header=BB13_81 Depth=1
	s_delay_alu instid0(SALU_CYCLE_1)
	s_or_b32 exec_lo, exec_lo, s8
	v_lshlrev_b32_e32 v6, 16, v12
	v_lshlrev_b32_e32 v9, 8, v9
	v_lshlrev_b64 v[3:4], 2, v[3:4]
	v_and_b32_e32 v10, 0xff, v10
	v_add_nc_u32_e32 v0, s2, v0
	v_perm_b32 v5, v5, v6, 0x4020c0c
	v_and_b32_e32 v6, 0xff00, v9
	s_mov_b32 s10, -1
	v_add_co_u32 v3, vcc_lo, s0, v3
	v_add_co_ci_u32_e32 v4, vcc_lo, s1, v4, vcc_lo
	s_delay_alu instid0(VALU_DEP_3)
	v_or3_b32 v5, v5, v6, v10
	s_mov_b32 s8, exec_lo
	global_store_b32 v[3:4], v5, off
	v_cmpx_gt_u32_e64 s23, v0
	s_cbranch_execz .LBB13_78
; %bb.156:                              ;   in Loop: Header=BB13_81 Depth=1
	v_lshlrev_b64 v[3:4], 3, v[0:1]
	s_mov_b32 s10, exec_lo
	s_delay_alu instid0(VALU_DEP_1) | instskip(NEXT) | instid1(VALU_DEP_2)
	v_add_co_u32 v5, vcc_lo, s9, v3
	v_add_co_ci_u32_e32 v6, vcc_lo, s16, v4, vcc_lo
	v_add_co_u32 v14, vcc_lo, s17, v3
	v_add_co_ci_u32_e32 v15, vcc_lo, s22, v4, vcc_lo
	;; [unrolled: 2-line block ×3, first 2 shown]
	global_load_b64 v[5:6], v[5:6], off
	global_load_b64 v[9:10], v[14:15], off
	;; [unrolled: 1-line block ×3, first 2 shown]
	s_waitcnt vmcnt(2)
	v_lshlrev_b32_e32 v11, 16, v5
	v_and_b32_e32 v18, 0xffff0000, v5
	v_alignbit_b32 v5, v6, v5, 16
	v_and_b32_e32 v6, 0xffff0000, v6
	s_waitcnt vmcnt(0)
	v_lshlrev_b32_e32 v16, 16, v3
	v_lshlrev_b32_e32 v12, 16, v9
	s_delay_alu instid0(VALU_DEP_1) | instskip(NEXT) | instid1(VALU_DEP_1)
	v_dual_add_f32 v12, v11, v12 :: v_dual_and_b32 v5, 0xffff0000, v5
	v_mul_f32_e32 v11, v7, v12
	s_delay_alu instid0(VALU_DEP_1) | instskip(SKIP_1) | instid1(VALU_DEP_2)
	v_bfe_u32 v13, v11, 16, 1
	v_cmp_o_f32_e32 vcc_lo, v11, v11
	v_add3_u32 v13, v11, v13, 0x7fff
	s_delay_alu instid0(VALU_DEP_1) | instskip(NEXT) | instid1(VALU_DEP_1)
	v_and_b32_e32 v13, 0xffff0000, v13
	v_cndmask_b32_e32 v11, 0x7fc00000, v13, vcc_lo
	s_delay_alu instid0(VALU_DEP_1) | instskip(NEXT) | instid1(VALU_DEP_1)
	v_mul_f32_e32 v11, v11, v16
	v_bfe_u32 v13, v11, 16, 1
	v_cmp_o_f32_e32 vcc_lo, v11, v11
	s_delay_alu instid0(VALU_DEP_2) | instskip(NEXT) | instid1(VALU_DEP_1)
	v_add3_u32 v13, v11, v13, 0x7fff
	v_and_b32_e32 v13, 0xffff0000, v13
	s_delay_alu instid0(VALU_DEP_1) | instskip(NEXT) | instid1(VALU_DEP_1)
	v_cndmask_b32_e32 v13, 0x7fc00000, v13, vcc_lo
	v_div_scale_f32 v16, null, v8, v8, v13
	v_div_scale_f32 v19, vcc_lo, v13, v8, v13
	s_delay_alu instid0(VALU_DEP_2) | instskip(SKIP_2) | instid1(VALU_DEP_1)
	v_rcp_f32_e32 v17, v16
	s_waitcnt_depctr 0xfff
	v_fma_f32 v11, -v16, v17, 1.0
	v_fmac_f32_e32 v17, v11, v17
	v_alignbit_b32 v11, v10, v9, 16
	v_and_b32_e32 v9, 0xffff0000, v9
	v_and_b32_e32 v10, 0xffff0000, v10
	s_delay_alu instid0(VALU_DEP_3) | instskip(NEXT) | instid1(VALU_DEP_3)
	v_dual_mul_f32 v20, v19, v17 :: v_dual_and_b32 v21, 0xffff0000, v11
	v_add_f32_e32 v11, v18, v9
	s_delay_alu instid0(VALU_DEP_3) | instskip(NEXT) | instid1(VALU_DEP_3)
	v_add_f32_e32 v9, v6, v10
	v_fma_f32 v18, -v16, v20, v19
	s_delay_alu instid0(VALU_DEP_4) | instskip(NEXT) | instid1(VALU_DEP_4)
	v_add_f32_e32 v10, v5, v21
	v_bfe_u32 v6, v11, 16, 1
	v_bfe_u32 v5, v12, 16, 1
	s_delay_alu instid0(VALU_DEP_4) | instskip(SKIP_1) | instid1(VALU_DEP_4)
	v_fmac_f32_e32 v20, v18, v17
	v_bfe_u32 v18, v9, 16, 1
	v_add3_u32 v6, v11, v6, 0x7fff
	s_delay_alu instid0(VALU_DEP_4)
	v_add3_u32 v5, v12, v5, 0x7fff
	v_bfe_u32 v21, v10, 16, 1
	v_fma_f32 v16, -v16, v20, v19
	v_add3_u32 v18, v9, v18, 0x7fff
	v_and_b32_e32 v6, 0xffff0000, v6
	v_lshrrev_b32_e32 v5, 16, v5
	v_add3_u32 v19, v10, v21, 0x7fff
	v_div_fmas_f32 v16, v16, v17, v20
	v_and_b32_e32 v17, 0xffff0000, v18
	v_cmp_o_f32_e32 vcc_lo, v11, v11
	s_delay_alu instid0(VALU_DEP_4) | instskip(NEXT) | instid1(VALU_DEP_4)
	v_lshrrev_b32_e32 v18, 16, v19
	v_div_fixup_f32 v13, v16, v8, v13
	v_cndmask_b32_e32 v6, 0x7fc00000, v6, vcc_lo
	v_cmp_o_f32_e32 vcc_lo, v12, v12
	s_delay_alu instid0(VALU_DEP_3) | instskip(SKIP_2) | instid1(VALU_DEP_3)
	v_minmax_f32 v12, v13, s5, 0xc3600000
	v_cndmask_b32_e32 v5, 0x7fc0, v5, vcc_lo
	v_cmp_o_f32_e32 vcc_lo, v9, v9
	v_and_b32_e32 v13, 0x7fffffff, v12
	s_delay_alu instid0(VALU_DEP_3) | instskip(SKIP_4) | instid1(VALU_DEP_1)
	v_or_b32_e32 v5, v5, v6
	v_cndmask_b32_e32 v16, 0x7fc00000, v17, vcc_lo
	v_cmp_o_f32_e32 vcc_lo, v10, v10
	v_mov_b32_e32 v6, 0x80
	v_cndmask_b32_e32 v17, 0x7fc0, v18, vcc_lo
	v_or3_b32 v17, 0, v17, v16
	v_or3_b32 v16, v5, 0, 0
	v_mov_b32_e32 v5, 0x80
	global_store_b64 v[14:15], v[16:17], off
	v_cmpx_gt_u32_e32 0x43800000, v13
	s_cbranch_execz .LBB13_162
; %bb.157:                              ;   in Loop: Header=BB13_81 Depth=1
	v_cmp_lt_u32_e32 vcc_lo, 0x3bffffff, v13
	s_mov_b32 s11, 0
                                        ; implicit-def: $vgpr13
	s_and_saveexec_b32 s12, vcc_lo
	s_delay_alu instid0(SALU_CYCLE_1)
	s_xor_b32 s12, exec_lo, s12
	s_cbranch_execnz .LBB13_202
; %bb.158:                              ;   in Loop: Header=BB13_81 Depth=1
	s_or_saveexec_b32 s12, s12
                                        ; implicit-def: $sgpr13
	s_delay_alu instid0(SALU_CYCLE_1)
	s_xor_b32 exec_lo, exec_lo, s12
	s_cbranch_execnz .LBB13_203
.LBB13_159:                             ;   in Loop: Header=BB13_81 Depth=1
	s_or_b32 exec_lo, exec_lo, s12
	v_mov_b32_e32 v5, s13
	s_and_saveexec_b32 s12, s11
.LBB13_160:                             ;   in Loop: Header=BB13_81 Depth=1
	v_lshrrev_b32_e32 v5, 24, v12
	s_delay_alu instid0(VALU_DEP_1)
	v_and_or_b32 v5, 0x80, v5, v13
.LBB13_161:                             ;   in Loop: Header=BB13_81 Depth=1
	s_or_b32 exec_lo, exec_lo, s12
.LBB13_162:                             ;   in Loop: Header=BB13_81 Depth=1
	s_delay_alu instid0(SALU_CYCLE_1) | instskip(SKIP_3) | instid1(VALU_DEP_2)
	s_or_b32 exec_lo, exec_lo, s10
	v_mul_f32_e32 v11, v7, v11
	v_and_b32_e32 v13, 0xffff0000, v3
	s_mov_b32 s10, exec_lo
	v_bfe_u32 v12, v11, 16, 1
	s_delay_alu instid0(VALU_DEP_1) | instskip(NEXT) | instid1(VALU_DEP_1)
	v_add3_u32 v12, v11, v12, 0x7fff
	v_and_b32_e32 v12, 0xffff0000, v12
	v_cmp_o_f32_e32 vcc_lo, v11, v11
	s_delay_alu instid0(VALU_DEP_2) | instskip(NEXT) | instid1(VALU_DEP_1)
	v_cndmask_b32_e32 v11, 0x7fc00000, v12, vcc_lo
	v_mul_f32_e32 v11, v11, v13
	s_delay_alu instid0(VALU_DEP_1) | instskip(NEXT) | instid1(VALU_DEP_1)
	v_bfe_u32 v12, v11, 16, 1
	v_add3_u32 v12, v11, v12, 0x7fff
	s_delay_alu instid0(VALU_DEP_1) | instskip(SKIP_1) | instid1(VALU_DEP_2)
	v_and_b32_e32 v12, 0xffff0000, v12
	v_cmp_o_f32_e32 vcc_lo, v11, v11
	v_cndmask_b32_e32 v11, 0x7fc00000, v12, vcc_lo
	s_delay_alu instid0(VALU_DEP_1) | instskip(NEXT) | instid1(VALU_DEP_1)
	v_div_scale_f32 v12, null, v8, v8, v11
	v_rcp_f32_e32 v13, v12
	s_waitcnt_depctr 0xfff
	v_fma_f32 v14, -v12, v13, 1.0
	s_delay_alu instid0(VALU_DEP_1) | instskip(SKIP_1) | instid1(VALU_DEP_1)
	v_fmac_f32_e32 v13, v14, v13
	v_div_scale_f32 v14, vcc_lo, v11, v8, v11
	v_mul_f32_e32 v15, v14, v13
	s_delay_alu instid0(VALU_DEP_1) | instskip(NEXT) | instid1(VALU_DEP_1)
	v_fma_f32 v16, -v12, v15, v14
	v_fmac_f32_e32 v15, v16, v13
	s_delay_alu instid0(VALU_DEP_1) | instskip(NEXT) | instid1(VALU_DEP_1)
	v_fma_f32 v12, -v12, v15, v14
	v_div_fmas_f32 v12, v12, v13, v15
	s_delay_alu instid0(VALU_DEP_1) | instskip(NEXT) | instid1(VALU_DEP_1)
	v_div_fixup_f32 v11, v12, v8, v11
	v_minmax_f32 v11, v11, s5, 0xc3600000
	s_delay_alu instid0(VALU_DEP_1) | instskip(NEXT) | instid1(VALU_DEP_1)
	v_and_b32_e32 v12, 0x7fffffff, v11
	v_cmpx_gt_u32_e32 0x43800000, v12
	s_cbranch_execz .LBB13_168
; %bb.163:                              ;   in Loop: Header=BB13_81 Depth=1
	v_cmp_lt_u32_e32 vcc_lo, 0x3bffffff, v12
	s_mov_b32 s11, 0
                                        ; implicit-def: $vgpr12
	s_and_saveexec_b32 s12, vcc_lo
	s_delay_alu instid0(SALU_CYCLE_1)
	s_xor_b32 s12, exec_lo, s12
	s_cbranch_execnz .LBB13_204
; %bb.164:                              ;   in Loop: Header=BB13_81 Depth=1
	s_or_saveexec_b32 s12, s12
                                        ; implicit-def: $sgpr13
	s_delay_alu instid0(SALU_CYCLE_1)
	s_xor_b32 exec_lo, exec_lo, s12
	s_cbranch_execnz .LBB13_205
.LBB13_165:                             ;   in Loop: Header=BB13_81 Depth=1
	s_or_b32 exec_lo, exec_lo, s12
	v_mov_b32_e32 v6, s13
	s_and_saveexec_b32 s12, s11
.LBB13_166:                             ;   in Loop: Header=BB13_81 Depth=1
	v_lshrrev_b32_e32 v6, 24, v11
	s_delay_alu instid0(VALU_DEP_1)
	v_and_or_b32 v6, 0x80, v6, v12
.LBB13_167:                             ;   in Loop: Header=BB13_81 Depth=1
	s_or_b32 exec_lo, exec_lo, s12
.LBB13_168:                             ;   in Loop: Header=BB13_81 Depth=1
	s_delay_alu instid0(SALU_CYCLE_1) | instskip(SKIP_3) | instid1(VALU_DEP_2)
	s_or_b32 exec_lo, exec_lo, s10
	v_mul_f32_e32 v10, v7, v10
	v_alignbit_b32 v3, v4, v3, 16
	s_mov_b32 s10, exec_lo
	v_bfe_u32 v11, v10, 16, 1
	s_delay_alu instid0(VALU_DEP_2) | instskip(NEXT) | instid1(VALU_DEP_2)
	v_and_b32_e32 v3, 0xffff0000, v3
	v_add3_u32 v11, v10, v11, 0x7fff
	s_delay_alu instid0(VALU_DEP_1) | instskip(SKIP_1) | instid1(VALU_DEP_2)
	v_and_b32_e32 v11, 0xffff0000, v11
	v_cmp_o_f32_e32 vcc_lo, v10, v10
	v_cndmask_b32_e32 v10, 0x7fc00000, v11, vcc_lo
	s_delay_alu instid0(VALU_DEP_1) | instskip(NEXT) | instid1(VALU_DEP_1)
	v_mul_f32_e32 v3, v10, v3
	v_bfe_u32 v10, v3, 16, 1
	s_delay_alu instid0(VALU_DEP_1) | instskip(NEXT) | instid1(VALU_DEP_1)
	v_add3_u32 v10, v3, v10, 0x7fff
	v_and_b32_e32 v10, 0xffff0000, v10
	v_cmp_o_f32_e32 vcc_lo, v3, v3
	s_delay_alu instid0(VALU_DEP_2) | instskip(NEXT) | instid1(VALU_DEP_1)
	v_cndmask_b32_e32 v3, 0x7fc00000, v10, vcc_lo
	v_div_scale_f32 v10, null, v8, v8, v3
	v_div_scale_f32 v13, vcc_lo, v3, v8, v3
	s_delay_alu instid0(VALU_DEP_2) | instskip(SKIP_2) | instid1(VALU_DEP_1)
	v_rcp_f32_e32 v11, v10
	s_waitcnt_depctr 0xfff
	v_fma_f32 v12, -v10, v11, 1.0
	v_fmac_f32_e32 v11, v12, v11
	s_delay_alu instid0(VALU_DEP_1) | instskip(NEXT) | instid1(VALU_DEP_1)
	v_mul_f32_e32 v12, v13, v11
	v_fma_f32 v14, -v10, v12, v13
	s_delay_alu instid0(VALU_DEP_1) | instskip(NEXT) | instid1(VALU_DEP_1)
	v_fmac_f32_e32 v12, v14, v11
	v_fma_f32 v10, -v10, v12, v13
	s_delay_alu instid0(VALU_DEP_1) | instskip(NEXT) | instid1(VALU_DEP_1)
	v_div_fmas_f32 v10, v10, v11, v12
	v_div_fixup_f32 v3, v10, v8, v3
	v_mov_b32_e32 v10, 0x80
	s_delay_alu instid0(VALU_DEP_2) | instskip(SKIP_1) | instid1(VALU_DEP_2)
	v_minmax_f32 v11, v3, s5, 0xc3600000
	v_mov_b32_e32 v3, 0x80
	v_and_b32_e32 v12, 0x7fffffff, v11
	s_delay_alu instid0(VALU_DEP_1)
	v_cmpx_gt_u32_e32 0x43800000, v12
	s_cbranch_execz .LBB13_174
; %bb.169:                              ;   in Loop: Header=BB13_81 Depth=1
	v_cmp_lt_u32_e32 vcc_lo, 0x3bffffff, v12
	s_mov_b32 s11, 0
                                        ; implicit-def: $vgpr12
	s_and_saveexec_b32 s12, vcc_lo
	s_delay_alu instid0(SALU_CYCLE_1)
	s_xor_b32 s12, exec_lo, s12
	s_cbranch_execnz .LBB13_206
; %bb.170:                              ;   in Loop: Header=BB13_81 Depth=1
	s_or_saveexec_b32 s12, s12
                                        ; implicit-def: $sgpr13
	s_delay_alu instid0(SALU_CYCLE_1)
	s_xor_b32 exec_lo, exec_lo, s12
	s_cbranch_execnz .LBB13_207
.LBB13_171:                             ;   in Loop: Header=BB13_81 Depth=1
	s_or_b32 exec_lo, exec_lo, s12
	v_mov_b32_e32 v10, s13
	s_and_saveexec_b32 s12, s11
.LBB13_172:                             ;   in Loop: Header=BB13_81 Depth=1
	v_lshrrev_b32_e32 v10, 24, v11
	s_delay_alu instid0(VALU_DEP_1)
	v_and_or_b32 v10, 0x80, v10, v12
.LBB13_173:                             ;   in Loop: Header=BB13_81 Depth=1
	s_or_b32 exec_lo, exec_lo, s12
.LBB13_174:                             ;   in Loop: Header=BB13_81 Depth=1
	s_delay_alu instid0(SALU_CYCLE_1) | instskip(SKIP_2) | instid1(VALU_DEP_1)
	s_or_b32 exec_lo, exec_lo, s10
	v_dual_mul_f32 v9, v7, v9 :: v_dual_and_b32 v4, 0xffff0000, v4
	s_mov_b32 s10, exec_lo
	v_bfe_u32 v11, v9, 16, 1
	v_cmp_o_f32_e32 vcc_lo, v9, v9
	s_delay_alu instid0(VALU_DEP_2) | instskip(NEXT) | instid1(VALU_DEP_1)
	v_add3_u32 v11, v9, v11, 0x7fff
	v_and_b32_e32 v11, 0xffff0000, v11
	s_delay_alu instid0(VALU_DEP_1) | instskip(NEXT) | instid1(VALU_DEP_1)
	v_cndmask_b32_e32 v9, 0x7fc00000, v11, vcc_lo
	v_mul_f32_e32 v4, v9, v4
	s_delay_alu instid0(VALU_DEP_1) | instskip(SKIP_1) | instid1(VALU_DEP_2)
	v_bfe_u32 v9, v4, 16, 1
	v_cmp_o_f32_e32 vcc_lo, v4, v4
	v_add3_u32 v9, v4, v9, 0x7fff
	s_delay_alu instid0(VALU_DEP_1) | instskip(NEXT) | instid1(VALU_DEP_1)
	v_and_b32_e32 v9, 0xffff0000, v9
	v_cndmask_b32_e32 v4, 0x7fc00000, v9, vcc_lo
	s_delay_alu instid0(VALU_DEP_1) | instskip(NEXT) | instid1(VALU_DEP_1)
	v_div_scale_f32 v9, null, v8, v8, v4
	v_rcp_f32_e32 v11, v9
	s_waitcnt_depctr 0xfff
	v_fma_f32 v12, -v9, v11, 1.0
	s_delay_alu instid0(VALU_DEP_1) | instskip(SKIP_1) | instid1(VALU_DEP_1)
	v_fmac_f32_e32 v11, v12, v11
	v_div_scale_f32 v12, vcc_lo, v4, v8, v4
	v_mul_f32_e32 v13, v12, v11
	s_delay_alu instid0(VALU_DEP_1) | instskip(NEXT) | instid1(VALU_DEP_1)
	v_fma_f32 v14, -v9, v13, v12
	v_fmac_f32_e32 v13, v14, v11
	s_delay_alu instid0(VALU_DEP_1) | instskip(NEXT) | instid1(VALU_DEP_1)
	v_fma_f32 v9, -v9, v13, v12
	v_div_fmas_f32 v9, v9, v11, v13
	s_delay_alu instid0(VALU_DEP_1) | instskip(NEXT) | instid1(VALU_DEP_1)
	v_div_fixup_f32 v4, v9, v8, v4
	v_minmax_f32 v4, v4, s5, 0xc3600000
	s_delay_alu instid0(VALU_DEP_1) | instskip(NEXT) | instid1(VALU_DEP_1)
	v_and_b32_e32 v9, 0x7fffffff, v4
	v_cmpx_gt_u32_e32 0x43800000, v9
	s_cbranch_execz .LBB13_77
; %bb.175:                              ;   in Loop: Header=BB13_81 Depth=1
	v_cmp_lt_u32_e32 vcc_lo, 0x3bffffff, v9
	s_mov_b32 s11, 0
                                        ; implicit-def: $vgpr9
	s_and_saveexec_b32 s12, vcc_lo
	s_delay_alu instid0(SALU_CYCLE_1)
	s_xor_b32 s12, exec_lo, s12
	s_cbranch_execnz .LBB13_208
; %bb.176:                              ;   in Loop: Header=BB13_81 Depth=1
	s_or_saveexec_b32 s12, s12
                                        ; implicit-def: $sgpr13
	s_delay_alu instid0(SALU_CYCLE_1)
	s_xor_b32 exec_lo, exec_lo, s12
	s_cbranch_execnz .LBB13_209
.LBB13_177:                             ;   in Loop: Header=BB13_81 Depth=1
	s_or_b32 exec_lo, exec_lo, s12
	v_mov_b32_e32 v3, s13
	s_and_saveexec_b32 s12, s11
	s_cbranch_execz .LBB13_76
	s_branch .LBB13_210
.LBB13_178:                             ;   in Loop: Header=BB13_81 Depth=1
	v_bfe_u32 v5, v11, 20, 1
	s_mov_b32 s7, exec_lo
	s_delay_alu instid0(VALU_DEP_1) | instskip(NEXT) | instid1(VALU_DEP_1)
	v_add3_u32 v5, v11, v5, 0x487ffff
	v_lshrrev_b32_e32 v12, 20, v5
	s_or_saveexec_b32 s8, s8
                                        ; implicit-def: $sgpr10
	s_delay_alu instid0(SALU_CYCLE_1)
	s_xor_b32 exec_lo, exec_lo, s8
	s_cbranch_execz .LBB13_84
.LBB13_179:                             ;   in Loop: Header=BB13_81 Depth=1
	v_add_f32_e64 v5, 0x46000000, |v11|
	s_and_not1_b32 s7, s7, exec_lo
	s_mov_b32 s10, 0
	s_delay_alu instid0(VALU_DEP_1) | instskip(NEXT) | instid1(VALU_DEP_1)
	v_and_b32_e32 v12, 0xff, v5
	v_cmp_ne_u32_e32 vcc_lo, 0, v12
	s_and_b32 s11, vcc_lo, exec_lo
	s_delay_alu instid0(SALU_CYCLE_1)
	s_or_b32 s7, s7, s11
	s_or_b32 exec_lo, exec_lo, s8
	v_mov_b32_e32 v5, s10
	s_and_saveexec_b32 s8, s7
	s_cbranch_execnz .LBB13_85
	s_branch .LBB13_86
.LBB13_180:                             ;   in Loop: Header=BB13_81 Depth=1
	v_bfe_u32 v4, v10, 20, 1
	s_mov_b32 s7, exec_lo
	s_delay_alu instid0(VALU_DEP_1) | instskip(NEXT) | instid1(VALU_DEP_1)
	v_add3_u32 v4, v10, v4, 0x487ffff
	v_lshrrev_b32_e32 v11, 20, v4
	s_or_saveexec_b32 s8, s8
                                        ; implicit-def: $sgpr10
	s_delay_alu instid0(SALU_CYCLE_1)
	s_xor_b32 exec_lo, exec_lo, s8
	s_cbranch_execz .LBB13_90
.LBB13_181:                             ;   in Loop: Header=BB13_81 Depth=1
	v_add_f32_e64 v4, 0x46000000, |v10|
	s_and_not1_b32 s7, s7, exec_lo
	s_mov_b32 s10, 0
	s_delay_alu instid0(VALU_DEP_1) | instskip(NEXT) | instid1(VALU_DEP_1)
	v_and_b32_e32 v11, 0xff, v4
	v_cmp_ne_u32_e32 vcc_lo, 0, v11
	s_and_b32 s11, vcc_lo, exec_lo
	s_delay_alu instid0(SALU_CYCLE_1)
	s_or_b32 s7, s7, s11
	s_or_b32 exec_lo, exec_lo, s8
	v_mov_b32_e32 v4, s10
	s_and_saveexec_b32 s8, s7
	s_cbranch_execnz .LBB13_91
	s_branch .LBB13_92
.LBB13_182:                             ;   in Loop: Header=BB13_81 Depth=1
	v_bfe_u32 v9, v10, 20, 1
	s_mov_b32 s7, exec_lo
	s_delay_alu instid0(VALU_DEP_1) | instskip(NEXT) | instid1(VALU_DEP_1)
	v_add3_u32 v9, v10, v9, 0x487ffff
	v_lshrrev_b32_e32 v11, 20, v9
	s_or_saveexec_b32 s8, s8
                                        ; implicit-def: $sgpr10
	s_delay_alu instid0(SALU_CYCLE_1)
	s_xor_b32 exec_lo, exec_lo, s8
	s_cbranch_execz .LBB13_96
.LBB13_183:                             ;   in Loop: Header=BB13_81 Depth=1
	v_add_f32_e64 v9, 0x46000000, |v10|
	s_and_not1_b32 s7, s7, exec_lo
	s_mov_b32 s10, 0
	s_delay_alu instid0(VALU_DEP_1) | instskip(NEXT) | instid1(VALU_DEP_1)
	v_and_b32_e32 v11, 0xff, v9
	v_cmp_ne_u32_e32 vcc_lo, 0, v11
	s_and_b32 s11, vcc_lo, exec_lo
	s_delay_alu instid0(SALU_CYCLE_1)
	s_or_b32 s7, s7, s11
	s_or_b32 exec_lo, exec_lo, s8
	v_mov_b32_e32 v9, s10
	s_and_saveexec_b32 s8, s7
	s_cbranch_execnz .LBB13_97
	s_branch .LBB13_98
.LBB13_184:                             ;   in Loop: Header=BB13_81 Depth=1
	v_bfe_u32 v2, v3, 20, 1
	s_mov_b32 s7, exec_lo
	s_delay_alu instid0(VALU_DEP_1) | instskip(NEXT) | instid1(VALU_DEP_1)
	v_add3_u32 v2, v3, v2, 0x487ffff
	v_lshrrev_b32_e32 v6, 20, v2
	s_or_saveexec_b32 s8, s8
                                        ; implicit-def: $sgpr10
	s_delay_alu instid0(SALU_CYCLE_1)
	s_xor_b32 exec_lo, exec_lo, s8
	s_cbranch_execz .LBB13_102
.LBB13_185:                             ;   in Loop: Header=BB13_81 Depth=1
	v_add_f32_e64 v2, 0x46000000, |v3|
	s_and_not1_b32 s7, s7, exec_lo
	s_mov_b32 s10, 0
	s_delay_alu instid0(VALU_DEP_1) | instskip(NEXT) | instid1(VALU_DEP_1)
	v_and_b32_e32 v6, 0xff, v2
	v_cmp_ne_u32_e32 vcc_lo, 0, v6
	s_and_b32 s11, vcc_lo, exec_lo
	s_delay_alu instid0(SALU_CYCLE_1)
	s_or_b32 s7, s7, s11
	s_or_b32 exec_lo, exec_lo, s8
	v_mov_b32_e32 v2, s10
	s_and_saveexec_b32 s8, s7
	s_cbranch_execnz .LBB13_103
	s_branch .LBB13_104
.LBB13_186:                             ;   in Loop: Header=BB13_81 Depth=1
	v_bfe_u32 v9, v13, 20, 1
	s_mov_b32 s8, exec_lo
	s_delay_alu instid0(VALU_DEP_1) | instskip(NEXT) | instid1(VALU_DEP_1)
	v_add3_u32 v9, v13, v9, 0x487ffff
	v_lshrrev_b32_e32 v14, 20, v9
	s_or_saveexec_b32 s10, s10
                                        ; implicit-def: $sgpr11
	s_delay_alu instid0(SALU_CYCLE_1)
	s_xor_b32 exec_lo, exec_lo, s10
	s_cbranch_execz .LBB13_109
.LBB13_187:                             ;   in Loop: Header=BB13_81 Depth=1
	v_add_f32_e64 v9, 0x46000000, |v13|
	s_and_not1_b32 s8, s8, exec_lo
	s_mov_b32 s11, 0
	s_delay_alu instid0(VALU_DEP_1) | instskip(NEXT) | instid1(VALU_DEP_1)
	v_and_b32_e32 v14, 0xff, v9
	v_cmp_ne_u32_e32 vcc_lo, 0, v14
	s_and_b32 s12, vcc_lo, exec_lo
	s_delay_alu instid0(SALU_CYCLE_1)
	s_or_b32 s8, s8, s12
	s_or_b32 exec_lo, exec_lo, s10
	v_mov_b32_e32 v9, s11
	s_and_saveexec_b32 s10, s8
	s_cbranch_execnz .LBB13_110
	s_branch .LBB13_111
.LBB13_188:                             ;   in Loop: Header=BB13_81 Depth=1
	v_bfe_u32 v6, v12, 20, 1
	s_mov_b32 s8, exec_lo
	s_delay_alu instid0(VALU_DEP_1) | instskip(NEXT) | instid1(VALU_DEP_1)
	v_add3_u32 v6, v12, v6, 0x487ffff
	v_lshrrev_b32_e32 v13, 20, v6
	s_or_saveexec_b32 s10, s10
                                        ; implicit-def: $sgpr11
	s_delay_alu instid0(SALU_CYCLE_1)
	s_xor_b32 exec_lo, exec_lo, s10
	s_cbranch_execz .LBB13_115
.LBB13_189:                             ;   in Loop: Header=BB13_81 Depth=1
	v_add_f32_e64 v6, 0x46000000, |v12|
	s_and_not1_b32 s8, s8, exec_lo
	s_mov_b32 s11, 0
	s_delay_alu instid0(VALU_DEP_1) | instskip(NEXT) | instid1(VALU_DEP_1)
	v_and_b32_e32 v13, 0xff, v6
	v_cmp_ne_u32_e32 vcc_lo, 0, v13
	s_and_b32 s12, vcc_lo, exec_lo
	s_delay_alu instid0(SALU_CYCLE_1)
	s_or_b32 s8, s8, s12
	s_or_b32 exec_lo, exec_lo, s10
	v_mov_b32_e32 v6, s11
	s_and_saveexec_b32 s10, s8
	s_cbranch_execnz .LBB13_116
	s_branch .LBB13_117
.LBB13_190:                             ;   in Loop: Header=BB13_81 Depth=1
	v_bfe_u32 v11, v12, 20, 1
	s_mov_b32 s8, exec_lo
	s_delay_alu instid0(VALU_DEP_1) | instskip(NEXT) | instid1(VALU_DEP_1)
	v_add3_u32 v11, v12, v11, 0x487ffff
	v_lshrrev_b32_e32 v13, 20, v11
	s_or_saveexec_b32 s10, s10
                                        ; implicit-def: $sgpr11
	s_delay_alu instid0(SALU_CYCLE_1)
	s_xor_b32 exec_lo, exec_lo, s10
	s_cbranch_execz .LBB13_121
.LBB13_191:                             ;   in Loop: Header=BB13_81 Depth=1
	v_add_f32_e64 v11, 0x46000000, |v12|
	s_and_not1_b32 s8, s8, exec_lo
	s_mov_b32 s11, 0
	s_delay_alu instid0(VALU_DEP_1) | instskip(NEXT) | instid1(VALU_DEP_1)
	v_and_b32_e32 v13, 0xff, v11
	v_cmp_ne_u32_e32 vcc_lo, 0, v13
	s_and_b32 s12, vcc_lo, exec_lo
	s_delay_alu instid0(SALU_CYCLE_1)
	s_or_b32 s8, s8, s12
	s_or_b32 exec_lo, exec_lo, s10
	v_mov_b32_e32 v11, s11
	s_and_saveexec_b32 s10, s8
	s_cbranch_execnz .LBB13_122
	s_branch .LBB13_123
.LBB13_192:                             ;   in Loop: Header=BB13_81 Depth=1
	v_bfe_u32 v4, v5, 20, 1
	s_mov_b32 s8, exec_lo
	s_delay_alu instid0(VALU_DEP_1) | instskip(NEXT) | instid1(VALU_DEP_1)
	v_add3_u32 v4, v5, v4, 0x487ffff
	v_lshrrev_b32_e32 v10, 20, v4
	s_or_saveexec_b32 s10, s10
                                        ; implicit-def: $sgpr11
	s_delay_alu instid0(SALU_CYCLE_1)
	s_xor_b32 exec_lo, exec_lo, s10
	s_cbranch_execz .LBB13_127
.LBB13_193:                             ;   in Loop: Header=BB13_81 Depth=1
	v_add_f32_e64 v4, 0x46000000, |v5|
	s_and_not1_b32 s8, s8, exec_lo
	s_mov_b32 s11, 0
	s_delay_alu instid0(VALU_DEP_1) | instskip(NEXT) | instid1(VALU_DEP_1)
	v_and_b32_e32 v10, 0xff, v4
	v_cmp_ne_u32_e32 vcc_lo, 0, v10
	s_and_b32 s12, vcc_lo, exec_lo
	s_delay_alu instid0(SALU_CYCLE_1)
	s_or_b32 s8, s8, s12
	s_or_b32 exec_lo, exec_lo, s10
	v_mov_b32_e32 v4, s11
	s_and_saveexec_b32 s10, s8
	s_cbranch_execnz .LBB13_128
	s_branch .LBB13_129
.LBB13_194:                             ;   in Loop: Header=BB13_81 Depth=1
	v_bfe_u32 v10, v14, 20, 1
	s_mov_b32 s10, exec_lo
	s_delay_alu instid0(VALU_DEP_1) | instskip(NEXT) | instid1(VALU_DEP_1)
	v_add3_u32 v10, v14, v10, 0x487ffff
	v_lshrrev_b32_e32 v15, 20, v10
	s_or_saveexec_b32 s11, s11
                                        ; implicit-def: $sgpr12
	s_delay_alu instid0(SALU_CYCLE_1)
	s_xor_b32 exec_lo, exec_lo, s11
	s_cbranch_execz .LBB13_134
.LBB13_195:                             ;   in Loop: Header=BB13_81 Depth=1
	v_add_f32_e64 v10, 0x46000000, |v14|
	s_and_not1_b32 s10, s10, exec_lo
	s_mov_b32 s12, 0
	s_delay_alu instid0(VALU_DEP_1) | instskip(NEXT) | instid1(VALU_DEP_1)
	v_and_b32_e32 v15, 0xff, v10
	v_cmp_ne_u32_e32 vcc_lo, 0, v15
	s_and_b32 s13, vcc_lo, exec_lo
	s_delay_alu instid0(SALU_CYCLE_1)
	s_or_b32 s10, s10, s13
	s_or_b32 exec_lo, exec_lo, s11
	v_mov_b32_e32 v10, s12
	s_and_saveexec_b32 s11, s10
	s_cbranch_execnz .LBB13_135
	s_branch .LBB13_136
.LBB13_196:                             ;   in Loop: Header=BB13_81 Depth=1
	v_bfe_u32 v9, v13, 20, 1
	s_mov_b32 s10, exec_lo
	s_delay_alu instid0(VALU_DEP_1) | instskip(NEXT) | instid1(VALU_DEP_1)
	v_add3_u32 v9, v13, v9, 0x487ffff
	v_lshrrev_b32_e32 v14, 20, v9
	s_or_saveexec_b32 s11, s11
                                        ; implicit-def: $sgpr12
	s_delay_alu instid0(SALU_CYCLE_1)
	s_xor_b32 exec_lo, exec_lo, s11
	s_cbranch_execz .LBB13_140
.LBB13_197:                             ;   in Loop: Header=BB13_81 Depth=1
	v_add_f32_e64 v9, 0x46000000, |v13|
	s_and_not1_b32 s10, s10, exec_lo
	s_mov_b32 s12, 0
	s_delay_alu instid0(VALU_DEP_1) | instskip(NEXT) | instid1(VALU_DEP_1)
	v_and_b32_e32 v14, 0xff, v9
	v_cmp_ne_u32_e32 vcc_lo, 0, v14
	s_and_b32 s13, vcc_lo, exec_lo
	s_delay_alu instid0(SALU_CYCLE_1)
	s_or_b32 s10, s10, s13
	s_or_b32 exec_lo, exec_lo, s11
	v_mov_b32_e32 v9, s12
	s_and_saveexec_b32 s11, s10
	s_cbranch_execnz .LBB13_141
	s_branch .LBB13_142
.LBB13_198:                             ;   in Loop: Header=BB13_81 Depth=1
	v_bfe_u32 v12, v13, 20, 1
	s_mov_b32 s10, exec_lo
	s_delay_alu instid0(VALU_DEP_1) | instskip(NEXT) | instid1(VALU_DEP_1)
	v_add3_u32 v12, v13, v12, 0x487ffff
	v_lshrrev_b32_e32 v14, 20, v12
	s_or_saveexec_b32 s11, s11
                                        ; implicit-def: $sgpr12
	s_delay_alu instid0(SALU_CYCLE_1)
	s_xor_b32 exec_lo, exec_lo, s11
	s_cbranch_execz .LBB13_146
.LBB13_199:                             ;   in Loop: Header=BB13_81 Depth=1
	v_add_f32_e64 v12, 0x46000000, |v13|
	s_and_not1_b32 s10, s10, exec_lo
	s_mov_b32 s12, 0
	s_delay_alu instid0(VALU_DEP_1) | instskip(NEXT) | instid1(VALU_DEP_1)
	v_and_b32_e32 v14, 0xff, v12
	v_cmp_ne_u32_e32 vcc_lo, 0, v14
	s_and_b32 s13, vcc_lo, exec_lo
	s_delay_alu instid0(SALU_CYCLE_1)
	s_or_b32 s10, s10, s13
	s_or_b32 exec_lo, exec_lo, s11
	v_mov_b32_e32 v12, s12
	s_and_saveexec_b32 s11, s10
	s_cbranch_execnz .LBB13_147
	s_branch .LBB13_148
.LBB13_200:                             ;   in Loop: Header=BB13_81 Depth=1
	v_bfe_u32 v5, v6, 20, 1
	s_mov_b32 s10, exec_lo
	s_delay_alu instid0(VALU_DEP_1) | instskip(NEXT) | instid1(VALU_DEP_1)
	v_add3_u32 v5, v6, v5, 0x487ffff
	v_lshrrev_b32_e32 v11, 20, v5
	s_or_saveexec_b32 s11, s11
                                        ; implicit-def: $sgpr12
	s_delay_alu instid0(SALU_CYCLE_1)
	s_xor_b32 exec_lo, exec_lo, s11
	s_cbranch_execz .LBB13_152
.LBB13_201:                             ;   in Loop: Header=BB13_81 Depth=1
	v_add_f32_e64 v5, 0x46000000, |v6|
	s_and_not1_b32 s10, s10, exec_lo
	s_mov_b32 s12, 0
	s_delay_alu instid0(VALU_DEP_1) | instskip(NEXT) | instid1(VALU_DEP_1)
	v_and_b32_e32 v11, 0xff, v5
	v_cmp_ne_u32_e32 vcc_lo, 0, v11
	s_and_b32 s13, vcc_lo, exec_lo
	s_delay_alu instid0(SALU_CYCLE_1)
	s_or_b32 s10, s10, s13
	s_or_b32 exec_lo, exec_lo, s11
	v_mov_b32_e32 v5, s12
	s_and_saveexec_b32 s11, s10
	s_cbranch_execnz .LBB13_153
	s_branch .LBB13_154
.LBB13_202:                             ;   in Loop: Header=BB13_81 Depth=1
	v_bfe_u32 v5, v12, 20, 1
	s_mov_b32 s11, exec_lo
	s_delay_alu instid0(VALU_DEP_1) | instskip(NEXT) | instid1(VALU_DEP_1)
	v_add3_u32 v5, v12, v5, 0x487ffff
	v_lshrrev_b32_e32 v13, 20, v5
	s_or_saveexec_b32 s12, s12
                                        ; implicit-def: $sgpr13
	s_delay_alu instid0(SALU_CYCLE_1)
	s_xor_b32 exec_lo, exec_lo, s12
	s_cbranch_execz .LBB13_159
.LBB13_203:                             ;   in Loop: Header=BB13_81 Depth=1
	v_add_f32_e64 v5, 0x46000000, |v12|
	s_and_not1_b32 s11, s11, exec_lo
	s_mov_b32 s13, 0
	s_delay_alu instid0(VALU_DEP_1) | instskip(NEXT) | instid1(VALU_DEP_1)
	v_and_b32_e32 v13, 0xff, v5
	v_cmp_ne_u32_e32 vcc_lo, 0, v13
	s_and_b32 s14, vcc_lo, exec_lo
	s_delay_alu instid0(SALU_CYCLE_1)
	s_or_b32 s11, s11, s14
	s_or_b32 exec_lo, exec_lo, s12
	v_mov_b32_e32 v5, s13
	s_and_saveexec_b32 s12, s11
	s_cbranch_execnz .LBB13_160
	s_branch .LBB13_161
.LBB13_204:                             ;   in Loop: Header=BB13_81 Depth=1
	v_bfe_u32 v6, v11, 20, 1
	s_mov_b32 s11, exec_lo
	s_delay_alu instid0(VALU_DEP_1) | instskip(NEXT) | instid1(VALU_DEP_1)
	v_add3_u32 v6, v11, v6, 0x487ffff
	v_lshrrev_b32_e32 v12, 20, v6
	s_or_saveexec_b32 s12, s12
                                        ; implicit-def: $sgpr13
	s_delay_alu instid0(SALU_CYCLE_1)
	s_xor_b32 exec_lo, exec_lo, s12
	s_cbranch_execz .LBB13_165
.LBB13_205:                             ;   in Loop: Header=BB13_81 Depth=1
	v_add_f32_e64 v6, 0x46000000, |v11|
	s_and_not1_b32 s11, s11, exec_lo
	s_mov_b32 s13, 0
	s_delay_alu instid0(VALU_DEP_1) | instskip(NEXT) | instid1(VALU_DEP_1)
	v_and_b32_e32 v12, 0xff, v6
	v_cmp_ne_u32_e32 vcc_lo, 0, v12
	s_and_b32 s14, vcc_lo, exec_lo
	s_delay_alu instid0(SALU_CYCLE_1)
	s_or_b32 s11, s11, s14
	s_or_b32 exec_lo, exec_lo, s12
	v_mov_b32_e32 v6, s13
	s_and_saveexec_b32 s12, s11
	s_cbranch_execnz .LBB13_166
	s_branch .LBB13_167
.LBB13_206:                             ;   in Loop: Header=BB13_81 Depth=1
	v_bfe_u32 v10, v11, 20, 1
	s_mov_b32 s11, exec_lo
	s_delay_alu instid0(VALU_DEP_1) | instskip(NEXT) | instid1(VALU_DEP_1)
	v_add3_u32 v10, v11, v10, 0x487ffff
	v_lshrrev_b32_e32 v12, 20, v10
	s_or_saveexec_b32 s12, s12
                                        ; implicit-def: $sgpr13
	s_delay_alu instid0(SALU_CYCLE_1)
	s_xor_b32 exec_lo, exec_lo, s12
	s_cbranch_execz .LBB13_171
.LBB13_207:                             ;   in Loop: Header=BB13_81 Depth=1
	v_add_f32_e64 v10, 0x46000000, |v11|
	s_and_not1_b32 s11, s11, exec_lo
	s_mov_b32 s13, 0
	s_delay_alu instid0(VALU_DEP_1) | instskip(NEXT) | instid1(VALU_DEP_1)
	v_and_b32_e32 v12, 0xff, v10
	v_cmp_ne_u32_e32 vcc_lo, 0, v12
	s_and_b32 s14, vcc_lo, exec_lo
	s_delay_alu instid0(SALU_CYCLE_1)
	s_or_b32 s11, s11, s14
	s_or_b32 exec_lo, exec_lo, s12
	v_mov_b32_e32 v10, s13
	s_and_saveexec_b32 s12, s11
	s_cbranch_execnz .LBB13_172
	s_branch .LBB13_173
.LBB13_208:                             ;   in Loop: Header=BB13_81 Depth=1
	v_bfe_u32 v3, v4, 20, 1
	s_mov_b32 s11, exec_lo
	s_delay_alu instid0(VALU_DEP_1) | instskip(NEXT) | instid1(VALU_DEP_1)
	v_add3_u32 v3, v4, v3, 0x487ffff
	v_lshrrev_b32_e32 v9, 20, v3
	s_or_saveexec_b32 s12, s12
                                        ; implicit-def: $sgpr13
	s_delay_alu instid0(SALU_CYCLE_1)
	s_xor_b32 exec_lo, exec_lo, s12
	s_cbranch_execz .LBB13_177
.LBB13_209:                             ;   in Loop: Header=BB13_81 Depth=1
	v_add_f32_e64 v3, 0x46000000, |v4|
	s_and_not1_b32 s11, s11, exec_lo
	s_mov_b32 s13, 0
	s_delay_alu instid0(VALU_DEP_1) | instskip(NEXT) | instid1(VALU_DEP_1)
	v_and_b32_e32 v9, 0xff, v3
	v_cmp_ne_u32_e32 vcc_lo, 0, v9
	s_and_b32 s14, vcc_lo, exec_lo
	s_delay_alu instid0(SALU_CYCLE_1)
	s_or_b32 s11, s11, s14
	s_or_b32 exec_lo, exec_lo, s12
	v_mov_b32_e32 v3, s13
	s_and_saveexec_b32 s12, s11
	s_cbranch_execz .LBB13_76
.LBB13_210:                             ;   in Loop: Header=BB13_81 Depth=1
	v_lshrrev_b32_e32 v3, 24, v4
	s_delay_alu instid0(VALU_DEP_1)
	v_and_or_b32 v3, 0x80, v3, v9
	s_branch .LBB13_76
.LBB13_211:
	s_nop 0
	s_sendmsg sendmsg(MSG_DEALLOC_VGPRS)
	s_endpgm
	.section	.rodata,"a",@progbits
	.p2align	6, 0x0
	.amdhsa_kernel _ZN4vllm39rms_norm_dynamic_per_token_quant_kernelIN3c108BFloat16ENS1_15Float8_e4m3fnuzELb1EEEvPT0_PfPKT_S9_PKffiiPS7_
		.amdhsa_group_segment_fixed_size 528
		.amdhsa_private_segment_fixed_size 0
		.amdhsa_kernarg_size 320
		.amdhsa_user_sgpr_count 15
		.amdhsa_user_sgpr_dispatch_ptr 0
		.amdhsa_user_sgpr_queue_ptr 0
		.amdhsa_user_sgpr_kernarg_segment_ptr 1
		.amdhsa_user_sgpr_dispatch_id 0
		.amdhsa_user_sgpr_private_segment_size 0
		.amdhsa_wavefront_size32 1
		.amdhsa_uses_dynamic_stack 0
		.amdhsa_enable_private_segment 0
		.amdhsa_system_sgpr_workgroup_id_x 1
		.amdhsa_system_sgpr_workgroup_id_y 0
		.amdhsa_system_sgpr_workgroup_id_z 0
		.amdhsa_system_sgpr_workgroup_info 0
		.amdhsa_system_vgpr_workitem_id 0
		.amdhsa_next_free_vgpr 29
		.amdhsa_next_free_sgpr 38
		.amdhsa_reserve_vcc 1
		.amdhsa_float_round_mode_32 0
		.amdhsa_float_round_mode_16_64 0
		.amdhsa_float_denorm_mode_32 3
		.amdhsa_float_denorm_mode_16_64 3
		.amdhsa_dx10_clamp 1
		.amdhsa_ieee_mode 1
		.amdhsa_fp16_overflow 0
		.amdhsa_workgroup_processor_mode 1
		.amdhsa_memory_ordered 1
		.amdhsa_forward_progress 0
		.amdhsa_shared_vgpr_count 0
		.amdhsa_exception_fp_ieee_invalid_op 0
		.amdhsa_exception_fp_denorm_src 0
		.amdhsa_exception_fp_ieee_div_zero 0
		.amdhsa_exception_fp_ieee_overflow 0
		.amdhsa_exception_fp_ieee_underflow 0
		.amdhsa_exception_fp_ieee_inexact 0
		.amdhsa_exception_int_div_zero 0
	.end_amdhsa_kernel
	.section	.text._ZN4vllm39rms_norm_dynamic_per_token_quant_kernelIN3c108BFloat16ENS1_15Float8_e4m3fnuzELb1EEEvPT0_PfPKT_S9_PKffiiPS7_,"axG",@progbits,_ZN4vllm39rms_norm_dynamic_per_token_quant_kernelIN3c108BFloat16ENS1_15Float8_e4m3fnuzELb1EEEvPT0_PfPKT_S9_PKffiiPS7_,comdat
.Lfunc_end13:
	.size	_ZN4vllm39rms_norm_dynamic_per_token_quant_kernelIN3c108BFloat16ENS1_15Float8_e4m3fnuzELb1EEEvPT0_PfPKT_S9_PKffiiPS7_, .Lfunc_end13-_ZN4vllm39rms_norm_dynamic_per_token_quant_kernelIN3c108BFloat16ENS1_15Float8_e4m3fnuzELb1EEEvPT0_PfPKT_S9_PKffiiPS7_
                                        ; -- End function
	.section	.AMDGPU.csdata,"",@progbits
; Kernel info:
; codeLenInByte = 18136
; NumSgprs: 40
; NumVgprs: 29
; ScratchSize: 0
; MemoryBound: 0
; FloatMode: 240
; IeeeMode: 1
; LDSByteSize: 528 bytes/workgroup (compile time only)
; SGPRBlocks: 4
; VGPRBlocks: 3
; NumSGPRsForWavesPerEU: 40
; NumVGPRsForWavesPerEU: 29
; Occupancy: 16
; WaveLimiterHint : 0
; COMPUTE_PGM_RSRC2:SCRATCH_EN: 0
; COMPUTE_PGM_RSRC2:USER_SGPR: 15
; COMPUTE_PGM_RSRC2:TRAP_HANDLER: 0
; COMPUTE_PGM_RSRC2:TGID_X_EN: 1
; COMPUTE_PGM_RSRC2:TGID_Y_EN: 0
; COMPUTE_PGM_RSRC2:TGID_Z_EN: 0
; COMPUTE_PGM_RSRC2:TIDIG_COMP_CNT: 0
	.section	.text._ZN4vllm39rms_norm_dynamic_per_token_quant_kernelIN3c108BFloat16EaLb1EEEvPT0_PfPKT_S8_PKffiiPS6_,"axG",@progbits,_ZN4vllm39rms_norm_dynamic_per_token_quant_kernelIN3c108BFloat16EaLb1EEEvPT0_PfPKT_S8_PKffiiPS6_,comdat
	.protected	_ZN4vllm39rms_norm_dynamic_per_token_quant_kernelIN3c108BFloat16EaLb1EEEvPT0_PfPKT_S8_PKffiiPS6_ ; -- Begin function _ZN4vllm39rms_norm_dynamic_per_token_quant_kernelIN3c108BFloat16EaLb1EEEvPT0_PfPKT_S8_PKffiiPS6_
	.globl	_ZN4vllm39rms_norm_dynamic_per_token_quant_kernelIN3c108BFloat16EaLb1EEEvPT0_PfPKT_S8_PKffiiPS6_
	.p2align	8
	.type	_ZN4vllm39rms_norm_dynamic_per_token_quant_kernelIN3c108BFloat16EaLb1EEEvPT0_PfPKT_S8_PKffiiPS6_,@function
_ZN4vllm39rms_norm_dynamic_per_token_quant_kernelIN3c108BFloat16EaLb1EEEvPT0_PfPKT_S8_PKffiiPS6_: ; @_ZN4vllm39rms_norm_dynamic_per_token_quant_kernelIN3c108BFloat16EaLb1EEEvPT0_PfPKT_S8_PKffiiPS6_
; %bb.0:
	s_mov_b32 s24, s15
	s_clause 0x3
	s_load_b128 s[20:23], s[0:1], 0x28
	s_load_b64 s[26:27], s[0:1], 0x20
	s_load_b256 s[12:19], s[0:1], 0x0
	s_load_b64 s[28:29], s[0:1], 0x38
	s_waitcnt lgkmcnt(0)
	s_or_b32 s2, s22, s21
	s_delay_alu instid0(SALU_CYCLE_1) | instskip(NEXT) | instid1(SALU_CYCLE_1)
	s_and_b32 s2, s2, 3
	s_cmp_lg_u32 s2, 0
	s_cbranch_scc0 .LBB14_31
; %bb.1:
	v_cmp_gt_u32_e64 s2, s21, v0
	v_cmp_le_u32_e64 s3, s21, v0
                                        ; implicit-def: $sgpr7
                                        ; implicit-def: $sgpr4_sgpr5
	s_delay_alu instid0(VALU_DEP_1) | instskip(NEXT) | instid1(SALU_CYCLE_1)
	s_and_saveexec_b32 s6, s3
	s_xor_b32 s6, exec_lo, s6
; %bb.2:
	s_add_u32 s4, s0, 64
	s_addc_u32 s5, s1, 0
	s_mov_b32 s7, 0
; %bb.3:
	s_or_saveexec_b32 s6, s6
	v_dual_mov_b32 v1, s4 :: v_dual_mov_b32 v4, s24
	v_dual_mov_b32 v3, s7 :: v_dual_mov_b32 v2, s5
	s_xor_b32 exec_lo, exec_lo, s6
	s_cbranch_execz .LBB14_7
; %bb.4:
	s_load_b32 s23, s[0:1], 0x4c
	s_ashr_i32 s5, s22, 31
	s_ashr_i32 s4, s21, 31
	s_mul_hi_u32 s8, s22, s24
	s_mul_i32 s5, s5, s24
	s_mul_i32 s9, s4, s24
	s_add_i32 s5, s8, s5
	s_mul_i32 s4, s22, s24
	s_mul_hi_u32 s7, s21, s24
	s_lshl_b64 s[4:5], s[4:5], 1
	s_add_i32 s11, s7, s9
	s_mul_i32 s10, s21, s24
	s_add_u32 s7, s16, s4
	s_addc_u32 s8, s17, s5
	s_lshl_b64 s[4:5], s[10:11], 1
	v_dual_mov_b32 v2, 0 :: v_dual_mov_b32 v3, 0
	s_add_u32 s9, s28, s4
	v_mov_b32_e32 v1, v0
	s_addc_u32 s10, s29, s5
	s_add_u32 s4, s0, 64
	s_addc_u32 s5, s1, 0
	s_waitcnt lgkmcnt(0)
	s_and_b32 s23, s23, 0xffff
	s_mov_b32 s11, 0
	.p2align	6
.LBB14_5:                               ; =>This Inner Loop Header: Depth=1
	v_lshlrev_b64 v[4:5], 1, v[1:2]
	v_add_nc_u32_e32 v1, s23, v1
	s_delay_alu instid0(VALU_DEP_2) | instskip(NEXT) | instid1(VALU_DEP_3)
	v_add_co_u32 v6, vcc_lo, s9, v4
	v_add_co_ci_u32_e32 v7, vcc_lo, s10, v5, vcc_lo
	v_add_co_u32 v4, vcc_lo, s7, v4
	v_add_co_ci_u32_e32 v5, vcc_lo, s8, v5, vcc_lo
	v_cmp_le_u32_e32 vcc_lo, s21, v1
	global_load_u16 v6, v[6:7], off
	global_load_u16 v4, v[4:5], off
	s_or_b32 s11, vcc_lo, s11
	s_waitcnt vmcnt(1)
	v_lshlrev_b32_e32 v5, 16, v6
	s_waitcnt vmcnt(0)
	v_lshlrev_b32_e32 v4, 16, v4
	s_delay_alu instid0(VALU_DEP_1) | instskip(NEXT) | instid1(VALU_DEP_1)
	v_add_f32_e32 v4, v4, v5
	v_fmac_f32_e32 v3, v4, v4
	s_and_not1_b32 exec_lo, exec_lo, s11
	s_cbranch_execnz .LBB14_5
; %bb.6:
	s_or_b32 exec_lo, exec_lo, s11
	v_dual_mov_b32 v1, s4 :: v_dual_mov_b32 v2, s5
	v_mov_b32_e32 v4, s24
.LBB14_7:
	s_or_b32 exec_lo, exec_lo, s6
	global_load_b32 v5, v[1:2], off
	v_and_b32_e32 v14, 0x3e0, v0
	s_waitcnt vmcnt(0)
	v_cmp_lt_u32_e32 vcc_lo, v4, v5
	v_cndmask_b32_e64 v4, 18, 12, vcc_lo
	s_delay_alu instid0(VALU_DEP_1) | instskip(SKIP_3) | instid1(VALU_DEP_1)
	v_add_co_u32 v1, vcc_lo, v1, v4
	v_add_co_ci_u32_e32 v2, vcc_lo, 0, v2, vcc_lo
	global_load_u16 v1, v[1:2], off
	v_mbcnt_lo_u32_b32 v2, -1, 0
	v_cmp_ne_u32_e32 vcc_lo, 31, v2
	v_add_nc_u32_e32 v5, 1, v2
	v_cmp_eq_u32_e64 s5, 0, v2
	v_add_co_ci_u32_e32 v4, vcc_lo, 0, v2, vcc_lo
	v_cmp_gt_u32_e32 vcc_lo, 30, v2
	s_delay_alu instid0(VALU_DEP_2) | instskip(SKIP_4) | instid1(VALU_DEP_1)
	v_lshlrev_b32_e32 v4, 2, v4
	v_cndmask_b32_e64 v7, 0, 1, vcc_lo
	ds_bpermute_b32 v6, v4, v3
	s_waitcnt lgkmcnt(0)
	v_dual_add_f32 v8, v3, v6 :: v_dual_lshlrev_b32 v7, 1, v7
	v_add_lshl_u32 v6, v7, v2, 2
	s_waitcnt vmcnt(0)
	v_sub_nc_u32_e64 v15, v1, v14 clamp
	s_delay_alu instid0(VALU_DEP_1) | instskip(SKIP_3) | instid1(VALU_DEP_1)
	v_cmp_lt_u32_e32 vcc_lo, v5, v15
	v_cndmask_b32_e32 v3, v3, v8, vcc_lo
	v_cmp_gt_u32_e32 vcc_lo, 28, v2
	v_cndmask_b32_e64 v8, 0, 1, vcc_lo
	v_lshlrev_b32_e32 v9, 2, v8
	v_add_nc_u32_e32 v8, 2, v2
	ds_bpermute_b32 v7, v6, v3
	v_cmp_lt_u32_e32 vcc_lo, v8, v15
	s_waitcnt lgkmcnt(0)
	v_add_f32_e32 v10, v3, v7
	v_add_lshl_u32 v7, v9, v2, 2
	s_delay_alu instid0(VALU_DEP_2) | instskip(SKIP_4) | instid1(VALU_DEP_1)
	v_cndmask_b32_e32 v3, v3, v10, vcc_lo
	v_cmp_gt_u32_e32 vcc_lo, 24, v2
	ds_bpermute_b32 v9, v7, v3
	v_cndmask_b32_e64 v10, 0, 1, vcc_lo
	s_waitcnt lgkmcnt(0)
	v_dual_add_f32 v12, v3, v9 :: v_dual_lshlrev_b32 v11, 3, v10
	v_add_nc_u32_e32 v10, 4, v2
	s_delay_alu instid0(VALU_DEP_2) | instskip(NEXT) | instid1(VALU_DEP_2)
	v_add_lshl_u32 v9, v11, v2, 2
	v_cmp_lt_u32_e32 vcc_lo, v10, v15
	s_delay_alu instid0(VALU_DEP_4) | instskip(SKIP_4) | instid1(VALU_DEP_1)
	v_cndmask_b32_e32 v3, v3, v12, vcc_lo
	v_cmp_gt_u32_e32 vcc_lo, 16, v2
	ds_bpermute_b32 v11, v9, v3
	v_cndmask_b32_e64 v12, 0, 1, vcc_lo
	s_waitcnt lgkmcnt(0)
	v_dual_add_f32 v16, v3, v11 :: v_dual_lshlrev_b32 v13, 4, v12
	v_add_nc_u32_e32 v12, 8, v2
	s_delay_alu instid0(VALU_DEP_2) | instskip(NEXT) | instid1(VALU_DEP_2)
	v_add_lshl_u32 v11, v13, v2, 2
	v_cmp_lt_u32_e32 vcc_lo, v12, v15
	s_delay_alu instid0(VALU_DEP_4) | instskip(SKIP_3) | instid1(VALU_DEP_1)
	v_cndmask_b32_e32 v3, v3, v16, vcc_lo
	ds_bpermute_b32 v16, v11, v3
	s_waitcnt lgkmcnt(0)
	v_dual_add_f32 v16, v3, v16 :: v_dual_add_nc_u32 v13, 16, v2
	v_cmp_lt_u32_e32 vcc_lo, v13, v15
	s_delay_alu instid0(VALU_DEP_2)
	v_cndmask_b32_e32 v3, v3, v16, vcc_lo
	s_and_saveexec_b32 s4, s5
	s_cbranch_execz .LBB14_9
; %bb.8:
	v_lshrrev_b32_e32 v15, 3, v0
	s_delay_alu instid0(VALU_DEP_1)
	v_and_b32_e32 v15, 0x7c, v15
	ds_store_b32 v15, v3 offset:256
.LBB14_9:
	s_or_b32 exec_lo, exec_lo, s4
	v_cmp_gt_u32_e64 s6, 32, v0
	v_lshlrev_b32_e32 v15, 2, v2
	s_waitcnt lgkmcnt(0)
	s_barrier
	buffer_gl0_inv
	s_and_saveexec_b32 s4, s6
	s_cbranch_execz .LBB14_11
; %bb.10:
	ds_load_b32 v2, v15 offset:256
	s_waitcnt lgkmcnt(0)
	ds_bpermute_b32 v3, v4, v2
	s_waitcnt lgkmcnt(0)
	v_add_f32_e32 v3, v2, v3
	v_add_nc_u32_e32 v1, 31, v1
	s_delay_alu instid0(VALU_DEP_1) | instskip(NEXT) | instid1(VALU_DEP_1)
	v_lshrrev_b32_e32 v1, 5, v1
	v_cmp_lt_u32_e32 vcc_lo, v5, v1
	s_delay_alu instid0(VALU_DEP_4) | instskip(SKIP_4) | instid1(VALU_DEP_1)
	v_cndmask_b32_e32 v2, v2, v3, vcc_lo
	v_cmp_lt_u32_e32 vcc_lo, v8, v1
	ds_bpermute_b32 v3, v6, v2
	s_waitcnt lgkmcnt(0)
	v_add_f32_e32 v3, v2, v3
	v_cndmask_b32_e32 v2, v2, v3, vcc_lo
	v_cmp_lt_u32_e32 vcc_lo, v10, v1
	ds_bpermute_b32 v3, v7, v2
	s_waitcnt lgkmcnt(0)
	v_add_f32_e32 v3, v2, v3
	s_delay_alu instid0(VALU_DEP_1) | instskip(SKIP_4) | instid1(VALU_DEP_1)
	v_cndmask_b32_e32 v2, v2, v3, vcc_lo
	v_cmp_lt_u32_e32 vcc_lo, v12, v1
	ds_bpermute_b32 v3, v9, v2
	s_waitcnt lgkmcnt(0)
	v_add_f32_e32 v3, v2, v3
	v_cndmask_b32_e32 v2, v2, v3, vcc_lo
	v_cmp_lt_u32_e32 vcc_lo, v13, v1
	ds_bpermute_b32 v3, v11, v2
	s_waitcnt lgkmcnt(0)
	v_add_f32_e32 v3, v2, v3
	s_delay_alu instid0(VALU_DEP_1)
	v_cndmask_b32_e32 v3, v2, v3, vcc_lo
.LBB14_11:
	s_or_b32 exec_lo, exec_lo, s4
	v_cmp_eq_u32_e64 s4, 0, v0
	s_mov_b32 s25, 0
	s_delay_alu instid0(VALU_DEP_1)
	s_and_saveexec_b32 s7, s4
	s_cbranch_execz .LBB14_13
; %bb.12:
	v_cvt_f32_i32_e32 v1, s21
	s_delay_alu instid0(VALU_DEP_1) | instskip(SKIP_1) | instid1(VALU_DEP_2)
	v_div_scale_f32 v2, null, v1, v1, v3
	v_div_scale_f32 v18, vcc_lo, v3, v1, v3
	v_rcp_f32_e32 v16, v2
	s_waitcnt_depctr 0xfff
	v_fma_f32 v17, -v2, v16, 1.0
	s_delay_alu instid0(VALU_DEP_1) | instskip(NEXT) | instid1(VALU_DEP_1)
	v_fmac_f32_e32 v16, v17, v16
	v_mul_f32_e32 v17, v18, v16
	s_delay_alu instid0(VALU_DEP_1) | instskip(NEXT) | instid1(VALU_DEP_1)
	v_fma_f32 v19, -v2, v17, v18
	v_fmac_f32_e32 v17, v19, v16
	s_delay_alu instid0(VALU_DEP_1) | instskip(NEXT) | instid1(VALU_DEP_1)
	v_fma_f32 v2, -v2, v17, v18
	v_div_fmas_f32 v2, v2, v16, v17
	s_delay_alu instid0(VALU_DEP_1) | instskip(NEXT) | instid1(VALU_DEP_1)
	v_div_fixup_f32 v1, v2, v1, v3
	v_add_f32_e32 v1, s20, v1
	s_delay_alu instid0(VALU_DEP_1) | instskip(SKIP_1) | instid1(VALU_DEP_2)
	v_mul_f32_e32 v2, 0x4b800000, v1
	v_cmp_gt_f32_e32 vcc_lo, 0x800000, v1
	v_cndmask_b32_e32 v1, v1, v2, vcc_lo
	s_delay_alu instid0(VALU_DEP_1) | instskip(SKIP_2) | instid1(VALU_DEP_1)
	v_rsq_f32_e32 v1, v1
	s_waitcnt_depctr 0xfff
	v_mul_f32_e32 v2, 0x45800000, v1
	v_dual_cndmask_b32 v1, v1, v2 :: v_dual_mov_b32 v2, 0
	ds_store_b32 v2, v1 offset:520
.LBB14_13:
	s_or_b32 exec_lo, exec_lo, s7
	v_mov_b32_e32 v1, 0
	s_waitcnt lgkmcnt(0)
	s_barrier
	buffer_gl0_inv
                                        ; implicit-def: $sgpr7
                                        ; implicit-def: $sgpr8_sgpr9
	ds_load_b32 v3, v1 offset:520
	s_waitcnt lgkmcnt(0)
	s_barrier
	buffer_gl0_inv
	s_and_saveexec_b32 s10, s3
	s_delay_alu instid0(SALU_CYCLE_1)
	s_xor_b32 s3, exec_lo, s10
; %bb.14:
	s_add_u32 s8, s0, 64
	s_addc_u32 s9, s1, 0
	s_mov_b32 s7, 0
; %bb.15:
	s_or_saveexec_b32 s3, s3
	v_dual_mov_b32 v16, s7 :: v_dual_mov_b32 v1, s8
	v_mov_b32_e32 v2, s9
	s_mul_hi_u32 s11, s21, s24
	s_mul_i32 s30, s21, s24
	s_mul_hi_u32 s23, s22, s24
	s_mul_i32 s34, s22, s24
	s_xor_b32 exec_lo, exec_lo, s3
	s_cbranch_execz .LBB14_19
; %bb.16:
	s_load_b32 s36, s[0:1], 0x4c
	s_ashr_i32 s8, s22, 31
	s_ashr_i32 s7, s21, 31
	s_mul_i32 s8, s8, s24
	s_mul_i32 s7, s7, s24
	s_add_i32 s35, s23, s8
	s_add_i32 s31, s11, s7
	s_lshl_b64 s[8:9], s[34:35], 1
	v_dual_mov_b32 v2, 0 :: v_dual_mov_b32 v1, v0
	s_add_u32 s7, s16, s8
	s_addc_u32 s10, s17, s9
	s_lshl_b64 s[8:9], s[30:31], 1
	v_mov_b32_e32 v16, 0
	s_add_u32 s31, s28, s8
	s_addc_u32 s33, s29, s9
	s_add_u32 s8, s0, 64
	s_addc_u32 s9, s1, 0
	s_mov_b32 s35, 0
	s_waitcnt lgkmcnt(0)
	s_and_b32 s36, s36, 0xffff
.LBB14_17:                              ; =>This Inner Loop Header: Depth=1
	v_lshlrev_b64 v[17:18], 1, v[1:2]
	s_delay_alu instid0(VALU_DEP_2) | instskip(NEXT) | instid1(VALU_DEP_2)
	v_dual_max_f32 v16, v16, v16 :: v_dual_add_nc_u32 v1, s36, v1
	v_add_co_u32 v19, vcc_lo, s31, v17
	s_delay_alu instid0(VALU_DEP_3)
	v_add_co_ci_u32_e32 v20, vcc_lo, s33, v18, vcc_lo
	v_add_co_u32 v21, vcc_lo, s7, v17
	v_add_co_ci_u32_e32 v22, vcc_lo, s10, v18, vcc_lo
	v_add_co_u32 v17, vcc_lo, s18, v17
	global_load_u16 v19, v[19:20], off
	global_load_u16 v20, v[21:22], off
	v_add_co_ci_u32_e32 v18, vcc_lo, s19, v18, vcc_lo
	global_load_u16 v17, v[17:18], off
	s_waitcnt vmcnt(2)
	v_lshlrev_b32_e32 v18, 16, v19
	s_waitcnt vmcnt(1)
	v_lshlrev_b32_e32 v19, 16, v20
	s_delay_alu instid0(VALU_DEP_1) | instskip(NEXT) | instid1(VALU_DEP_1)
	v_add_f32_e32 v18, v19, v18
	v_mul_f32_e32 v18, v3, v18
	s_delay_alu instid0(VALU_DEP_1) | instskip(SKIP_1) | instid1(VALU_DEP_2)
	v_bfe_u32 v19, v18, 16, 1
	v_cmp_o_f32_e32 vcc_lo, v18, v18
	v_add3_u32 v19, v18, v19, 0x7fff
	s_delay_alu instid0(VALU_DEP_1) | instskip(SKIP_1) | instid1(VALU_DEP_1)
	v_and_b32_e32 v19, 0xffff0000, v19
	s_waitcnt vmcnt(0)
	v_dual_cndmask_b32 v18, 0x7fc00000, v19 :: v_dual_lshlrev_b32 v17, 16, v17
	s_delay_alu instid0(VALU_DEP_1) | instskip(NEXT) | instid1(VALU_DEP_1)
	v_mul_f32_e32 v17, v18, v17
	v_bfe_u32 v18, v17, 16, 1
	s_delay_alu instid0(VALU_DEP_1) | instskip(NEXT) | instid1(VALU_DEP_1)
	v_add3_u32 v18, v17, v18, 0x7fff
	v_and_b32_e32 v18, 0xffff0000, v18
	v_cmp_o_f32_e32 vcc_lo, v17, v17
	s_delay_alu instid0(VALU_DEP_2) | instskip(SKIP_1) | instid1(VALU_DEP_2)
	v_cndmask_b32_e64 v17, 0x7fc00000, |v18|, vcc_lo
	v_cmp_le_u32_e32 vcc_lo, s21, v1
	v_max_f32_e32 v17, v17, v17
	s_or_b32 s35, vcc_lo, s35
	s_delay_alu instid0(VALU_DEP_1)
	v_max_f32_e32 v16, v16, v17
	s_and_not1_b32 exec_lo, exec_lo, s35
	s_cbranch_execnz .LBB14_17
; %bb.18:
	s_or_b32 exec_lo, exec_lo, s35
	v_dual_mov_b32 v1, s8 :: v_dual_mov_b32 v2, s9
.LBB14_19:
	s_or_b32 exec_lo, exec_lo, s3
	global_load_b32 v17, v[1:2], off
	s_waitcnt vmcnt(0)
	v_cmp_lt_u32_e32 vcc_lo, s24, v17
	v_cndmask_b32_e64 v17, 18, 12, vcc_lo
	s_delay_alu instid0(VALU_DEP_1)
	v_add_co_u32 v1, vcc_lo, v1, v17
	v_add_co_ci_u32_e32 v2, vcc_lo, 0, v2, vcc_lo
	global_load_u16 v1, v[1:2], off
	ds_bpermute_b32 v2, v4, v16
	s_waitcnt lgkmcnt(0)
	v_cmp_lt_f32_e32 vcc_lo, v16, v2
	v_cndmask_b32_e32 v2, v16, v2, vcc_lo
	s_waitcnt vmcnt(0)
	v_sub_nc_u32_e64 v14, v1, v14 clamp
	s_delay_alu instid0(VALU_DEP_1)
	v_cmp_lt_u32_e32 vcc_lo, v5, v14
	v_cmp_lt_u32_e64 s9, v13, v14
	v_cndmask_b32_e32 v2, v16, v2, vcc_lo
	ds_bpermute_b32 v17, v6, v2
	s_waitcnt lgkmcnt(0)
	v_cmp_lt_f32_e64 s3, v2, v17
	s_delay_alu instid0(VALU_DEP_1) | instskip(SKIP_1) | instid1(VALU_DEP_1)
	v_cndmask_b32_e64 v17, v2, v17, s3
	v_cmp_lt_u32_e64 s3, v8, v14
	v_cndmask_b32_e64 v2, v2, v17, s3
	s_or_b32 s3, vcc_lo, s3
	ds_bpermute_b32 v17, v7, v2
	s_waitcnt lgkmcnt(0)
	v_cmp_lt_f32_e64 s7, v2, v17
	s_delay_alu instid0(VALU_DEP_1) | instskip(SKIP_1) | instid1(VALU_DEP_1)
	v_cndmask_b32_e64 v17, v2, v17, s7
	v_cmp_lt_u32_e64 s7, v10, v14
	v_cndmask_b32_e64 v2, v2, v17, s7
	s_or_b32 s3, s7, s3
	ds_bpermute_b32 v17, v9, v2
	s_waitcnt lgkmcnt(0)
	v_cmp_lt_f32_e64 s8, v2, v17
	s_delay_alu instid0(VALU_DEP_1) | instskip(SKIP_1) | instid1(VALU_DEP_1)
	v_cndmask_b32_e64 v17, v2, v17, s8
	v_cmp_lt_u32_e64 s8, v12, v14
	v_cndmask_b32_e64 v2, v2, v17, s8
	s_or_b32 s3, s8, s3
	ds_bpermute_b32 v17, v11, v2
	s_waitcnt lgkmcnt(0)
	v_cmp_lt_f32_e64 s10, v2, v17
	s_delay_alu instid0(VALU_DEP_1) | instskip(SKIP_2) | instid1(VALU_DEP_1)
	s_and_b32 vcc_lo, s9, s10
	v_cndmask_b32_e32 v2, v2, v17, vcc_lo
	s_or_b32 vcc_lo, s9, s3
	v_cndmask_b32_e32 v2, v16, v2, vcc_lo
	s_and_saveexec_b32 s3, s5
	s_cbranch_execz .LBB14_21
; %bb.20:
	v_lshrrev_b32_e32 v14, 3, v0
	s_delay_alu instid0(VALU_DEP_1)
	v_and_b32_e32 v14, 0x7c, v14
	ds_store_b32 v14, v2 offset:384
.LBB14_21:
	s_or_b32 exec_lo, exec_lo, s3
	s_waitcnt lgkmcnt(0)
	s_barrier
	buffer_gl0_inv
	s_and_saveexec_b32 s9, s6
	s_cbranch_execz .LBB14_23
; %bb.22:
	ds_load_b32 v2, v15 offset:384
	s_waitcnt lgkmcnt(0)
	ds_bpermute_b32 v4, v4, v2
	s_waitcnt lgkmcnt(0)
	v_cmp_lt_f32_e32 vcc_lo, v2, v4
	v_dual_cndmask_b32 v4, v2, v4 :: v_dual_add_nc_u32 v1, 31, v1
	s_delay_alu instid0(VALU_DEP_1) | instskip(NEXT) | instid1(VALU_DEP_1)
	v_lshrrev_b32_e32 v1, 5, v1
	v_cmp_lt_u32_e32 vcc_lo, v5, v1
	v_cmp_lt_u32_e64 s7, v13, v1
	s_delay_alu instid0(VALU_DEP_4) | instskip(SKIP_3) | instid1(VALU_DEP_1)
	v_cndmask_b32_e32 v4, v2, v4, vcc_lo
	ds_bpermute_b32 v5, v6, v4
	s_waitcnt lgkmcnt(0)
	v_cmp_lt_f32_e64 s3, v4, v5
	v_cndmask_b32_e64 v5, v4, v5, s3
	v_cmp_lt_u32_e64 s3, v8, v1
	s_delay_alu instid0(VALU_DEP_1) | instskip(SKIP_4) | instid1(VALU_DEP_1)
	v_cndmask_b32_e64 v4, v4, v5, s3
	s_or_b32 s3, vcc_lo, s3
	ds_bpermute_b32 v5, v7, v4
	s_waitcnt lgkmcnt(0)
	v_cmp_lt_f32_e64 s5, v4, v5
	v_cndmask_b32_e64 v5, v4, v5, s5
	v_cmp_lt_u32_e64 s5, v10, v1
	s_delay_alu instid0(VALU_DEP_1) | instskip(SKIP_4) | instid1(VALU_DEP_1)
	v_cndmask_b32_e64 v4, v4, v5, s5
	s_or_b32 s3, s5, s3
	ds_bpermute_b32 v5, v9, v4
	s_waitcnt lgkmcnt(0)
	v_cmp_lt_f32_e64 s6, v4, v5
	v_cndmask_b32_e64 v5, v4, v5, s6
	v_cmp_lt_u32_e64 s6, v12, v1
	s_delay_alu instid0(VALU_DEP_1) | instskip(SKIP_4) | instid1(VALU_DEP_1)
	v_cndmask_b32_e64 v4, v4, v5, s6
	s_or_b32 s3, s6, s3
	ds_bpermute_b32 v5, v11, v4
	s_waitcnt lgkmcnt(0)
	v_cmp_lt_f32_e64 s8, v4, v5
	s_and_b32 vcc_lo, s7, s8
	v_cndmask_b32_e32 v1, v4, v5, vcc_lo
	s_or_b32 vcc_lo, s7, s3
	s_delay_alu instid0(VALU_DEP_1)
	v_cndmask_b32_e32 v2, v2, v1, vcc_lo
.LBB14_23:
	s_or_b32 exec_lo, exec_lo, s9
	s_and_saveexec_b32 s3, s4
	s_cbranch_execz .LBB14_27
; %bb.24:
	s_cmp_eq_u64 s[26:27], 0
	s_cbranch_scc1 .LBB14_26
; %bb.25:
	s_load_b32 s4, s[26:27], 0x0
	v_max_f32_e32 v1, v2, v2
	s_waitcnt lgkmcnt(0)
	v_max_f32_e64 v2, s4, s4
	s_delay_alu instid0(VALU_DEP_1)
	v_min_f32_e32 v2, v1, v2
.LBB14_26:
	s_delay_alu instid0(VALU_DEP_1) | instskip(SKIP_2) | instid1(VALU_DEP_2)
	v_div_scale_f32 v1, null, 0x42fe0000, 0x42fe0000, v2
	v_div_scale_f32 v6, vcc_lo, v2, 0x42fe0000, v2
	s_lshl_b64 s[4:5], s[24:25], 2
	v_rcp_f32_e32 v4, v1
	s_add_u32 s4, s14, s4
	s_addc_u32 s5, s15, s5
	s_waitcnt_depctr 0xfff
	v_fma_f32 v5, -v1, v4, 1.0
	s_delay_alu instid0(VALU_DEP_1) | instskip(NEXT) | instid1(VALU_DEP_1)
	v_fmac_f32_e32 v4, v5, v4
	v_mul_f32_e32 v5, v6, v4
	s_delay_alu instid0(VALU_DEP_1) | instskip(NEXT) | instid1(VALU_DEP_1)
	v_fma_f32 v7, -v1, v5, v6
	v_fmac_f32_e32 v5, v7, v4
	s_delay_alu instid0(VALU_DEP_1) | instskip(NEXT) | instid1(VALU_DEP_1)
	v_fma_f32 v1, -v1, v5, v6
	v_div_fmas_f32 v1, v1, v4, v5
	s_delay_alu instid0(VALU_DEP_1) | instskip(NEXT) | instid1(VALU_DEP_1)
	v_div_fixup_f32 v1, v1, 0x42fe0000, v2
	v_dual_mov_b32 v2, 0 :: v_dual_max_f32 v1, 0x34000000, v1
	ds_store_b32 v2, v1 offset:524
	global_store_b32 v2, v1, s[4:5]
.LBB14_27:
	s_or_b32 exec_lo, exec_lo, s3
	s_waitcnt lgkmcnt(0)
	s_waitcnt_vscnt null, 0x0
	s_barrier
	buffer_gl0_inv
	s_and_saveexec_b32 s3, s2
	s_cbranch_execz .LBB14_30
; %bb.28:
	v_mov_b32_e32 v2, 0
	s_load_b32 s2, s[0:1], 0x4c
	s_ashr_i32 s4, s22, 31
	s_ashr_i32 s5, s21, 31
	s_mul_i32 s4, s4, s24
	ds_load_b32 v1, v2 offset:524
	s_add_i32 s35, s23, s4
	s_mul_i32 s5, s5, s24
	s_lshl_b64 s[6:7], s[34:35], 1
	s_add_i32 s4, s11, s5
	s_add_u32 s5, s16, s6
	s_addc_u32 s6, s17, s7
	s_mov_b32 s8, 0
	s_waitcnt lgkmcnt(0)
	s_and_b32 s7, s2, 0xffff
	v_div_scale_f32 v4, null, v1, v1, 1.0
	v_div_scale_f32 v7, vcc_lo, 1.0, v1, 1.0
	s_delay_alu instid0(VALU_DEP_2) | instskip(SKIP_2) | instid1(VALU_DEP_1)
	v_rcp_f32_e32 v5, v4
	s_waitcnt_depctr 0xfff
	v_fma_f32 v6, -v4, v5, 1.0
	v_fmac_f32_e32 v5, v6, v5
	s_delay_alu instid0(VALU_DEP_1) | instskip(NEXT) | instid1(VALU_DEP_1)
	v_mul_f32_e32 v6, v7, v5
	v_fma_f32 v8, -v4, v6, v7
	s_delay_alu instid0(VALU_DEP_1) | instskip(NEXT) | instid1(VALU_DEP_1)
	v_fmac_f32_e32 v6, v8, v5
	v_fma_f32 v4, -v4, v6, v7
	s_delay_alu instid0(VALU_DEP_1) | instskip(NEXT) | instid1(VALU_DEP_1)
	v_div_fmas_f32 v4, v4, v5, v6
	v_div_fixup_f32 v4, v4, v1, 1.0
	v_mov_b32_e32 v1, v0
.LBB14_29:                              ; =>This Inner Loop Header: Depth=1
	s_delay_alu instid0(VALU_DEP_1) | instskip(NEXT) | instid1(VALU_DEP_1)
	v_add_co_u32 v5, s2, s30, v1
	v_add_co_ci_u32_e64 v6, null, s4, 0, s2
	v_lshlrev_b64 v[7:8], 1, v[1:2]
	v_add_nc_u32_e32 v1, s7, v1
	s_delay_alu instid0(VALU_DEP_3) | instskip(NEXT) | instid1(VALU_DEP_3)
	v_lshlrev_b64 v[9:10], 1, v[5:6]
	v_add_co_u32 v11, vcc_lo, s5, v7
	s_delay_alu instid0(VALU_DEP_4) | instskip(NEXT) | instid1(VALU_DEP_3)
	v_add_co_ci_u32_e32 v12, vcc_lo, s6, v8, vcc_lo
	v_add_co_u32 v9, vcc_lo, s28, v9
	s_delay_alu instid0(VALU_DEP_4)
	v_add_co_ci_u32_e32 v10, vcc_lo, s29, v10, vcc_lo
	global_load_u16 v11, v[11:12], off
	global_load_u16 v12, v[9:10], off
	v_add_co_u32 v7, vcc_lo, s18, v7
	v_add_co_ci_u32_e32 v8, vcc_lo, s19, v8, vcc_lo
	global_load_u16 v7, v[7:8], off
	s_waitcnt vmcnt(2)
	v_lshlrev_b32_e32 v8, 16, v11
	s_waitcnt vmcnt(1)
	v_lshlrev_b32_e32 v11, 16, v12
	s_delay_alu instid0(VALU_DEP_1) | instskip(SKIP_2) | instid1(VALU_DEP_2)
	v_add_f32_e32 v8, v8, v11
	s_waitcnt vmcnt(0)
	v_lshlrev_b32_e32 v7, 16, v7
	v_mul_f32_e32 v11, v3, v8
	s_delay_alu instid0(VALU_DEP_1) | instskip(SKIP_1) | instid1(VALU_DEP_2)
	v_bfe_u32 v12, v11, 16, 1
	v_cmp_o_f32_e32 vcc_lo, v11, v11
	v_add3_u32 v12, v11, v12, 0x7fff
	s_delay_alu instid0(VALU_DEP_1) | instskip(NEXT) | instid1(VALU_DEP_1)
	v_and_b32_e32 v12, 0xffff0000, v12
	v_cndmask_b32_e32 v11, 0x7fc00000, v12, vcc_lo
	s_delay_alu instid0(VALU_DEP_1) | instskip(NEXT) | instid1(VALU_DEP_1)
	v_mul_f32_e32 v7, v11, v7
	v_bfe_u32 v11, v7, 16, 1
	v_cmp_o_f32_e32 vcc_lo, v7, v7
	s_delay_alu instid0(VALU_DEP_2) | instskip(NEXT) | instid1(VALU_DEP_1)
	v_add3_u32 v11, v7, v11, 0x7fff
	v_and_b32_e32 v11, 0xffff0000, v11
	s_delay_alu instid0(VALU_DEP_1) | instskip(SKIP_1) | instid1(VALU_DEP_2)
	v_cndmask_b32_e32 v7, 0x7fc00000, v11, vcc_lo
	v_bfe_u32 v11, v8, 16, 1
	v_mul_f32_e32 v7, v4, v7
	s_delay_alu instid0(VALU_DEP_2) | instskip(NEXT) | instid1(VALU_DEP_2)
	v_add3_u32 v11, v8, v11, 0x7fff
	v_rndne_f32_e32 v7, v7
	s_delay_alu instid0(VALU_DEP_2) | instskip(NEXT) | instid1(VALU_DEP_2)
	v_lshrrev_b32_e32 v11, 16, v11
	v_cmp_nlt_f32_e32 vcc_lo, 0x42fe0000, v7
	v_cmp_ngt_f32_e64 s2, 0xc3000000, v7
	v_cndmask_b32_e32 v12, 0x42fe0000, v7, vcc_lo
	v_add_co_u32 v5, vcc_lo, s12, v5
	v_add_co_ci_u32_e32 v6, vcc_lo, s13, v6, vcc_lo
	s_delay_alu instid0(VALU_DEP_3) | instskip(SKIP_2) | instid1(VALU_DEP_3)
	v_cndmask_b32_e64 v7, 0xc3000000, v12, s2
	v_cmp_o_f32_e64 s2, v8, v8
	v_cmp_le_u32_e32 vcc_lo, s21, v1
	v_cvt_i32_f32_e32 v7, v7
	s_delay_alu instid0(VALU_DEP_3)
	v_cndmask_b32_e64 v8, 0x7fc0, v11, s2
	s_or_b32 s8, vcc_lo, s8
	global_store_b16 v[9:10], v8, off
	global_store_b8 v[5:6], v7, off
	s_and_not1_b32 exec_lo, exec_lo, s8
	s_cbranch_execnz .LBB14_29
.LBB14_30:
	s_or_b32 exec_lo, exec_lo, s3
	s_branch .LBB14_75
.LBB14_31:
	s_cbranch_execz .LBB14_75
; %bb.32:
	s_ashr_i32 s2, s22, 31
	s_mul_hi_u32 s3, s22, s24
	s_mul_i32 s2, s2, s24
	s_ashr_i32 s4, s21, 31
	s_add_i32 s5, s3, s2
	s_load_b32 s3, s[0:1], 0x40
	s_mul_i32 s6, s4, s24
	s_mul_i32 s4, s22, s24
	s_mul_hi_u32 s2, s21, s24
	s_lshl_b64 s[4:5], s[4:5], 1
	s_add_i32 s11, s2, s6
	s_mul_i32 s10, s21, s24
	s_add_u32 s9, s16, s4
	s_addc_u32 s16, s17, s5
	s_lshl_b64 s[4:5], s[10:11], 1
	v_mov_b32_e32 v6, 0
	s_add_u32 s17, s28, s4
	s_addc_u32 s22, s29, s5
	s_ashr_i32 s23, s21, 2
	s_add_u32 s0, s0, 64
	v_cmp_gt_u32_e64 s2, s23, v0
	s_mov_b32 s25, 0
	s_addc_u32 s1, s1, 0
	s_delay_alu instid0(VALU_DEP_1)
	s_and_saveexec_b32 s4, s2
	s_cbranch_execz .LBB14_42
; %bb.33:
	s_waitcnt lgkmcnt(0)
	s_cmp_lt_u32 s24, s3
	v_mov_b32_e32 v2, 0
	s_cselect_b32 s5, 12, 18
	v_mov_b32_e32 v1, v0
	s_add_u32 s6, s0, s5
	s_addc_u32 s7, s1, 0
	s_mov_b32 s5, s25
	global_load_u16 v7, v2, s[6:7]
                                        ; implicit-def: $sgpr6
	s_waitcnt vmcnt(0)
	v_lshlrev_b32_e32 v9, 1, v7
	v_mul_lo_u32 v8, v7, 3
	v_add_nc_u32_e32 v10, v7, v7
	v_mov_b32_e32 v6, v2
	s_branch .LBB14_37
.LBB14_34:                              ;   in Loop: Header=BB14_37 Depth=1
	s_or_b32 exec_lo, exec_lo, s28
	s_delay_alu instid0(SALU_CYCLE_1)
	s_or_not1_b32 s28, s29, exec_lo
.LBB14_35:                              ;   in Loop: Header=BB14_37 Depth=1
	s_or_b32 exec_lo, exec_lo, s8
	s_delay_alu instid0(SALU_CYCLE_1) | instskip(SKIP_1) | instid1(SALU_CYCLE_1)
	s_and_not1_b32 s6, s6, exec_lo
	s_and_b32 s8, s28, exec_lo
	s_or_b32 s6, s6, s8
.LBB14_36:                              ;   in Loop: Header=BB14_37 Depth=1
	s_or_b32 exec_lo, exec_lo, s7
	s_delay_alu instid0(SALU_CYCLE_1) | instskip(NEXT) | instid1(SALU_CYCLE_1)
	s_and_b32 s7, exec_lo, s6
	s_or_b32 s5, s7, s5
	s_delay_alu instid0(SALU_CYCLE_1)
	s_and_not1_b32 exec_lo, exec_lo, s5
	s_cbranch_execz .LBB14_41
.LBB14_37:                              ; =>This Inner Loop Header: Depth=1
	v_lshlrev_b64 v[3:4], 3, v[1:2]
	s_or_b32 s6, s6, exec_lo
	s_mov_b32 s7, exec_lo
	s_delay_alu instid0(VALU_DEP_1) | instskip(NEXT) | instid1(VALU_DEP_2)
	v_add_co_u32 v11, vcc_lo, s9, v3
	v_add_co_ci_u32_e32 v12, vcc_lo, s16, v4, vcc_lo
	v_add_co_u32 v3, vcc_lo, s17, v3
	v_add_co_ci_u32_e32 v4, vcc_lo, s22, v4, vcc_lo
	global_load_b64 v[11:12], v[11:12], off
	global_load_b64 v[3:4], v[3:4], off
	s_waitcnt vmcnt(1)
	v_lshlrev_b32_e32 v5, 16, v11
	s_waitcnt vmcnt(0)
	v_lshlrev_b32_e32 v13, 16, v3
	v_and_b32_e32 v14, 0xffff0000, v11
	v_alignbit_b32 v11, v12, v11, 16
	s_delay_alu instid0(VALU_DEP_3) | instskip(NEXT) | instid1(VALU_DEP_1)
	v_add_f32_e32 v5, v5, v13
	v_dual_fmac_f32 v6, v5, v5 :: v_dual_and_b32 v5, 0xffff0000, v12
	v_and_b32_e32 v15, 0xffff0000, v3
	v_alignbit_b32 v3, v4, v3, 16
	s_delay_alu instid0(VALU_DEP_1) | instskip(SKIP_1) | instid1(VALU_DEP_1)
	v_and_b32_e32 v3, 0xffff0000, v3
	v_and_b32_e32 v4, 0xffff0000, v4
	v_dual_add_f32 v4, v5, v4 :: v_dual_and_b32 v11, 0xffff0000, v11
	v_add_f32_e32 v13, v14, v15
	s_delay_alu instid0(VALU_DEP_1) | instskip(NEXT) | instid1(VALU_DEP_1)
	v_dual_add_f32 v3, v11, v3 :: v_dual_fmac_f32 v6, v13, v13
	v_fmac_f32_e32 v6, v3, v3
	s_delay_alu instid0(VALU_DEP_1) | instskip(NEXT) | instid1(VALU_DEP_1)
	v_dual_fmac_f32 v6, v4, v4 :: v_dual_add_nc_u32 v3, v1, v7
	v_cmpx_gt_u32_e64 s23, v3
	s_cbranch_execz .LBB14_36
; %bb.38:                               ;   in Loop: Header=BB14_37 Depth=1
	v_mov_b32_e32 v4, v2
	s_mov_b32 s28, -1
	s_mov_b32 s8, exec_lo
	s_delay_alu instid0(VALU_DEP_1) | instskip(NEXT) | instid1(VALU_DEP_1)
	v_lshlrev_b64 v[4:5], 3, v[3:4]
	v_add_co_u32 v11, vcc_lo, s9, v4
	s_delay_alu instid0(VALU_DEP_2)
	v_add_co_ci_u32_e32 v12, vcc_lo, s16, v5, vcc_lo
	v_add_co_u32 v4, vcc_lo, s17, v4
	v_add_co_ci_u32_e32 v5, vcc_lo, s22, v5, vcc_lo
	global_load_b64 v[11:12], v[11:12], off
	global_load_b64 v[4:5], v[4:5], off
	s_waitcnt vmcnt(1)
	v_lshlrev_b32_e32 v13, 16, v11
	v_and_b32_e32 v15, 0xffff0000, v11
	v_alignbit_b32 v11, v12, v11, 16
	v_and_b32_e32 v12, 0xffff0000, v12
	s_waitcnt vmcnt(0)
	v_lshlrev_b32_e32 v14, 16, v4
	v_and_b32_e32 v16, 0xffff0000, v4
	v_alignbit_b32 v4, v5, v4, 16
	s_delay_alu instid0(VALU_DEP_1) | instskip(SKIP_1) | instid1(VALU_DEP_1)
	v_and_b32_e32 v4, 0xffff0000, v4
	v_and_b32_e32 v5, 0xffff0000, v5
	v_add_f32_e32 v5, v12, v5
	v_add_f32_e32 v13, v13, v14
	s_delay_alu instid0(VALU_DEP_1) | instskip(SKIP_1) | instid1(VALU_DEP_2)
	v_dual_fmac_f32 v6, v13, v13 :: v_dual_and_b32 v11, 0xffff0000, v11
	v_add_f32_e32 v14, v15, v16
	v_add_f32_e32 v4, v11, v4
	s_delay_alu instid0(VALU_DEP_2) | instskip(NEXT) | instid1(VALU_DEP_1)
	v_fmac_f32_e32 v6, v14, v14
	v_fmac_f32_e32 v6, v4, v4
	v_add_nc_u32_e32 v4, v9, v1
	s_delay_alu instid0(VALU_DEP_2) | instskip(NEXT) | instid1(VALU_DEP_2)
	v_fmac_f32_e32 v6, v5, v5
	v_cmpx_gt_u32_e64 s23, v4
	s_cbranch_execz .LBB14_35
; %bb.39:                               ;   in Loop: Header=BB14_37 Depth=1
	v_mov_b32_e32 v5, v2
	v_add_nc_u32_e32 v1, v8, v1
	s_mov_b32 s29, -1
	s_mov_b32 s28, exec_lo
	s_delay_alu instid0(VALU_DEP_2) | instskip(NEXT) | instid1(VALU_DEP_1)
	v_lshlrev_b64 v[4:5], 3, v[4:5]
	v_add_co_u32 v11, vcc_lo, s9, v4
	s_delay_alu instid0(VALU_DEP_2)
	v_add_co_ci_u32_e32 v12, vcc_lo, s16, v5, vcc_lo
	v_add_co_u32 v4, vcc_lo, s17, v4
	v_add_co_ci_u32_e32 v5, vcc_lo, s22, v5, vcc_lo
	global_load_b64 v[11:12], v[11:12], off
	global_load_b64 v[4:5], v[4:5], off
	s_waitcnt vmcnt(1)
	v_and_b32_e32 v15, 0xffff0000, v11
	s_waitcnt vmcnt(0)
	v_lshlrev_b32_e32 v14, 16, v4
	v_and_b32_e32 v16, 0xffff0000, v4
	v_lshlrev_b32_e32 v13, 16, v11
	v_alignbit_b32 v11, v12, v11, 16
	v_alignbit_b32 v4, v5, v4, 16
	s_delay_alu instid0(VALU_DEP_3) | instskip(NEXT) | instid1(VALU_DEP_1)
	v_dual_add_f32 v13, v13, v14 :: v_dual_and_b32 v12, 0xffff0000, v12
	v_fmac_f32_e32 v6, v13, v13
	s_delay_alu instid0(VALU_DEP_4) | instskip(NEXT) | instid1(VALU_DEP_1)
	v_dual_add_f32 v14, v15, v16 :: v_dual_and_b32 v11, 0xffff0000, v11
	v_dual_fmac_f32 v6, v14, v14 :: v_dual_and_b32 v5, 0xffff0000, v5
	s_delay_alu instid0(VALU_DEP_1) | instskip(NEXT) | instid1(VALU_DEP_1)
	v_dual_add_f32 v5, v12, v5 :: v_dual_and_b32 v4, 0xffff0000, v4
	v_add_f32_e32 v4, v11, v4
	s_delay_alu instid0(VALU_DEP_1) | instskip(NEXT) | instid1(VALU_DEP_1)
	v_fmac_f32_e32 v6, v4, v4
	v_fmac_f32_e32 v6, v5, v5
	v_cmpx_gt_u32_e64 s23, v1
	s_xor_b32 s28, exec_lo, s28
	s_cbranch_execz .LBB14_34
; %bb.40:                               ;   in Loop: Header=BB14_37 Depth=1
	v_lshlrev_b64 v[4:5], 3, v[1:2]
	s_delay_alu instid0(VALU_DEP_1) | instskip(NEXT) | instid1(VALU_DEP_2)
	v_add_co_u32 v11, vcc_lo, s9, v4
	v_add_co_ci_u32_e32 v12, vcc_lo, s16, v5, vcc_lo
	v_add_co_u32 v4, vcc_lo, s17, v4
	v_add_co_ci_u32_e32 v5, vcc_lo, s22, v5, vcc_lo
	global_load_b64 v[11:12], v[11:12], off
	global_load_b64 v[4:5], v[4:5], off
	s_waitcnt vmcnt(0)
	v_lshlrev_b32_e32 v13, 16, v4
	v_and_b32_e32 v14, 0xffff0000, v11
	v_alignbit_b32 v15, v5, v4, 16
	v_and_b32_e32 v4, 0xffff0000, v4
	v_lshlrev_b32_e32 v1, 16, v11
	v_alignbit_b32 v11, v12, v11, 16
	v_and_b32_e32 v12, 0xffff0000, v12
	s_delay_alu instid0(VALU_DEP_3) | instskip(NEXT) | instid1(VALU_DEP_1)
	v_dual_add_f32 v4, v14, v4 :: v_dual_add_f32 v1, v1, v13
	v_dual_fmac_f32 v6, v1, v1 :: v_dual_and_b32 v13, 0xffff0000, v15
	s_delay_alu instid0(VALU_DEP_4) | instskip(SKIP_1) | instid1(VALU_DEP_2)
	v_and_b32_e32 v11, 0xffff0000, v11
	v_add3_u32 v1, v10, v7, v3
	v_dual_fmac_f32 v6, v4, v4 :: v_dual_add_f32 v11, v11, v13
	v_and_b32_e32 v5, 0xffff0000, v5
	s_delay_alu instid0(VALU_DEP_3) | instskip(NEXT) | instid1(VALU_DEP_2)
	v_cmp_le_u32_e32 vcc_lo, s23, v1
	v_dual_fmac_f32 v6, v11, v11 :: v_dual_add_f32 v3, v12, v5
	s_or_not1_b32 s29, vcc_lo, exec_lo
	s_delay_alu instid0(VALU_DEP_1)
	v_fmac_f32_e32 v6, v3, v3
	s_branch .LBB14_34
.LBB14_41:
	s_or_b32 exec_lo, exec_lo, s5
.LBB14_42:
	s_delay_alu instid0(SALU_CYCLE_1)
	s_or_b32 exec_lo, exec_lo, s4
	v_mbcnt_lo_u32_b32 v7, -1, 0
	s_waitcnt lgkmcnt(0)
	s_cmp_lt_u32 s24, s3
	v_and_b32_e32 v4, 0x3e0, v0
	s_cselect_b32 s3, 12, 18
	s_delay_alu instid0(SALU_CYCLE_1)
	s_add_u32 s0, s0, s3
	v_cmp_ne_u32_e32 vcc_lo, 31, v7
	s_addc_u32 s1, s1, 0
	v_add_nc_u32_e32 v12, 2, v7
	v_add_nc_u32_e32 v14, 4, v7
	;; [unrolled: 1-line block ×3, first 2 shown]
	v_add_co_ci_u32_e32 v2, vcc_lo, 0, v7, vcc_lo
	v_mov_b32_e32 v1, 0
	v_cmp_gt_u32_e32 vcc_lo, 30, v7
	v_add_nc_u32_e32 v17, 16, v7
	s_delay_alu instid0(VALU_DEP_4)
	v_lshlrev_b32_e32 v8, 2, v2
	v_cmp_eq_u32_e64 s6, 0, v7
	global_load_u16 v1, v1, s[0:1]
	v_cndmask_b32_e64 v3, 0, 1, vcc_lo
	v_cmp_gt_u32_e32 vcc_lo, 28, v7
	ds_bpermute_b32 v2, v8, v6
	v_add_nc_u32_e32 v9, 1, v7
	v_lshlrev_b32_e32 v3, 1, v3
	v_cndmask_b32_e64 v5, 0, 1, vcc_lo
	v_cmp_gt_u32_e32 vcc_lo, 24, v7
	s_delay_alu instid0(VALU_DEP_3) | instskip(NEXT) | instid1(VALU_DEP_3)
	v_add_lshl_u32 v10, v3, v7, 2
	v_lshlrev_b32_e32 v5, 2, v5
	s_delay_alu instid0(VALU_DEP_1) | instskip(SKIP_3) | instid1(VALU_DEP_2)
	v_add_lshl_u32 v11, v5, v7, 2
	v_cndmask_b32_e64 v5, 0, 1, vcc_lo
	v_cmp_gt_u32_e32 vcc_lo, 16, v7
	s_waitcnt lgkmcnt(0)
	v_dual_add_f32 v2, v6, v2 :: v_dual_lshlrev_b32 v5, 3, v5
	s_delay_alu instid0(VALU_DEP_1) | instskip(SKIP_1) | instid1(VALU_DEP_1)
	v_add_lshl_u32 v13, v5, v7, 2
	v_cndmask_b32_e64 v5, 0, 1, vcc_lo
	v_lshlrev_b32_e32 v5, 4, v5
	s_delay_alu instid0(VALU_DEP_1) | instskip(SKIP_3) | instid1(VALU_DEP_2)
	v_add_lshl_u32 v15, v5, v7, 2
	s_waitcnt vmcnt(0)
	v_sub_nc_u32_e64 v4, v1, v4 clamp
	v_readfirstlane_b32 s28, v1
	v_cmp_lt_u32_e64 s0, v9, v4
	v_cmp_lt_u32_e64 s1, v12, v4
	v_cmp_lt_u32_e64 s3, v14, v4
	v_cmp_lt_u32_e64 s5, v16, v4
	v_cmp_lt_u32_e64 s8, v17, v4
	v_cndmask_b32_e64 v2, v6, v2, s0
	ds_bpermute_b32 v3, v10, v2
	s_waitcnt lgkmcnt(0)
	v_add_f32_e32 v3, v2, v3
	s_delay_alu instid0(VALU_DEP_1) | instskip(SKIP_3) | instid1(VALU_DEP_1)
	v_cndmask_b32_e64 v2, v2, v3, s1
	ds_bpermute_b32 v3, v11, v2
	s_waitcnt lgkmcnt(0)
	v_add_f32_e32 v3, v2, v3
	v_cndmask_b32_e64 v2, v2, v3, s3
	ds_bpermute_b32 v3, v13, v2
	s_waitcnt lgkmcnt(0)
	v_add_f32_e32 v3, v2, v3
	s_delay_alu instid0(VALU_DEP_1) | instskip(SKIP_3) | instid1(VALU_DEP_1)
	v_cndmask_b32_e64 v2, v2, v3, s5
	ds_bpermute_b32 v3, v15, v2
	s_waitcnt lgkmcnt(0)
	v_add_f32_e32 v3, v2, v3
	v_cndmask_b32_e64 v1, v2, v3, s8
	s_and_saveexec_b32 s4, s6
	s_cbranch_execz .LBB14_44
; %bb.43:
	v_lshrrev_b32_e32 v2, 3, v0
	s_delay_alu instid0(VALU_DEP_1)
	v_and_b32_e32 v2, 0x7c, v2
	ds_store_b32 v2, v1
.LBB14_44:
	s_or_b32 exec_lo, exec_lo, s4
	v_cmp_gt_u32_e64 s7, 32, v0
	s_waitcnt lgkmcnt(0)
	s_waitcnt_vscnt null, 0x0
	s_barrier
	buffer_gl0_inv
	s_and_saveexec_b32 s4, s7
	s_cbranch_execz .LBB14_46
; %bb.45:
	v_lshlrev_b32_e32 v1, 2, v7
	s_add_i32 s29, s28, 31
	s_delay_alu instid0(SALU_CYCLE_1) | instskip(NEXT) | instid1(SALU_CYCLE_1)
	s_lshr_b32 s29, s29, 5
	v_cmp_gt_u32_e32 vcc_lo, s29, v9
	ds_load_b32 v1, v1
	s_waitcnt lgkmcnt(0)
	ds_bpermute_b32 v2, v8, v1
	s_waitcnt lgkmcnt(0)
	v_add_f32_e32 v2, v1, v2
	s_delay_alu instid0(VALU_DEP_1) | instskip(SKIP_4) | instid1(VALU_DEP_1)
	v_cndmask_b32_e32 v1, v1, v2, vcc_lo
	v_cmp_gt_u32_e32 vcc_lo, s29, v12
	ds_bpermute_b32 v2, v10, v1
	s_waitcnt lgkmcnt(0)
	v_add_f32_e32 v2, v1, v2
	v_cndmask_b32_e32 v1, v1, v2, vcc_lo
	v_cmp_gt_u32_e32 vcc_lo, s29, v14
	ds_bpermute_b32 v2, v11, v1
	s_waitcnt lgkmcnt(0)
	v_add_f32_e32 v2, v1, v2
	s_delay_alu instid0(VALU_DEP_1) | instskip(SKIP_4) | instid1(VALU_DEP_1)
	v_cndmask_b32_e32 v1, v1, v2, vcc_lo
	v_cmp_gt_u32_e32 vcc_lo, s29, v16
	ds_bpermute_b32 v2, v13, v1
	s_waitcnt lgkmcnt(0)
	v_add_f32_e32 v2, v1, v2
	v_cndmask_b32_e32 v1, v1, v2, vcc_lo
	v_cmp_gt_u32_e32 vcc_lo, s29, v17
	ds_bpermute_b32 v2, v15, v1
	s_waitcnt lgkmcnt(0)
	v_add_f32_e32 v2, v1, v2
	s_delay_alu instid0(VALU_DEP_1)
	v_cndmask_b32_e32 v1, v1, v2, vcc_lo
.LBB14_46:
	s_or_b32 exec_lo, exec_lo, s4
	v_cmp_eq_u32_e64 s4, 0, v0
	s_delay_alu instid0(VALU_DEP_1)
	s_and_saveexec_b32 s29, s4
	s_cbranch_execz .LBB14_48
; %bb.47:
	v_cvt_f32_i32_e32 v2, s21
	s_delay_alu instid0(VALU_DEP_1) | instskip(SKIP_1) | instid1(VALU_DEP_2)
	v_div_scale_f32 v3, null, v2, v2, v1
	v_div_scale_f32 v6, vcc_lo, v1, v2, v1
	v_rcp_f32_e32 v4, v3
	s_waitcnt_depctr 0xfff
	v_fma_f32 v5, -v3, v4, 1.0
	s_delay_alu instid0(VALU_DEP_1) | instskip(NEXT) | instid1(VALU_DEP_1)
	v_fmac_f32_e32 v4, v5, v4
	v_mul_f32_e32 v5, v6, v4
	s_delay_alu instid0(VALU_DEP_1) | instskip(NEXT) | instid1(VALU_DEP_1)
	v_fma_f32 v18, -v3, v5, v6
	v_fmac_f32_e32 v5, v18, v4
	s_delay_alu instid0(VALU_DEP_1) | instskip(NEXT) | instid1(VALU_DEP_1)
	v_fma_f32 v3, -v3, v5, v6
	v_div_fmas_f32 v3, v3, v4, v5
	s_delay_alu instid0(VALU_DEP_1) | instskip(NEXT) | instid1(VALU_DEP_1)
	v_div_fixup_f32 v1, v3, v2, v1
	v_add_f32_e32 v1, s20, v1
	s_delay_alu instid0(VALU_DEP_1) | instskip(SKIP_1) | instid1(VALU_DEP_2)
	v_mul_f32_e32 v2, 0x4b800000, v1
	v_cmp_gt_f32_e32 vcc_lo, 0x800000, v1
	v_cndmask_b32_e32 v1, v1, v2, vcc_lo
	s_delay_alu instid0(VALU_DEP_1) | instskip(SKIP_2) | instid1(VALU_DEP_1)
	v_rsq_f32_e32 v1, v1
	s_waitcnt_depctr 0xfff
	v_mul_f32_e32 v2, 0x45800000, v1
	v_dual_cndmask_b32 v1, v1, v2 :: v_dual_mov_b32 v2, 0
	ds_store_b32 v2, v1 offset:512
.LBB14_48:
	s_or_b32 exec_lo, exec_lo, s29
	v_mov_b32_e32 v18, 0
	s_waitcnt lgkmcnt(0)
	s_barrier
	buffer_gl0_inv
	ds_load_b32 v6, v18 offset:512
	s_and_saveexec_b32 s20, s2
	s_cbranch_execz .LBB14_58
; %bb.49:
	v_dual_mov_b32 v2, 0 :: v_dual_mov_b32 v1, v0
	s_mul_i32 s21, s28, 3
	s_lshl_b32 s30, s28, 1
	s_mov_b32 s29, 0
	s_delay_alu instid0(VALU_DEP_1)
	v_mov_b32_e32 v18, v2
	s_add_i32 s31, s28, s28
                                        ; implicit-def: $sgpr33
	s_branch .LBB14_53
.LBB14_50:                              ;   in Loop: Header=BB14_53 Depth=1
	s_or_b32 exec_lo, exec_lo, s36
	s_delay_alu instid0(SALU_CYCLE_1)
	s_or_not1_b32 s36, s37, exec_lo
.LBB14_51:                              ;   in Loop: Header=BB14_53 Depth=1
	s_or_b32 exec_lo, exec_lo, s35
	s_delay_alu instid0(SALU_CYCLE_1) | instskip(SKIP_1) | instid1(SALU_CYCLE_1)
	s_and_not1_b32 s33, s33, exec_lo
	s_and_b32 s35, s36, exec_lo
	s_or_b32 s33, s33, s35
.LBB14_52:                              ;   in Loop: Header=BB14_53 Depth=1
	s_or_b32 exec_lo, exec_lo, s34
	s_delay_alu instid0(SALU_CYCLE_1) | instskip(NEXT) | instid1(SALU_CYCLE_1)
	s_and_b32 s34, exec_lo, s33
	s_or_b32 s29, s34, s29
	s_delay_alu instid0(SALU_CYCLE_1)
	s_and_not1_b32 exec_lo, exec_lo, s29
	s_cbranch_execz .LBB14_57
.LBB14_53:                              ; =>This Inner Loop Header: Depth=1
	v_lshlrev_b64 v[3:4], 3, v[1:2]
	s_or_b32 s33, s33, exec_lo
	s_mov_b32 s34, exec_lo
	s_delay_alu instid0(VALU_DEP_1) | instskip(NEXT) | instid1(VALU_DEP_2)
	v_add_co_u32 v19, vcc_lo, s9, v3
	v_add_co_ci_u32_e32 v20, vcc_lo, s16, v4, vcc_lo
	v_add_co_u32 v21, vcc_lo, s18, v3
	v_add_co_ci_u32_e32 v22, vcc_lo, s19, v4, vcc_lo
	;; [unrolled: 2-line block ×3, first 2 shown]
	global_load_b64 v[19:20], v[19:20], off
	global_load_b64 v[21:22], v[21:22], off
	;; [unrolled: 1-line block ×3, first 2 shown]
	s_waitcnt vmcnt(0)
	v_lshlrev_b32_e32 v25, 16, v3
	v_and_b32_e32 v26, 0xffff0000, v3
	v_lshlrev_b32_e32 v24, 16, v19
	v_and_b32_e32 v5, 0xffff0000, v19
	v_alignbit_b32 v19, v20, v19, 16
	v_alignbit_b32 v3, v4, v3, 16
	s_delay_alu instid0(VALU_DEP_3) | instskip(SKIP_1) | instid1(VALU_DEP_4)
	v_dual_add_f32 v24, v24, v25 :: v_dual_add_f32 v5, v5, v26
	v_and_b32_e32 v20, 0xffff0000, v20
	v_and_b32_e32 v19, 0xffff0000, v19
	s_delay_alu instid0(VALU_DEP_4)
	v_and_b32_e32 v3, 0xffff0000, v3
	v_and_b32_e32 v4, 0xffff0000, v4
	s_waitcnt lgkmcnt(0)
	v_mul_f32_e32 v24, v6, v24
	v_mul_f32_e32 v5, v6, v5
	v_add_f32_e32 v3, v19, v3
	v_dual_add_f32 v4, v20, v4 :: v_dual_and_b32 v23, 0xffff0000, v21
	v_lshlrev_b32_e32 v20, 16, v21
	v_alignbit_b32 v19, v22, v21, 16
	s_delay_alu instid0(VALU_DEP_4)
	v_mul_f32_e32 v3, v6, v3
	v_bfe_u32 v21, v24, 16, 1
	v_mul_f32_e32 v4, v6, v4
	v_bfe_u32 v25, v5, 16, 1
	v_cmp_o_f32_e32 vcc_lo, v24, v24
	v_bfe_u32 v27, v3, 16, 1
	v_add3_u32 v21, v24, v21, 0x7fff
	v_bfe_u32 v26, v4, 16, 1
	v_add3_u32 v25, v5, v25, 0x7fff
	s_delay_alu instid0(VALU_DEP_4) | instskip(NEXT) | instid1(VALU_DEP_4)
	v_add3_u32 v27, v3, v27, 0x7fff
	v_and_b32_e32 v21, 0xffff0000, v21
	s_delay_alu instid0(VALU_DEP_4) | instskip(NEXT) | instid1(VALU_DEP_4)
	v_add3_u32 v26, v4, v26, 0x7fff
	v_and_b32_e32 v25, 0xffff0000, v25
	s_delay_alu instid0(VALU_DEP_4) | instskip(NEXT) | instid1(VALU_DEP_4)
	v_and_b32_e32 v24, 0xffff0000, v27
	v_cndmask_b32_e32 v21, 0x7fc00000, v21, vcc_lo
	v_cmp_o_f32_e32 vcc_lo, v5, v5
	v_and_b32_e32 v26, 0xffff0000, v26
	s_delay_alu instid0(VALU_DEP_3) | instskip(SKIP_2) | instid1(VALU_DEP_3)
	v_dual_mul_f32 v20, v21, v20 :: v_dual_cndmask_b32 v5, 0x7fc00000, v25
	v_cmp_o_f32_e32 vcc_lo, v4, v4
	v_and_b32_e32 v22, 0xffff0000, v22
	v_bfe_u32 v21, v20, 16, 1
	s_delay_alu instid0(VALU_DEP_4) | instskip(SKIP_2) | instid1(VALU_DEP_4)
	v_dual_mul_f32 v5, v5, v23 :: v_dual_cndmask_b32 v4, 0x7fc00000, v26
	v_cmp_o_f32_e32 vcc_lo, v3, v3
	v_and_b32_e32 v19, 0xffff0000, v19
	v_add3_u32 v21, v20, v21, 0x7fff
	s_delay_alu instid0(VALU_DEP_4) | instskip(SKIP_1) | instid1(VALU_DEP_3)
	v_dual_mul_f32 v4, v4, v22 :: v_dual_cndmask_b32 v3, 0x7fc00000, v24
	v_bfe_u32 v22, v5, 16, 1
	v_and_b32_e32 v21, 0xffff0000, v21
	v_cmp_o_f32_e32 vcc_lo, v20, v20
	s_delay_alu instid0(VALU_DEP_4)
	v_mul_f32_e32 v3, v3, v19
	v_bfe_u32 v19, v4, 16, 1
	v_add3_u32 v22, v5, v22, 0x7fff
	v_cndmask_b32_e64 v20, 0x7fc00000, |v21|, vcc_lo
	v_cmp_o_f32_e32 vcc_lo, v5, v5
	v_bfe_u32 v23, v3, 16, 1
	v_add3_u32 v19, v4, v19, 0x7fff
	v_and_b32_e32 v22, 0xffff0000, v22
	s_delay_alu instid0(VALU_DEP_3) | instskip(NEXT) | instid1(VALU_DEP_3)
	v_add3_u32 v23, v3, v23, 0x7fff
	v_and_b32_e32 v19, 0xffff0000, v19
	s_delay_alu instid0(VALU_DEP_3) | instskip(SKIP_1) | instid1(VALU_DEP_4)
	v_cndmask_b32_e64 v5, 0x7fc00000, |v22|, vcc_lo
	v_cmp_o_f32_e32 vcc_lo, v4, v4
	v_and_b32_e32 v21, 0xffff0000, v23
	s_delay_alu instid0(VALU_DEP_3) | instskip(SKIP_4) | instid1(VALU_DEP_1)
	v_max3_f32 v5, v18, v20, v5
	v_cndmask_b32_e64 v4, 0x7fc00000, |v19|, vcc_lo
	v_cmp_o_f32_e32 vcc_lo, v3, v3
	v_add_nc_u32_e32 v3, s28, v1
	v_cndmask_b32_e64 v18, 0x7fc00000, |v21|, vcc_lo
	v_max3_f32 v18, v5, v18, v4
	s_delay_alu instid0(VALU_DEP_3)
	v_cmpx_gt_u32_e64 s23, v3
	s_cbranch_execz .LBB14_52
; %bb.54:                               ;   in Loop: Header=BB14_53 Depth=1
	v_mov_b32_e32 v4, v2
	s_mov_b32 s36, -1
	s_mov_b32 s35, exec_lo
	s_delay_alu instid0(VALU_DEP_1) | instskip(NEXT) | instid1(VALU_DEP_1)
	v_lshlrev_b64 v[4:5], 3, v[3:4]
	v_add_co_u32 v19, vcc_lo, s9, v4
	s_delay_alu instid0(VALU_DEP_2)
	v_add_co_ci_u32_e32 v20, vcc_lo, s16, v5, vcc_lo
	v_add_co_u32 v21, vcc_lo, s18, v4
	v_add_co_ci_u32_e32 v22, vcc_lo, s19, v5, vcc_lo
	v_add_co_u32 v4, vcc_lo, s17, v4
	v_add_co_ci_u32_e32 v5, vcc_lo, s22, v5, vcc_lo
	global_load_b64 v[19:20], v[19:20], off
	global_load_b64 v[21:22], v[21:22], off
	;; [unrolled: 1-line block ×3, first 2 shown]
	s_waitcnt vmcnt(2)
	v_and_b32_e32 v23, 0xffff0000, v19
	s_waitcnt vmcnt(0)
	v_lshlrev_b32_e32 v26, 16, v4
	v_and_b32_e32 v27, 0xffff0000, v4
	v_alignbit_b32 v4, v5, v4, 16
	s_delay_alu instid0(VALU_DEP_1) | instskip(SKIP_2) | instid1(VALU_DEP_3)
	v_dual_add_f32 v23, v23, v27 :: v_dual_and_b32 v4, 0xffff0000, v4
	v_lshlrev_b32_e32 v25, 16, v19
	v_alignbit_b32 v19, v20, v19, 16
	v_dual_mul_f32 v23, v6, v23 :: v_dual_and_b32 v20, 0xffff0000, v20
	s_delay_alu instid0(VALU_DEP_2) | instskip(NEXT) | instid1(VALU_DEP_1)
	v_and_b32_e32 v19, 0xffff0000, v19
	v_dual_add_f32 v4, v19, v4 :: v_dual_and_b32 v5, 0xffff0000, v5
	v_alignbit_b32 v19, v22, v21, 16
	v_and_b32_e32 v22, 0xffff0000, v22
	s_delay_alu instid0(VALU_DEP_3) | instskip(SKIP_3) | instid1(VALU_DEP_4)
	v_dual_mul_f32 v4, v6, v4 :: v_dual_add_f32 v5, v20, v5
	v_dual_add_f32 v25, v25, v26 :: v_dual_and_b32 v24, 0xffff0000, v21
	v_lshlrev_b32_e32 v20, 16, v21
	v_bfe_u32 v26, v23, 16, 1
	v_mul_f32_e32 v5, v6, v5
	v_bfe_u32 v28, v4, 16, 1
	v_mul_f32_e32 v25, v6, v25
	v_and_b32_e32 v19, 0xffff0000, v19
	v_add3_u32 v26, v23, v26, 0x7fff
	v_bfe_u32 v27, v5, 16, 1
	v_add3_u32 v28, v4, v28, 0x7fff
	v_bfe_u32 v21, v25, 16, 1
	v_cmp_o_f32_e32 vcc_lo, v25, v25
	v_and_b32_e32 v26, 0xffff0000, v26
	v_add3_u32 v27, v5, v27, 0x7fff
	s_delay_alu instid0(VALU_DEP_4) | instskip(SKIP_1) | instid1(VALU_DEP_3)
	v_add3_u32 v21, v25, v21, 0x7fff
	v_and_b32_e32 v25, 0xffff0000, v28
	v_and_b32_e32 v27, 0xffff0000, v27
	s_delay_alu instid0(VALU_DEP_3) | instskip(NEXT) | instid1(VALU_DEP_1)
	v_and_b32_e32 v21, 0xffff0000, v21
	v_cndmask_b32_e32 v21, 0x7fc00000, v21, vcc_lo
	v_cmp_o_f32_e32 vcc_lo, v23, v23
	s_delay_alu instid0(VALU_DEP_2) | instskip(SKIP_1) | instid1(VALU_DEP_2)
	v_dual_mul_f32 v20, v21, v20 :: v_dual_cndmask_b32 v23, 0x7fc00000, v26
	v_cmp_o_f32_e32 vcc_lo, v5, v5
	v_mul_f32_e32 v21, v23, v24
	v_cndmask_b32_e32 v5, 0x7fc00000, v27, vcc_lo
	v_cmp_o_f32_e32 vcc_lo, v4, v4
	s_delay_alu instid0(VALU_DEP_3) | instskip(NEXT) | instid1(VALU_DEP_3)
	v_bfe_u32 v23, v21, 16, 1
	v_dual_mul_f32 v5, v5, v22 :: v_dual_cndmask_b32 v4, 0x7fc00000, v25
	v_bfe_u32 v22, v20, 16, 1
	v_cmp_o_f32_e32 vcc_lo, v20, v20
	s_delay_alu instid0(VALU_DEP_4) | instskip(NEXT) | instid1(VALU_DEP_4)
	v_add3_u32 v23, v21, v23, 0x7fff
	v_mul_f32_e32 v4, v4, v19
	s_delay_alu instid0(VALU_DEP_4) | instskip(SKIP_1) | instid1(VALU_DEP_4)
	v_add3_u32 v22, v20, v22, 0x7fff
	v_bfe_u32 v19, v5, 16, 1
	v_and_b32_e32 v23, 0xffff0000, v23
	s_delay_alu instid0(VALU_DEP_4) | instskip(NEXT) | instid1(VALU_DEP_4)
	v_bfe_u32 v24, v4, 16, 1
	v_and_b32_e32 v22, 0xffff0000, v22
	s_delay_alu instid0(VALU_DEP_4) | instskip(NEXT) | instid1(VALU_DEP_3)
	v_add3_u32 v19, v5, v19, 0x7fff
	v_add3_u32 v24, v4, v24, 0x7fff
	s_delay_alu instid0(VALU_DEP_3) | instskip(SKIP_1) | instid1(VALU_DEP_4)
	v_cndmask_b32_e64 v20, 0x7fc00000, |v22|, vcc_lo
	v_cmp_o_f32_e32 vcc_lo, v21, v21
	v_and_b32_e32 v19, 0xffff0000, v19
	s_delay_alu instid0(VALU_DEP_4) | instskip(SKIP_2) | instid1(VALU_DEP_2)
	v_and_b32_e32 v22, 0xffff0000, v24
	v_cndmask_b32_e64 v21, 0x7fc00000, |v23|, vcc_lo
	v_cmp_o_f32_e32 vcc_lo, v5, v5
	v_max3_f32 v18, v18, v20, v21
	v_cndmask_b32_e64 v5, 0x7fc00000, |v19|, vcc_lo
	v_cmp_o_f32_e32 vcc_lo, v4, v4
	v_add_nc_u32_e32 v4, s30, v1
	v_cndmask_b32_e64 v19, 0x7fc00000, |v22|, vcc_lo
	s_delay_alu instid0(VALU_DEP_1) | instskip(NEXT) | instid1(VALU_DEP_3)
	v_max3_f32 v18, v18, v19, v5
	v_cmpx_gt_u32_e64 s23, v4
	s_cbranch_execz .LBB14_51
; %bb.55:                               ;   in Loop: Header=BB14_53 Depth=1
	v_mov_b32_e32 v5, v2
	v_add_nc_u32_e32 v1, s21, v1
	s_mov_b32 s37, -1
	s_mov_b32 s36, exec_lo
	s_delay_alu instid0(VALU_DEP_2) | instskip(NEXT) | instid1(VALU_DEP_1)
	v_lshlrev_b64 v[4:5], 3, v[4:5]
	v_add_co_u32 v19, vcc_lo, s9, v4
	s_delay_alu instid0(VALU_DEP_2)
	v_add_co_ci_u32_e32 v20, vcc_lo, s16, v5, vcc_lo
	v_add_co_u32 v21, vcc_lo, s18, v4
	v_add_co_ci_u32_e32 v22, vcc_lo, s19, v5, vcc_lo
	v_add_co_u32 v4, vcc_lo, s17, v4
	v_add_co_ci_u32_e32 v5, vcc_lo, s22, v5, vcc_lo
	global_load_b64 v[19:20], v[19:20], off
	global_load_b64 v[21:22], v[21:22], off
	;; [unrolled: 1-line block ×3, first 2 shown]
	s_waitcnt vmcnt(2)
	v_lshlrev_b32_e32 v25, 16, v19
	s_waitcnt vmcnt(1)
	v_and_b32_e32 v24, 0xffff0000, v21
	s_waitcnt vmcnt(0)
	v_and_b32_e32 v27, 0xffff0000, v4
	v_lshlrev_b32_e32 v26, 16, v4
	v_alignbit_b32 v4, v5, v4, 16
	v_and_b32_e32 v5, 0xffff0000, v5
	s_delay_alu instid0(VALU_DEP_2) | instskip(SKIP_2) | instid1(VALU_DEP_1)
	v_and_b32_e32 v4, 0xffff0000, v4
	v_and_b32_e32 v23, 0xffff0000, v19
	v_alignbit_b32 v19, v20, v19, 16
	v_and_b32_e32 v19, 0xffff0000, v19
	s_delay_alu instid0(VALU_DEP_1) | instskip(NEXT) | instid1(VALU_DEP_4)
	v_add_f32_e32 v4, v19, v4
	v_add_f32_e32 v23, v23, v27
	v_alignbit_b32 v19, v22, v21, 16
	v_and_b32_e32 v22, 0xffff0000, v22
	s_delay_alu instid0(VALU_DEP_4) | instskip(SKIP_3) | instid1(VALU_DEP_4)
	v_mul_f32_e32 v4, v6, v4
	v_dual_add_f32 v25, v25, v26 :: v_dual_and_b32 v20, 0xffff0000, v20
	v_mul_f32_e32 v23, v6, v23
	v_and_b32_e32 v19, 0xffff0000, v19
	v_bfe_u32 v28, v4, 16, 1
	s_delay_alu instid0(VALU_DEP_4) | instskip(SKIP_4) | instid1(VALU_DEP_3)
	v_add_f32_e32 v5, v20, v5
	v_lshlrev_b32_e32 v20, 16, v21
	v_mul_f32_e32 v25, v6, v25
	v_bfe_u32 v26, v23, 16, 1
	v_add3_u32 v28, v4, v28, 0x7fff
	v_bfe_u32 v21, v25, 16, 1
	s_delay_alu instid0(VALU_DEP_3) | instskip(SKIP_2) | instid1(VALU_DEP_4)
	v_add3_u32 v26, v23, v26, 0x7fff
	v_mul_f32_e32 v5, v6, v5
	v_cmp_o_f32_e32 vcc_lo, v25, v25
	v_add3_u32 v21, v25, v21, 0x7fff
	s_delay_alu instid0(VALU_DEP_4) | instskip(NEXT) | instid1(VALU_DEP_4)
	v_and_b32_e32 v26, 0xffff0000, v26
	v_bfe_u32 v27, v5, 16, 1
	v_and_b32_e32 v25, 0xffff0000, v28
	s_delay_alu instid0(VALU_DEP_4) | instskip(NEXT) | instid1(VALU_DEP_3)
	v_and_b32_e32 v21, 0xffff0000, v21
	v_add3_u32 v27, v5, v27, 0x7fff
	s_delay_alu instid0(VALU_DEP_2) | instskip(SKIP_1) | instid1(VALU_DEP_2)
	v_cndmask_b32_e32 v21, 0x7fc00000, v21, vcc_lo
	v_cmp_o_f32_e32 vcc_lo, v23, v23
	v_dual_mul_f32 v20, v21, v20 :: v_dual_and_b32 v27, 0xffff0000, v27
	v_cndmask_b32_e32 v23, 0x7fc00000, v26, vcc_lo
	v_cmp_o_f32_e32 vcc_lo, v5, v5
	s_delay_alu instid0(VALU_DEP_3) | instskip(SKIP_1) | instid1(VALU_DEP_4)
	v_cndmask_b32_e32 v5, 0x7fc00000, v27, vcc_lo
	v_cmp_o_f32_e32 vcc_lo, v4, v4
	v_dual_mul_f32 v21, v23, v24 :: v_dual_cndmask_b32 v4, 0x7fc00000, v25
	s_delay_alu instid0(VALU_DEP_1) | instskip(SKIP_1) | instid1(VALU_DEP_3)
	v_bfe_u32 v23, v21, 16, 1
	v_cmp_o_f32_e32 vcc_lo, v20, v20
	v_mul_f32_e32 v4, v4, v19
	s_delay_alu instid0(VALU_DEP_3) | instskip(NEXT) | instid1(VALU_DEP_2)
	v_add3_u32 v23, v21, v23, 0x7fff
	v_bfe_u32 v24, v4, 16, 1
	s_delay_alu instid0(VALU_DEP_2) | instskip(NEXT) | instid1(VALU_DEP_2)
	v_and_b32_e32 v23, 0xffff0000, v23
	v_add3_u32 v24, v4, v24, 0x7fff
	v_mul_f32_e32 v5, v5, v22
	v_bfe_u32 v22, v20, 16, 1
	s_delay_alu instid0(VALU_DEP_1) | instskip(NEXT) | instid1(VALU_DEP_1)
	v_add3_u32 v22, v20, v22, 0x7fff
	v_and_b32_e32 v22, 0xffff0000, v22
	s_delay_alu instid0(VALU_DEP_1) | instskip(SKIP_3) | instid1(VALU_DEP_2)
	v_cndmask_b32_e64 v20, 0x7fc00000, |v22|, vcc_lo
	v_and_b32_e32 v22, 0xffff0000, v24
	v_bfe_u32 v19, v5, 16, 1
	v_cmp_o_f32_e32 vcc_lo, v21, v21
	v_add3_u32 v19, v5, v19, 0x7fff
	v_cndmask_b32_e64 v21, 0x7fc00000, |v23|, vcc_lo
	v_cmp_o_f32_e32 vcc_lo, v5, v5
	s_delay_alu instid0(VALU_DEP_3) | instskip(NEXT) | instid1(VALU_DEP_3)
	v_and_b32_e32 v19, 0xffff0000, v19
	v_max3_f32 v18, v18, v20, v21
	s_delay_alu instid0(VALU_DEP_2) | instskip(SKIP_2) | instid1(VALU_DEP_1)
	v_cndmask_b32_e64 v5, 0x7fc00000, |v19|, vcc_lo
	v_cmp_o_f32_e32 vcc_lo, v4, v4
	v_cndmask_b32_e64 v4, 0x7fc00000, |v22|, vcc_lo
	v_max3_f32 v18, v18, v4, v5
	v_cmpx_gt_u32_e64 s23, v1
	s_xor_b32 s36, exec_lo, s36
	s_cbranch_execz .LBB14_50
; %bb.56:                               ;   in Loop: Header=BB14_53 Depth=1
	v_lshlrev_b64 v[4:5], 3, v[1:2]
	s_delay_alu instid0(VALU_DEP_1) | instskip(NEXT) | instid1(VALU_DEP_2)
	v_add_co_u32 v19, vcc_lo, s9, v4
	v_add_co_ci_u32_e32 v20, vcc_lo, s16, v5, vcc_lo
	v_add_co_u32 v21, vcc_lo, s18, v4
	v_add_co_ci_u32_e32 v22, vcc_lo, s19, v5, vcc_lo
	;; [unrolled: 2-line block ×3, first 2 shown]
	global_load_b64 v[19:20], v[19:20], off
	global_load_b64 v[21:22], v[21:22], off
	;; [unrolled: 1-line block ×3, first 2 shown]
	s_waitcnt vmcnt(0)
	v_lshlrev_b32_e32 v25, 16, v4
	v_and_b32_e32 v26, 0xffff0000, v4
	v_lshlrev_b32_e32 v24, 16, v19
	v_and_b32_e32 v1, 0xffff0000, v19
	v_alignbit_b32 v19, v20, v19, 16
	v_alignbit_b32 v4, v5, v4, 16
	s_delay_alu instid0(VALU_DEP_3) | instskip(SKIP_1) | instid1(VALU_DEP_4)
	v_dual_add_f32 v24, v24, v25 :: v_dual_add_f32 v1, v1, v26
	v_and_b32_e32 v20, 0xffff0000, v20
	v_and_b32_e32 v19, 0xffff0000, v19
	s_delay_alu instid0(VALU_DEP_4) | instskip(SKIP_3) | instid1(VALU_DEP_3)
	v_and_b32_e32 v4, 0xffff0000, v4
	v_and_b32_e32 v5, 0xffff0000, v5
	v_mul_f32_e32 v1, v6, v1
	v_dual_mul_f32 v24, v6, v24 :: v_dual_and_b32 v23, 0xffff0000, v21
	v_dual_add_f32 v4, v19, v4 :: v_dual_add_f32 v5, v20, v5
	v_alignbit_b32 v19, v22, v21, 16
	s_delay_alu instid0(VALU_DEP_4) | instskip(NEXT) | instid1(VALU_DEP_4)
	v_bfe_u32 v25, v1, 16, 1
	v_cmp_o_f32_e32 vcc_lo, v24, v24
	s_delay_alu instid0(VALU_DEP_4) | instskip(SKIP_1) | instid1(VALU_DEP_4)
	v_mul_f32_e32 v4, v6, v4
	v_mul_f32_e32 v5, v6, v5
	v_add3_u32 v25, v1, v25, 0x7fff
	s_delay_alu instid0(VALU_DEP_3) | instskip(NEXT) | instid1(VALU_DEP_3)
	v_bfe_u32 v27, v4, 16, 1
	v_bfe_u32 v26, v5, 16, 1
	s_delay_alu instid0(VALU_DEP_3) | instskip(NEXT) | instid1(VALU_DEP_3)
	v_and_b32_e32 v25, 0xffff0000, v25
	v_add3_u32 v27, v4, v27, 0x7fff
	s_delay_alu instid0(VALU_DEP_3) | instskip(NEXT) | instid1(VALU_DEP_1)
	v_add3_u32 v26, v5, v26, 0x7fff
	v_and_b32_e32 v26, 0xffff0000, v26
	v_lshlrev_b32_e32 v20, 16, v21
	v_bfe_u32 v21, v24, 16, 1
	s_delay_alu instid0(VALU_DEP_1) | instskip(NEXT) | instid1(VALU_DEP_1)
	v_add3_u32 v21, v24, v21, 0x7fff
	v_and_b32_e32 v21, 0xffff0000, v21
	s_delay_alu instid0(VALU_DEP_1) | instskip(SKIP_3) | instid1(VALU_DEP_2)
	v_cndmask_b32_e32 v21, 0x7fc00000, v21, vcc_lo
	v_cmp_o_f32_e32 vcc_lo, v1, v1
	v_cndmask_b32_e32 v1, 0x7fc00000, v25, vcc_lo
	v_cmp_o_f32_e32 vcc_lo, v5, v5
	v_dual_mul_f32 v1, v1, v23 :: v_dual_and_b32 v22, 0xffff0000, v22
	v_cndmask_b32_e32 v5, 0x7fc00000, v26, vcc_lo
	v_dual_mul_f32 v20, v21, v20 :: v_dual_and_b32 v19, 0xffff0000, v19
	v_and_b32_e32 v24, 0xffff0000, v27
	v_cmp_o_f32_e32 vcc_lo, v4, v4
	s_delay_alu instid0(VALU_DEP_4) | instskip(SKIP_4) | instid1(VALU_DEP_4)
	v_mul_f32_e32 v5, v5, v22
	v_bfe_u32 v22, v1, 16, 1
	v_bfe_u32 v21, v20, 16, 1
	v_cndmask_b32_e32 v4, 0x7fc00000, v24, vcc_lo
	v_cmp_o_f32_e32 vcc_lo, v20, v20
	v_add3_u32 v22, v1, v22, 0x7fff
	s_delay_alu instid0(VALU_DEP_3) | instskip(SKIP_2) | instid1(VALU_DEP_4)
	v_mul_f32_e32 v4, v4, v19
	v_add3_u32 v19, v20, v21, 0x7fff
	v_bfe_u32 v21, v5, 16, 1
	v_and_b32_e32 v22, 0xffff0000, v22
	s_delay_alu instid0(VALU_DEP_4) | instskip(NEXT) | instid1(VALU_DEP_4)
	v_bfe_u32 v23, v4, 16, 1
	v_and_b32_e32 v19, 0xffff0000, v19
	s_delay_alu instid0(VALU_DEP_4) | instskip(NEXT) | instid1(VALU_DEP_3)
	v_add3_u32 v21, v5, v21, 0x7fff
	v_add3_u32 v23, v4, v23, 0x7fff
	s_delay_alu instid0(VALU_DEP_3)
	v_cndmask_b32_e64 v19, 0x7fc00000, |v19|, vcc_lo
	v_cmp_o_f32_e32 vcc_lo, v1, v1
	v_add3_u32 v1, s31, s28, v3
	v_and_b32_e32 v3, 0xffff0000, v21
	v_cndmask_b32_e64 v20, 0x7fc00000, |v22|, vcc_lo
	v_and_b32_e32 v22, 0xffff0000, v23
	v_cmp_o_f32_e32 vcc_lo, v4, v4
	s_delay_alu instid0(VALU_DEP_3) | instskip(NEXT) | instid1(VALU_DEP_3)
	v_max3_f32 v18, v18, v19, v20
	v_cndmask_b32_e64 v4, 0x7fc00000, |v22|, vcc_lo
	v_cmp_o_f32_e32 vcc_lo, v5, v5
	v_cndmask_b32_e64 v3, 0x7fc00000, |v3|, vcc_lo
	v_cmp_le_u32_e32 vcc_lo, s23, v1
	s_delay_alu instid0(VALU_DEP_2)
	v_max3_f32 v18, v18, v4, v3
	s_or_not1_b32 s37, vcc_lo, exec_lo
	s_branch .LBB14_50
.LBB14_57:
	s_or_b32 exec_lo, exec_lo, s29
.LBB14_58:
	s_delay_alu instid0(SALU_CYCLE_1) | instskip(SKIP_4) | instid1(VALU_DEP_1)
	s_or_b32 exec_lo, exec_lo, s20
	ds_bpermute_b32 v1, v8, v18
	s_waitcnt lgkmcnt(0)
	v_cmp_lt_f32_e32 vcc_lo, v18, v1
	v_cndmask_b32_e32 v1, v18, v1, vcc_lo
	v_cndmask_b32_e64 v1, v18, v1, s0
	s_or_b32 s0, s0, s1
	s_delay_alu instid0(SALU_CYCLE_1) | instskip(NEXT) | instid1(SALU_CYCLE_1)
	s_or_b32 s0, s3, s0
	s_or_b32 s0, s5, s0
	ds_bpermute_b32 v2, v10, v1
	s_waitcnt lgkmcnt(0)
	v_cmp_lt_f32_e32 vcc_lo, v1, v2
	v_cndmask_b32_e32 v2, v1, v2, vcc_lo
	s_delay_alu instid0(VALU_DEP_1) | instskip(SKIP_4) | instid1(VALU_DEP_1)
	v_cndmask_b32_e64 v1, v1, v2, s1
	ds_bpermute_b32 v2, v11, v1
	s_waitcnt lgkmcnt(0)
	v_cmp_lt_f32_e32 vcc_lo, v1, v2
	v_cndmask_b32_e32 v2, v1, v2, vcc_lo
	v_cndmask_b32_e64 v1, v1, v2, s3
	ds_bpermute_b32 v2, v13, v1
	s_waitcnt lgkmcnt(0)
	v_cmp_lt_f32_e32 vcc_lo, v1, v2
	v_cndmask_b32_e32 v2, v1, v2, vcc_lo
	s_delay_alu instid0(VALU_DEP_1)
	v_cndmask_b32_e64 v1, v1, v2, s5
	ds_bpermute_b32 v2, v15, v1
	s_waitcnt lgkmcnt(0)
	v_cmp_lt_f32_e32 vcc_lo, v1, v2
	s_and_b32 vcc_lo, s8, vcc_lo
	v_cndmask_b32_e32 v1, v1, v2, vcc_lo
	s_or_b32 vcc_lo, s8, s0
	s_delay_alu instid0(VALU_DEP_1)
	v_cndmask_b32_e32 v1, v18, v1, vcc_lo
	s_and_saveexec_b32 s0, s6
	s_cbranch_execz .LBB14_60
; %bb.59:
	v_lshrrev_b32_e32 v2, 3, v0
	s_delay_alu instid0(VALU_DEP_1)
	v_and_b32_e32 v2, 0x7c, v2
	ds_store_b32 v2, v1 offset:128
.LBB14_60:
	s_or_b32 exec_lo, exec_lo, s0
	s_waitcnt lgkmcnt(0)
	s_barrier
	buffer_gl0_inv
	s_and_saveexec_b32 s8, s7
	s_cbranch_execz .LBB14_62
; %bb.61:
	v_lshlrev_b32_e32 v1, 2, v7
	s_add_i32 s0, s28, 31
	s_delay_alu instid0(SALU_CYCLE_1)
	s_lshr_b32 s5, s0, 5
	ds_load_b32 v1, v1 offset:128
	s_waitcnt lgkmcnt(0)
	ds_bpermute_b32 v2, v8, v1
	s_waitcnt lgkmcnt(0)
	v_cmp_lt_f32_e32 vcc_lo, v1, v2
	v_cndmask_b32_e32 v2, v1, v2, vcc_lo
	v_cmp_gt_u32_e32 vcc_lo, s5, v9
	s_delay_alu instid0(VALU_DEP_2) | instskip(SKIP_3) | instid1(VALU_DEP_1)
	v_cndmask_b32_e32 v2, v1, v2, vcc_lo
	ds_bpermute_b32 v3, v10, v2
	s_waitcnt lgkmcnt(0)
	v_cmp_lt_f32_e64 s0, v2, v3
	v_cndmask_b32_e64 v3, v2, v3, s0
	v_cmp_gt_u32_e64 s0, s5, v12
	s_delay_alu instid0(VALU_DEP_1) | instskip(SKIP_4) | instid1(VALU_DEP_1)
	v_cndmask_b32_e64 v2, v2, v3, s0
	s_or_b32 s0, vcc_lo, s0
	ds_bpermute_b32 v3, v11, v2
	s_waitcnt lgkmcnt(0)
	v_cmp_lt_f32_e64 s1, v2, v3
	v_cndmask_b32_e64 v3, v2, v3, s1
	v_cmp_gt_u32_e64 s1, s5, v14
	s_delay_alu instid0(VALU_DEP_1) | instskip(SKIP_4) | instid1(VALU_DEP_1)
	v_cndmask_b32_e64 v2, v2, v3, s1
	s_or_b32 s0, s1, s0
	ds_bpermute_b32 v3, v13, v2
	s_waitcnt lgkmcnt(0)
	v_cmp_lt_f32_e64 s3, v2, v3
	v_cndmask_b32_e64 v3, v2, v3, s3
	v_cmp_gt_u32_e64 s3, s5, v16
	v_cmp_gt_u32_e64 s5, s5, v17
	s_delay_alu instid0(VALU_DEP_2) | instskip(SKIP_4) | instid1(VALU_DEP_1)
	v_cndmask_b32_e64 v2, v2, v3, s3
	s_or_b32 s0, s3, s0
	ds_bpermute_b32 v3, v15, v2
	s_waitcnt lgkmcnt(0)
	v_cmp_lt_f32_e64 s6, v2, v3
	s_and_b32 vcc_lo, s5, s6
	v_cndmask_b32_e32 v2, v2, v3, vcc_lo
	s_or_b32 vcc_lo, s5, s0
	s_delay_alu instid0(VALU_DEP_1)
	v_cndmask_b32_e32 v1, v1, v2, vcc_lo
.LBB14_62:
	s_or_b32 exec_lo, exec_lo, s8
	s_and_saveexec_b32 s0, s4
	s_cbranch_execz .LBB14_66
; %bb.63:
	s_cmp_eq_u64 s[26:27], 0
	s_cbranch_scc1 .LBB14_65
; %bb.64:
	s_load_b32 s1, s[26:27], 0x0
	v_max_f32_e32 v1, v1, v1
	s_waitcnt lgkmcnt(0)
	v_max_f32_e64 v2, s1, s1
	s_delay_alu instid0(VALU_DEP_1)
	v_min_f32_e32 v1, v1, v2
.LBB14_65:
	s_delay_alu instid0(VALU_DEP_1) | instskip(SKIP_2) | instid1(VALU_DEP_2)
	v_div_scale_f32 v2, null, 0x42fe0000, 0x42fe0000, v1
	v_div_scale_f32 v5, vcc_lo, v1, 0x42fe0000, v1
	s_lshl_b64 s[4:5], s[24:25], 2
	v_rcp_f32_e32 v3, v2
	s_add_u32 s4, s14, s4
	s_addc_u32 s5, s15, s5
	s_waitcnt_depctr 0xfff
	v_fma_f32 v4, -v2, v3, 1.0
	s_delay_alu instid0(VALU_DEP_1) | instskip(NEXT) | instid1(VALU_DEP_1)
	v_fmac_f32_e32 v3, v4, v3
	v_mul_f32_e32 v4, v5, v3
	s_delay_alu instid0(VALU_DEP_1) | instskip(NEXT) | instid1(VALU_DEP_1)
	v_fma_f32 v7, -v2, v4, v5
	v_fmac_f32_e32 v4, v7, v3
	s_delay_alu instid0(VALU_DEP_1) | instskip(NEXT) | instid1(VALU_DEP_1)
	v_fma_f32 v2, -v2, v4, v5
	v_div_fmas_f32 v2, v2, v3, v4
	s_delay_alu instid0(VALU_DEP_1) | instskip(NEXT) | instid1(VALU_DEP_1)
	v_div_fixup_f32 v1, v2, 0x42fe0000, v1
	v_dual_mov_b32 v2, 0 :: v_dual_max_f32 v1, 0x34000000, v1
	ds_store_b32 v2, v1 offset:516
	global_store_b32 v2, v1, s[4:5]
.LBB14_66:
	s_or_b32 exec_lo, exec_lo, s0
	s_waitcnt lgkmcnt(0)
	s_waitcnt_vscnt null, 0x0
	s_barrier
	buffer_gl0_inv
	s_and_saveexec_b32 s0, s2
	s_cbranch_execz .LBB14_75
; %bb.67:
	v_mov_b32_e32 v1, 0
	s_add_u32 s0, s12, s10
	s_addc_u32 s1, s13, s11
	s_mul_i32 s2, s28, 3
	s_lshl_b32 s3, s28, 1
	ds_load_b32 v2, v1 offset:516
	s_mov_b32 s4, 0
	s_add_i32 s5, s28, s28
                                        ; implicit-def: $sgpr6
	s_waitcnt lgkmcnt(0)
	v_div_scale_f32 v3, null, v2, v2, 1.0
	v_div_scale_f32 v7, vcc_lo, 1.0, v2, 1.0
	s_delay_alu instid0(VALU_DEP_2) | instskip(SKIP_2) | instid1(VALU_DEP_1)
	v_rcp_f32_e32 v4, v3
	s_waitcnt_depctr 0xfff
	v_fma_f32 v5, -v3, v4, 1.0
	v_fmac_f32_e32 v4, v5, v4
	s_delay_alu instid0(VALU_DEP_1) | instskip(NEXT) | instid1(VALU_DEP_1)
	v_mul_f32_e32 v5, v7, v4
	v_fma_f32 v8, -v3, v5, v7
	s_delay_alu instid0(VALU_DEP_1) | instskip(NEXT) | instid1(VALU_DEP_1)
	v_fmac_f32_e32 v5, v8, v4
	v_fma_f32 v3, -v3, v5, v7
	s_delay_alu instid0(VALU_DEP_1) | instskip(NEXT) | instid1(VALU_DEP_1)
	v_div_fmas_f32 v3, v3, v4, v5
	v_div_fixup_f32 v5, v3, v2, 1.0
	s_branch .LBB14_71
.LBB14_68:                              ;   in Loop: Header=BB14_71 Depth=1
	s_or_b32 exec_lo, exec_lo, s10
	s_delay_alu instid0(SALU_CYCLE_1)
	s_or_not1_b32 s10, s11, exec_lo
.LBB14_69:                              ;   in Loop: Header=BB14_71 Depth=1
	s_or_b32 exec_lo, exec_lo, s8
	s_delay_alu instid0(SALU_CYCLE_1) | instskip(SKIP_1) | instid1(SALU_CYCLE_1)
	s_and_not1_b32 s6, s6, exec_lo
	s_and_b32 s8, s10, exec_lo
	s_or_b32 s6, s6, s8
.LBB14_70:                              ;   in Loop: Header=BB14_71 Depth=1
	s_or_b32 exec_lo, exec_lo, s7
	s_delay_alu instid0(SALU_CYCLE_1) | instskip(NEXT) | instid1(SALU_CYCLE_1)
	s_and_b32 s7, exec_lo, s6
	s_or_b32 s4, s7, s4
	s_delay_alu instid0(SALU_CYCLE_1)
	s_and_not1_b32 exec_lo, exec_lo, s4
	s_cbranch_execz .LBB14_75
.LBB14_71:                              ; =>This Inner Loop Header: Depth=1
	v_lshlrev_b64 v[2:3], 3, v[0:1]
	v_lshlrev_b64 v[13:14], 2, v[0:1]
	s_or_b32 s6, s6, exec_lo
	s_mov_b32 s7, exec_lo
	s_delay_alu instid0(VALU_DEP_2) | instskip(NEXT) | instid1(VALU_DEP_3)
	v_add_co_u32 v7, vcc_lo, s9, v2
	v_add_co_ci_u32_e32 v8, vcc_lo, s16, v3, vcc_lo
	v_add_co_u32 v9, vcc_lo, s18, v2
	v_add_co_ci_u32_e32 v10, vcc_lo, s19, v3, vcc_lo
	;; [unrolled: 2-line block ×3, first 2 shown]
	global_load_b64 v[7:8], v[7:8], off
	global_load_b64 v[2:3], v[9:10], off
	;; [unrolled: 1-line block ×3, first 2 shown]
	s_waitcnt vmcnt(2)
	v_lshlrev_b32_e32 v16, 16, v7
	s_waitcnt vmcnt(0)
	v_lshlrev_b32_e32 v18, 16, v9
	v_and_b32_e32 v17, 0xffff0000, v9
	v_alignbit_b32 v9, v10, v9, 16
	v_and_b32_e32 v10, 0xffff0000, v10
	s_delay_alu instid0(VALU_DEP_2) | instskip(SKIP_2) | instid1(VALU_DEP_1)
	v_and_b32_e32 v9, 0xffff0000, v9
	v_and_b32_e32 v4, 0xffff0000, v7
	v_alignbit_b32 v7, v8, v7, 16
	v_and_b32_e32 v7, 0xffff0000, v7
	s_delay_alu instid0(VALU_DEP_1) | instskip(NEXT) | instid1(VALU_DEP_1)
	v_dual_add_f32 v7, v7, v9 :: v_dual_and_b32 v8, 0xffff0000, v8
	v_dual_mul_f32 v25, v6, v7 :: v_dual_add_f32 v8, v8, v10
	v_bfe_u32 v22, v7, 16, 1
	s_delay_alu instid0(VALU_DEP_2) | instskip(NEXT) | instid1(VALU_DEP_3)
	v_bfe_u32 v27, v25, 16, 1
	v_dual_mul_f32 v21, v6, v8 :: v_dual_add_f32 v16, v16, v18
	v_dual_add_f32 v4, v4, v17 :: v_dual_and_b32 v15, 0xffff0000, v2
	v_lshlrev_b32_e32 v19, 16, v2
	v_alignbit_b32 v2, v3, v2, 16
	s_delay_alu instid0(VALU_DEP_4) | instskip(NEXT) | instid1(VALU_DEP_4)
	v_dual_mul_f32 v18, v6, v16 :: v_dual_and_b32 v3, 0xffff0000, v3
	v_mul_f32_e32 v20, v6, v4
	v_bfe_u32 v26, v21, 16, 1
	v_add3_u32 v27, v25, v27, 0x7fff
	s_delay_alu instid0(VALU_DEP_4)
	v_bfe_u32 v23, v18, 16, 1
	v_cmp_o_f32_e32 vcc_lo, v18, v18
	v_bfe_u32 v24, v20, 16, 1
	v_add3_u32 v26, v21, v26, 0x7fff
	v_bfe_u32 v17, v8, 16, 1
	v_add3_u32 v23, v18, v23, 0x7fff
	;; [unrolled: 2-line block ×3, first 2 shown]
	v_and_b32_e32 v26, 0xffff0000, v26
	v_add3_u32 v17, v8, v17, 0x7fff
	v_and_b32_e32 v23, 0xffff0000, v23
	v_add3_u32 v10, v4, v10, 0x7fff
	;; [unrolled: 2-line block ×3, first 2 shown]
	v_bfe_u32 v9, v16, 16, 1
	v_cndmask_b32_e32 v18, 0x7fc00000, v23, vcc_lo
	v_cmp_o_f32_e32 vcc_lo, v20, v20
	v_and_b32_e32 v23, 0xffff0000, v27
	v_and_b32_e32 v10, 0xffff0000, v10
	v_add3_u32 v9, v16, v9, 0x7fff
	v_mul_f32_e32 v18, v18, v19
	v_cndmask_b32_e32 v20, 0x7fc00000, v24, vcc_lo
	v_cmp_o_f32_e32 vcc_lo, v21, v21
	v_lshrrev_b32_e32 v19, 16, v22
	v_lshrrev_b32_e32 v9, 16, v9
	s_delay_alu instid0(VALU_DEP_4) | instskip(SKIP_4) | instid1(VALU_DEP_4)
	v_mul_f32_e32 v15, v20, v15
	v_cndmask_b32_e32 v21, 0x7fc00000, v26, vcc_lo
	v_cmp_o_f32_e32 vcc_lo, v25, v25
	v_and_b32_e32 v2, 0xffff0000, v2
	v_bfe_u32 v20, v18, 16, 1
	v_mul_f32_e32 v3, v21, v3
	v_cndmask_b32_e32 v23, 0x7fc00000, v23, vcc_lo
	v_and_b32_e32 v17, 0xffff0000, v17
	v_cmp_o_f32_e32 vcc_lo, v8, v8
	v_bfe_u32 v21, v15, 16, 1
	v_bfe_u32 v22, v3, 16, 1
	v_mul_f32_e32 v2, v23, v2
	v_cndmask_b32_e32 v8, 0x7fc00000, v17, vcc_lo
	v_add3_u32 v17, v18, v20, 0x7fff
	v_cmp_o_f32_e32 vcc_lo, v4, v4
	s_delay_alu instid0(VALU_DEP_4) | instskip(SKIP_3) | instid1(VALU_DEP_4)
	v_bfe_u32 v23, v2, 16, 1
	v_add3_u32 v20, v15, v21, 0x7fff
	v_add3_u32 v21, v3, v22, 0x7fff
	v_cndmask_b32_e32 v4, 0x7fc00000, v10, vcc_lo
	v_add3_u32 v22, v2, v23, 0x7fff
	v_and_b32_e32 v10, 0xffff0000, v17
	v_cmp_o_f32_e32 vcc_lo, v18, v18
	v_and_b32_e32 v17, 0xffff0000, v20
	v_and_b32_e32 v21, 0xffff0000, v21
	;; [unrolled: 1-line block ×3, first 2 shown]
	v_cndmask_b32_e32 v10, 0x7fc00000, v10, vcc_lo
	v_cmp_o_f32_e32 vcc_lo, v2, v2
	s_delay_alu instid0(VALU_DEP_2) | instskip(NEXT) | instid1(VALU_DEP_4)
	v_mul_f32_e32 v10, v5, v10
	v_cndmask_b32_e32 v2, 0x7fc00000, v20, vcc_lo
	v_cmp_o_f32_e32 vcc_lo, v15, v15
	s_delay_alu instid0(VALU_DEP_3) | instskip(NEXT) | instid1(VALU_DEP_3)
	v_rndne_f32_e32 v10, v10
	v_dual_mul_f32 v2, v5, v2 :: v_dual_cndmask_b32 v15, 0x7fc00000, v17
	v_cmp_o_f32_e32 vcc_lo, v3, v3
	s_delay_alu instid0(VALU_DEP_2) | instskip(NEXT) | instid1(VALU_DEP_3)
	v_rndne_f32_e32 v2, v2
	v_mul_f32_e32 v15, v5, v15
	v_cndmask_b32_e32 v3, 0x7fc00000, v21, vcc_lo
	v_cmp_o_f32_e32 vcc_lo, v16, v16
	s_delay_alu instid0(VALU_DEP_3) | instskip(NEXT) | instid1(VALU_DEP_3)
	v_rndne_f32_e32 v15, v15
	v_mul_f32_e32 v3, v5, v3
	v_cndmask_b32_e32 v9, 0x7fc0, v9, vcc_lo
	v_cmp_o_f32_e32 vcc_lo, v7, v7
	s_delay_alu instid0(VALU_DEP_3) | instskip(NEXT) | instid1(VALU_DEP_3)
	v_rndne_f32_e32 v3, v3
	v_or_b32_e32 v9, v9, v4
	v_cndmask_b32_e32 v7, 0x7fc0, v19, vcc_lo
	v_cmp_nlt_f32_e32 vcc_lo, 0x42fe0000, v2
	s_delay_alu instid0(VALU_DEP_2)
	v_or3_b32 v4, 0, v7, v8
	v_cndmask_b32_e32 v16, 0x42fe0000, v2, vcc_lo
	v_cmp_nlt_f32_e32 vcc_lo, 0x42fe0000, v10
	v_cndmask_b32_e32 v17, 0x42fe0000, v10, vcc_lo
	v_cmp_nlt_f32_e32 vcc_lo, 0x42fe0000, v15
	v_cndmask_b32_e32 v18, 0x42fe0000, v15, vcc_lo
	v_cmp_ngt_f32_e32 vcc_lo, 0xc3000000, v2
	v_cndmask_b32_e32 v2, 0xc3000000, v16, vcc_lo
	v_cmp_nlt_f32_e32 vcc_lo, 0x42fe0000, v3
	s_delay_alu instid0(VALU_DEP_2) | instskip(SKIP_2) | instid1(VALU_DEP_3)
	v_cvt_i32_f32_e32 v2, v2
	v_cndmask_b32_e32 v16, 0x42fe0000, v3, vcc_lo
	v_cmp_ngt_f32_e32 vcc_lo, 0xc3000000, v15
	v_and_b32_e32 v2, 0xff, v2
	v_cndmask_b32_e32 v15, 0xc3000000, v18, vcc_lo
	v_cmp_ngt_f32_e32 vcc_lo, 0xc3000000, v10
	s_delay_alu instid0(VALU_DEP_3) | instskip(NEXT) | instid1(VALU_DEP_3)
	v_lshlrev_b32_e32 v2, 16, v2
	v_cvt_i32_f32_e32 v15, v15
	v_cndmask_b32_e32 v10, 0xc3000000, v17, vcc_lo
	v_cmp_ngt_f32_e32 vcc_lo, 0xc3000000, v3
	s_delay_alu instid0(VALU_DEP_3) | instskip(NEXT) | instid1(VALU_DEP_3)
	v_and_b32_e32 v15, 0xff, v15
	v_cvt_i32_f32_e32 v10, v10
	v_cndmask_b32_e32 v3, 0xc3000000, v16, vcc_lo
	v_add_co_u32 v7, vcc_lo, s0, v13
	v_add_co_ci_u32_e32 v8, vcc_lo, s1, v14, vcc_lo
	s_delay_alu instid0(VALU_DEP_3) | instskip(SKIP_3) | instid1(VALU_DEP_4)
	v_cvt_i32_f32_e32 v16, v3
	v_or3_b32 v3, v9, 0, 0
	v_and_b32_e32 v9, 0xff, v10
	v_lshlrev_b32_e32 v10, 8, v15
	v_lshl_or_b32 v15, v16, 24, v2
	v_add_nc_u32_e32 v2, s28, v0
	global_store_b64 v[11:12], v[3:4], off
	v_or3_b32 v9, v15, v10, v9
	global_store_b32 v[7:8], v9, off
	v_cmpx_gt_u32_e64 s23, v2
	s_cbranch_execz .LBB14_70
; %bb.72:                               ;   in Loop: Header=BB14_71 Depth=1
	v_mov_b32_e32 v3, v1
	s_mov_b32 s10, -1
	s_mov_b32 s8, exec_lo
	s_delay_alu instid0(VALU_DEP_1) | instskip(NEXT) | instid1(VALU_DEP_1)
	v_lshlrev_b64 v[7:8], 3, v[2:3]
	v_add_co_u32 v9, vcc_lo, s9, v7
	s_delay_alu instid0(VALU_DEP_2)
	v_add_co_ci_u32_e32 v10, vcc_lo, s16, v8, vcc_lo
	v_add_co_u32 v11, vcc_lo, s18, v7
	v_add_co_ci_u32_e32 v12, vcc_lo, s19, v8, vcc_lo
	v_add_co_u32 v7, vcc_lo, s17, v7
	v_add_co_ci_u32_e32 v8, vcc_lo, s22, v8, vcc_lo
	global_load_b64 v[9:10], v[9:10], off
	global_load_b64 v[11:12], v[11:12], off
	;; [unrolled: 1-line block ×3, first 2 shown]
	s_waitcnt vmcnt(2)
	v_lshlrev_b32_e32 v17, 16, v9
	s_waitcnt vmcnt(1)
	v_and_b32_e32 v4, 0xffff0000, v11
	s_waitcnt vmcnt(0)
	v_and_b32_e32 v18, 0xffff0000, v13
	v_lshlrev_b32_e32 v19, 16, v13
	v_alignbit_b32 v13, v14, v13, 16
	v_lshlrev_b64 v[15:16], 2, v[2:3]
	s_delay_alu instid0(VALU_DEP_2) | instskip(SKIP_4) | instid1(VALU_DEP_2)
	v_and_b32_e32 v13, 0xffff0000, v13
	v_and_b32_e32 v14, 0xffff0000, v14
	;; [unrolled: 1-line block ×3, first 2 shown]
	v_alignbit_b32 v9, v10, v9, 16
	v_and_b32_e32 v10, 0xffff0000, v10
	v_and_b32_e32 v9, 0xffff0000, v9
	s_delay_alu instid0(VALU_DEP_1) | instskip(SKIP_2) | instid1(VALU_DEP_3)
	v_dual_add_f32 v9, v9, v13 :: v_dual_add_f32 v10, v10, v14
	v_dual_add_f32 v3, v3, v18 :: v_dual_lshlrev_b32 v20, 16, v11
	v_alignbit_b32 v11, v12, v11, 16
	v_mul_f32_e32 v26, v6, v9
	s_delay_alu instid0(VALU_DEP_4) | instskip(NEXT) | instid1(VALU_DEP_4)
	v_dual_mul_f32 v22, v6, v10 :: v_dual_add_f32 v17, v17, v19
	v_dual_mul_f32 v21, v6, v3 :: v_dual_and_b32 v12, 0xffff0000, v12
	s_delay_alu instid0(VALU_DEP_4) | instskip(NEXT) | instid1(VALU_DEP_3)
	v_and_b32_e32 v11, 0xffff0000, v11
	v_bfe_u32 v27, v22, 16, 1
	s_delay_alu instid0(VALU_DEP_4)
	v_mul_f32_e32 v19, v6, v17
	v_bfe_u32 v28, v26, 16, 1
	v_bfe_u32 v25, v21, 16, 1
	;; [unrolled: 1-line block ×3, first 2 shown]
	v_add3_u32 v27, v22, v27, 0x7fff
	v_bfe_u32 v24, v19, 16, 1
	v_cmp_o_f32_e32 vcc_lo, v19, v19
	v_add3_u32 v25, v21, v25, 0x7fff
	v_add3_u32 v28, v26, v28, 0x7fff
	v_and_b32_e32 v27, 0xffff0000, v27
	v_add3_u32 v24, v19, v24, 0x7fff
	v_bfe_u32 v18, v10, 16, 1
	v_and_b32_e32 v25, 0xffff0000, v25
	v_add3_u32 v14, v3, v14, 0x7fff
	v_bfe_u32 v23, v9, 16, 1
	;; [unrolled: 3-line block ×3, first 2 shown]
	s_delay_alu instid0(VALU_DEP_4) | instskip(NEXT) | instid1(VALU_DEP_4)
	v_add3_u32 v23, v9, v23, 0x7fff
	v_cndmask_b32_e32 v19, 0x7fc00000, v24, vcc_lo
	v_cmp_o_f32_e32 vcc_lo, v21, v21
	v_and_b32_e32 v24, 0xffff0000, v28
	v_and_b32_e32 v14, 0xffff0000, v14
	v_add3_u32 v13, v17, v13, 0x7fff
	v_mul_f32_e32 v19, v19, v20
	v_cndmask_b32_e32 v21, 0x7fc00000, v25, vcc_lo
	v_cmp_o_f32_e32 vcc_lo, v22, v22
	v_lshrrev_b32_e32 v20, 16, v23
	v_lshrrev_b32_e32 v13, 16, v13
	s_delay_alu instid0(VALU_DEP_4) | instskip(SKIP_3) | instid1(VALU_DEP_3)
	v_mul_f32_e32 v4, v21, v4
	v_cndmask_b32_e32 v22, 0x7fc00000, v27, vcc_lo
	v_cmp_o_f32_e32 vcc_lo, v26, v26
	v_bfe_u32 v21, v19, 16, 1
	v_mul_f32_e32 v12, v22, v12
	v_cndmask_b32_e32 v24, 0x7fc00000, v24, vcc_lo
	v_and_b32_e32 v18, 0xffff0000, v18
	v_cmp_o_f32_e32 vcc_lo, v10, v10
	v_bfe_u32 v22, v4, 16, 1
	v_bfe_u32 v23, v12, 16, 1
	s_delay_alu instid0(VALU_DEP_4) | instskip(SKIP_2) | instid1(VALU_DEP_3)
	v_dual_mul_f32 v11, v24, v11 :: v_dual_cndmask_b32 v10, 0x7fc00000, v18
	v_add3_u32 v18, v19, v21, 0x7fff
	v_cmp_o_f32_e32 vcc_lo, v3, v3
	v_bfe_u32 v24, v11, 16, 1
	v_add3_u32 v21, v4, v22, 0x7fff
	v_add3_u32 v22, v12, v23, 0x7fff
	v_cndmask_b32_e32 v3, 0x7fc00000, v14, vcc_lo
	s_delay_alu instid0(VALU_DEP_4)
	v_add3_u32 v23, v11, v24, 0x7fff
	v_and_b32_e32 v14, 0xffff0000, v18
	v_cmp_o_f32_e32 vcc_lo, v19, v19
	v_and_b32_e32 v18, 0xffff0000, v21
	v_and_b32_e32 v22, 0xffff0000, v22
	;; [unrolled: 1-line block ×3, first 2 shown]
	v_cndmask_b32_e32 v14, 0x7fc00000, v14, vcc_lo
	v_cmp_o_f32_e32 vcc_lo, v11, v11
	s_delay_alu instid0(VALU_DEP_2) | instskip(SKIP_1) | instid1(VALU_DEP_2)
	v_dual_mul_f32 v14, v5, v14 :: v_dual_cndmask_b32 v11, 0x7fc00000, v21
	v_cmp_o_f32_e32 vcc_lo, v4, v4
	v_rndne_f32_e32 v14, v14
	s_delay_alu instid0(VALU_DEP_3) | instskip(SKIP_1) | instid1(VALU_DEP_2)
	v_dual_mul_f32 v11, v5, v11 :: v_dual_cndmask_b32 v4, 0x7fc00000, v18
	v_cmp_o_f32_e32 vcc_lo, v12, v12
	v_rndne_f32_e32 v11, v11
	s_delay_alu instid0(VALU_DEP_3) | instskip(SKIP_2) | instid1(VALU_DEP_3)
	v_mul_f32_e32 v4, v5, v4
	v_cndmask_b32_e32 v12, 0x7fc00000, v22, vcc_lo
	v_cmp_o_f32_e32 vcc_lo, v17, v17
	v_rndne_f32_e32 v4, v4
	s_delay_alu instid0(VALU_DEP_3) | instskip(SKIP_1) | instid1(VALU_DEP_2)
	v_dual_mul_f32 v12, v5, v12 :: v_dual_cndmask_b32 v13, 0x7fc0, v13
	v_cmp_o_f32_e32 vcc_lo, v9, v9
	v_rndne_f32_e32 v12, v12
	v_cndmask_b32_e32 v9, 0x7fc0, v20, vcc_lo
	v_cmp_nlt_f32_e32 vcc_lo, 0x42fe0000, v11
	s_delay_alu instid0(VALU_DEP_2)
	v_or3_b32 v10, 0, v9, v10
	v_cndmask_b32_e32 v17, 0x42fe0000, v11, vcc_lo
	v_cmp_nlt_f32_e32 vcc_lo, 0x42fe0000, v14
	v_cndmask_b32_e32 v18, 0x42fe0000, v14, vcc_lo
	v_cmp_nlt_f32_e32 vcc_lo, 0x42fe0000, v4
	v_cndmask_b32_e32 v19, 0x42fe0000, v4, vcc_lo
	v_cmp_ngt_f32_e32 vcc_lo, 0xc3000000, v11
	v_cndmask_b32_e32 v11, 0xc3000000, v17, vcc_lo
	v_cmp_nlt_f32_e32 vcc_lo, 0x42fe0000, v12
	s_delay_alu instid0(VALU_DEP_2) | instskip(SKIP_2) | instid1(VALU_DEP_3)
	v_cvt_i32_f32_e32 v11, v11
	v_cndmask_b32_e32 v17, 0x42fe0000, v12, vcc_lo
	v_cmp_ngt_f32_e32 vcc_lo, 0xc3000000, v4
	v_and_b32_e32 v11, 0xff, v11
	v_cndmask_b32_e32 v4, 0xc3000000, v19, vcc_lo
	v_cmp_ngt_f32_e32 vcc_lo, 0xc3000000, v14
	s_delay_alu instid0(VALU_DEP_3) | instskip(NEXT) | instid1(VALU_DEP_3)
	v_lshlrev_b32_e32 v11, 16, v11
	v_cvt_i32_f32_e32 v4, v4
	v_cndmask_b32_e32 v14, 0xc3000000, v18, vcc_lo
	v_cmp_ngt_f32_e32 vcc_lo, 0xc3000000, v12
	s_delay_alu instid0(VALU_DEP_3) | instskip(SKIP_1) | instid1(VALU_DEP_2)
	v_and_b32_e32 v4, 0xff, v4
	v_cndmask_b32_e32 v12, 0xc3000000, v17, vcc_lo
	v_lshlrev_b32_e32 v4, 8, v4
	v_or_b32_e32 v3, v13, v3
	v_cvt_i32_f32_e32 v13, v14
	s_delay_alu instid0(VALU_DEP_4) | instskip(NEXT) | instid1(VALU_DEP_3)
	v_cvt_i32_f32_e32 v12, v12
	v_or3_b32 v9, v3, 0, 0
	s_delay_alu instid0(VALU_DEP_3) | instskip(NEXT) | instid1(VALU_DEP_3)
	v_and_b32_e32 v13, 0xff, v13
	v_lshl_or_b32 v14, v12, 24, v11
	v_add_co_u32 v11, vcc_lo, s0, v15
	v_add_nc_u32_e32 v3, s3, v0
	v_add_co_ci_u32_e32 v12, vcc_lo, s1, v16, vcc_lo
	s_delay_alu instid0(VALU_DEP_4)
	v_or3_b32 v4, v14, v4, v13
	global_store_b64 v[7:8], v[9:10], off
	global_store_b32 v[11:12], v4, off
	v_cmpx_gt_u32_e64 s23, v3
	s_cbranch_execz .LBB14_69
; %bb.73:                               ;   in Loop: Header=BB14_71 Depth=1
	v_mov_b32_e32 v4, v1
	v_add_nc_u32_e32 v0, s2, v0
	s_mov_b32 s11, -1
	s_mov_b32 s10, exec_lo
	s_delay_alu instid0(VALU_DEP_2) | instskip(NEXT) | instid1(VALU_DEP_1)
	v_lshlrev_b64 v[7:8], 3, v[3:4]
	v_add_co_u32 v9, vcc_lo, s9, v7
	s_delay_alu instid0(VALU_DEP_2)
	v_add_co_ci_u32_e32 v10, vcc_lo, s16, v8, vcc_lo
	v_add_co_u32 v11, vcc_lo, s18, v7
	v_add_co_ci_u32_e32 v12, vcc_lo, s19, v8, vcc_lo
	v_add_co_u32 v7, vcc_lo, s17, v7
	v_add_co_ci_u32_e32 v8, vcc_lo, s22, v8, vcc_lo
	global_load_b64 v[9:10], v[9:10], off
	global_load_b64 v[11:12], v[11:12], off
	;; [unrolled: 1-line block ×3, first 2 shown]
	s_waitcnt vmcnt(2)
	v_and_b32_e32 v15, 0xffff0000, v9
	v_lshlrev_b64 v[3:4], 2, v[3:4]
	s_waitcnt vmcnt(0)
	v_and_b32_e32 v18, 0xffff0000, v13
	v_lshlrev_b32_e32 v19, 16, v13
	v_alignbit_b32 v13, v14, v13, 16
	s_delay_alu instid0(VALU_DEP_3) | instskip(NEXT) | instid1(VALU_DEP_2)
	v_dual_add_f32 v15, v15, v18 :: v_dual_and_b32 v16, 0xffff0000, v11
	v_and_b32_e32 v13, 0xffff0000, v13
	v_and_b32_e32 v14, 0xffff0000, v14
	v_lshlrev_b32_e32 v17, 16, v9
	v_alignbit_b32 v9, v10, v9, 16
	v_dual_mul_f32 v21, v6, v15 :: v_dual_and_b32 v10, 0xffff0000, v10
	s_delay_alu instid0(VALU_DEP_2) | instskip(NEXT) | instid1(VALU_DEP_2)
	v_and_b32_e32 v9, 0xffff0000, v9
	v_bfe_u32 v25, v21, 16, 1
	s_delay_alu instid0(VALU_DEP_2) | instskip(NEXT) | instid1(VALU_DEP_2)
	v_dual_add_f32 v9, v9, v13 :: v_dual_add_f32 v10, v10, v14
	v_add3_u32 v25, v21, v25, 0x7fff
	v_bfe_u32 v14, v15, 16, 1
	s_delay_alu instid0(VALU_DEP_3) | instskip(NEXT) | instid1(VALU_DEP_4)
	v_mul_f32_e32 v26, v6, v9
	v_dual_mul_f32 v22, v6, v10 :: v_dual_add_f32 v17, v17, v19
	v_lshlrev_b32_e32 v20, 16, v11
	v_alignbit_b32 v11, v12, v11, 16
	s_delay_alu instid0(VALU_DEP_4) | instskip(NEXT) | instid1(VALU_DEP_4)
	v_bfe_u32 v28, v26, 16, 1
	v_bfe_u32 v27, v22, 16, 1
	v_mul_f32_e32 v19, v6, v17
	v_and_b32_e32 v25, 0xffff0000, v25
	v_and_b32_e32 v11, 0xffff0000, v11
	v_add3_u32 v28, v26, v28, 0x7fff
	v_add3_u32 v27, v22, v27, 0x7fff
	v_bfe_u32 v24, v19, 16, 1
	v_cmp_o_f32_e32 vcc_lo, v19, v19
	v_bfe_u32 v18, v10, 16, 1
	v_add3_u32 v14, v15, v14, 0x7fff
	v_and_b32_e32 v27, 0xffff0000, v27
	v_add3_u32 v24, v19, v24, 0x7fff
	v_bfe_u32 v23, v9, 16, 1
	v_add3_u32 v18, v10, v18, 0x7fff
	v_bfe_u32 v13, v17, 16, 1
	s_delay_alu instid0(VALU_DEP_4) | instskip(NEXT) | instid1(VALU_DEP_4)
	v_and_b32_e32 v24, 0xffff0000, v24
	v_add3_u32 v23, v9, v23, 0x7fff
	s_delay_alu instid0(VALU_DEP_4) | instskip(NEXT) | instid1(VALU_DEP_4)
	v_and_b32_e32 v18, 0xffff0000, v18
	v_add3_u32 v13, v17, v13, 0x7fff
	s_delay_alu instid0(VALU_DEP_4)
	v_cndmask_b32_e32 v19, 0x7fc00000, v24, vcc_lo
	v_cmp_o_f32_e32 vcc_lo, v21, v21
	v_and_b32_e32 v24, 0xffff0000, v28
	v_and_b32_e32 v14, 0xffff0000, v14
	v_lshrrev_b32_e32 v13, 16, v13
	v_mul_f32_e32 v19, v19, v20
	v_cndmask_b32_e32 v21, 0x7fc00000, v25, vcc_lo
	v_cmp_o_f32_e32 vcc_lo, v22, v22
	v_lshrrev_b32_e32 v20, 16, v23
	s_delay_alu instid0(VALU_DEP_3)
	v_mul_f32_e32 v16, v21, v16
	v_cndmask_b32_e32 v22, 0x7fc00000, v27, vcc_lo
	v_cmp_o_f32_e32 vcc_lo, v26, v26
	v_bfe_u32 v21, v19, 16, 1
	v_cndmask_b32_e32 v24, 0x7fc00000, v24, vcc_lo
	v_and_b32_e32 v12, 0xffff0000, v12
	v_cmp_o_f32_e32 vcc_lo, v10, v10
	s_delay_alu instid0(VALU_DEP_2) | instskip(SKIP_3) | instid1(VALU_DEP_4)
	v_dual_mul_f32 v11, v24, v11 :: v_dual_mul_f32 v12, v22, v12
	v_bfe_u32 v22, v16, 16, 1
	v_cndmask_b32_e32 v10, 0x7fc00000, v18, vcc_lo
	v_add3_u32 v18, v19, v21, 0x7fff
	v_bfe_u32 v24, v11, 16, 1
	v_bfe_u32 v23, v12, 16, 1
	v_cmp_o_f32_e32 vcc_lo, v15, v15
	v_add3_u32 v21, v16, v22, 0x7fff
	v_and_b32_e32 v15, 0xffff0000, v18
	s_delay_alu instid0(VALU_DEP_4)
	v_add3_u32 v22, v12, v23, 0x7fff
	v_add3_u32 v23, v11, v24, 0x7fff
	v_cndmask_b32_e32 v14, 0x7fc00000, v14, vcc_lo
	v_cmp_o_f32_e32 vcc_lo, v19, v19
	v_and_b32_e32 v18, 0xffff0000, v21
	v_and_b32_e32 v22, 0xffff0000, v22
	;; [unrolled: 1-line block ×3, first 2 shown]
	v_cndmask_b32_e32 v15, 0x7fc00000, v15, vcc_lo
	v_cmp_o_f32_e32 vcc_lo, v11, v11
	s_delay_alu instid0(VALU_DEP_2) | instskip(NEXT) | instid1(VALU_DEP_4)
	v_mul_f32_e32 v15, v5, v15
	v_cndmask_b32_e32 v11, 0x7fc00000, v21, vcc_lo
	v_cmp_o_f32_e32 vcc_lo, v16, v16
	s_delay_alu instid0(VALU_DEP_3) | instskip(NEXT) | instid1(VALU_DEP_3)
	v_rndne_f32_e32 v15, v15
	v_dual_mul_f32 v11, v5, v11 :: v_dual_cndmask_b32 v16, 0x7fc00000, v18
	v_cmp_o_f32_e32 vcc_lo, v12, v12
	s_delay_alu instid0(VALU_DEP_2) | instskip(NEXT) | instid1(VALU_DEP_3)
	v_rndne_f32_e32 v11, v11
	v_mul_f32_e32 v16, v5, v16
	v_cndmask_b32_e32 v12, 0x7fc00000, v22, vcc_lo
	v_cmp_o_f32_e32 vcc_lo, v17, v17
	s_delay_alu instid0(VALU_DEP_3) | instskip(NEXT) | instid1(VALU_DEP_3)
	v_rndne_f32_e32 v16, v16
	v_dual_mul_f32 v12, v5, v12 :: v_dual_cndmask_b32 v13, 0x7fc0, v13
	v_cmp_o_f32_e32 vcc_lo, v9, v9
	s_delay_alu instid0(VALU_DEP_2) | instskip(NEXT) | instid1(VALU_DEP_3)
	v_rndne_f32_e32 v12, v12
	v_or_b32_e32 v13, v13, v14
	v_cndmask_b32_e32 v9, 0x7fc0, v20, vcc_lo
	v_cmp_nlt_f32_e32 vcc_lo, 0x42fe0000, v11
	s_delay_alu instid0(VALU_DEP_2)
	v_or3_b32 v10, 0, v9, v10
	v_cndmask_b32_e32 v17, 0x42fe0000, v11, vcc_lo
	v_cmp_nlt_f32_e32 vcc_lo, 0x42fe0000, v15
	v_or3_b32 v9, v13, 0, 0
	v_cndmask_b32_e32 v18, 0x42fe0000, v15, vcc_lo
	v_cmp_nlt_f32_e32 vcc_lo, 0x42fe0000, v16
	global_store_b64 v[7:8], v[9:10], off
	v_cndmask_b32_e32 v19, 0x42fe0000, v16, vcc_lo
	v_cmp_ngt_f32_e32 vcc_lo, 0xc3000000, v11
	v_cndmask_b32_e32 v11, 0xc3000000, v17, vcc_lo
	v_cmp_nlt_f32_e32 vcc_lo, 0x42fe0000, v12
	s_delay_alu instid0(VALU_DEP_2) | instskip(SKIP_2) | instid1(VALU_DEP_3)
	v_cvt_i32_f32_e32 v11, v11
	v_cndmask_b32_e32 v17, 0x42fe0000, v12, vcc_lo
	v_cmp_ngt_f32_e32 vcc_lo, 0xc3000000, v16
	v_and_b32_e32 v11, 0xff, v11
	v_cndmask_b32_e32 v16, 0xc3000000, v19, vcc_lo
	v_cmp_ngt_f32_e32 vcc_lo, 0xc3000000, v15
	s_delay_alu instid0(VALU_DEP_3) | instskip(NEXT) | instid1(VALU_DEP_3)
	v_lshlrev_b32_e32 v11, 16, v11
	v_cvt_i32_f32_e32 v16, v16
	v_cndmask_b32_e32 v15, 0xc3000000, v18, vcc_lo
	v_cmp_ngt_f32_e32 vcc_lo, 0xc3000000, v12
	s_delay_alu instid0(VALU_DEP_2) | instskip(SKIP_3) | instid1(VALU_DEP_4)
	v_cvt_i32_f32_e32 v14, v15
	v_cndmask_b32_e32 v12, 0xc3000000, v17, vcc_lo
	v_and_b32_e32 v15, 0xff, v16
	v_add_co_u32 v3, vcc_lo, s0, v3
	v_and_b32_e32 v13, 0xff, v14
	s_delay_alu instid0(VALU_DEP_4) | instskip(NEXT) | instid1(VALU_DEP_4)
	v_cvt_i32_f32_e32 v12, v12
	v_lshlrev_b32_e32 v14, 8, v15
	v_add_co_ci_u32_e32 v4, vcc_lo, s1, v4, vcc_lo
	s_delay_alu instid0(VALU_DEP_3) | instskip(NEXT) | instid1(VALU_DEP_1)
	v_lshl_or_b32 v11, v12, 24, v11
	v_or3_b32 v11, v11, v14, v13
	global_store_b32 v[3:4], v11, off
	v_cmpx_gt_u32_e64 s23, v0
	s_cbranch_execz .LBB14_68
; %bb.74:                               ;   in Loop: Header=BB14_71 Depth=1
	v_lshlrev_b64 v[3:4], 3, v[0:1]
	v_lshlrev_b64 v[13:14], 2, v[0:1]
	v_add3_u32 v0, s5, s28, v2
	s_delay_alu instid0(VALU_DEP_3) | instskip(NEXT) | instid1(VALU_DEP_4)
	v_add_co_u32 v7, vcc_lo, s9, v3
	v_add_co_ci_u32_e32 v8, vcc_lo, s16, v4, vcc_lo
	v_add_co_u32 v9, vcc_lo, s18, v3
	v_add_co_ci_u32_e32 v10, vcc_lo, s19, v4, vcc_lo
	;; [unrolled: 2-line block ×3, first 2 shown]
	global_load_b64 v[7:8], v[7:8], off
	global_load_b64 v[9:10], v[9:10], off
	;; [unrolled: 1-line block ×3, first 2 shown]
	s_waitcnt vmcnt(2)
	v_and_b32_e32 v2, 0xffff0000, v7
	v_lshlrev_b32_e32 v16, 16, v7
	v_alignbit_b32 v7, v8, v7, 16
	s_waitcnt vmcnt(0)
	v_and_b32_e32 v17, 0xffff0000, v11
	v_lshlrev_b32_e32 v18, 16, v11
	v_alignbit_b32 v11, v12, v11, 16
	v_and_b32_e32 v15, 0xffff0000, v9
	s_delay_alu instid0(VALU_DEP_3) | instskip(NEXT) | instid1(VALU_DEP_3)
	v_dual_add_f32 v16, v16, v18 :: v_dual_and_b32 v7, 0xffff0000, v7
	v_and_b32_e32 v11, 0xffff0000, v11
	v_and_b32_e32 v8, 0xffff0000, v8
	v_lshlrev_b32_e32 v19, 16, v9
	v_alignbit_b32 v9, v10, v9, 16
	s_delay_alu instid0(VALU_DEP_4) | instskip(SKIP_2) | instid1(VALU_DEP_3)
	v_dual_mul_f32 v18, v6, v16 :: v_dual_add_f32 v7, v7, v11
	v_and_b32_e32 v12, 0xffff0000, v12
	v_bfe_u32 v11, v16, 16, 1
	v_bfe_u32 v23, v18, 16, 1
	s_delay_alu instid0(VALU_DEP_3) | instskip(SKIP_2) | instid1(VALU_DEP_4)
	v_dual_mul_f32 v25, v6, v7 :: v_dual_add_f32 v8, v8, v12
	v_cmp_o_f32_e32 vcc_lo, v18, v18
	v_bfe_u32 v22, v7, 16, 1
	v_add3_u32 v23, v18, v23, 0x7fff
	s_delay_alu instid0(VALU_DEP_4)
	v_bfe_u32 v27, v25, 16, 1
	v_mul_f32_e32 v21, v6, v8
	v_add_f32_e32 v2, v2, v17
	v_bfe_u32 v17, v8, 16, 1
	v_and_b32_e32 v23, 0xffff0000, v23
	v_add3_u32 v27, v25, v27, 0x7fff
	v_bfe_u32 v26, v21, 16, 1
	v_mul_f32_e32 v20, v6, v2
	v_bfe_u32 v12, v2, 16, 1
	v_cndmask_b32_e32 v18, 0x7fc00000, v23, vcc_lo
	v_and_b32_e32 v23, 0xffff0000, v27
	v_add3_u32 v26, v21, v26, 0x7fff
	v_bfe_u32 v24, v20, 16, 1
	v_cmp_o_f32_e32 vcc_lo, v20, v20
	v_dual_mul_f32 v18, v18, v19 :: v_dual_and_b32 v9, 0xffff0000, v9
	s_delay_alu instid0(VALU_DEP_4) | instskip(NEXT) | instid1(VALU_DEP_4)
	v_and_b32_e32 v26, 0xffff0000, v26
	v_add3_u32 v24, v20, v24, 0x7fff
	v_add3_u32 v17, v8, v17, 0x7fff
	;; [unrolled: 1-line block ×5, first 2 shown]
	v_and_b32_e32 v24, 0xffff0000, v24
	v_and_b32_e32 v17, 0xffff0000, v17
	;; [unrolled: 1-line block ×3, first 2 shown]
	v_lshrrev_b32_e32 v19, 16, v22
	v_lshrrev_b32_e32 v11, 16, v11
	v_cndmask_b32_e32 v20, 0x7fc00000, v24, vcc_lo
	v_cmp_o_f32_e32 vcc_lo, v21, v21
	s_delay_alu instid0(VALU_DEP_2) | instskip(SKIP_3) | instid1(VALU_DEP_3)
	v_dual_mul_f32 v15, v20, v15 :: v_dual_and_b32 v10, 0xffff0000, v10
	v_cndmask_b32_e32 v21, 0x7fc00000, v26, vcc_lo
	v_cmp_o_f32_e32 vcc_lo, v25, v25
	v_bfe_u32 v20, v18, 16, 1
	v_dual_mul_f32 v10, v21, v10 :: v_dual_cndmask_b32 v23, 0x7fc00000, v23
	v_cmp_o_f32_e32 vcc_lo, v8, v8
	v_bfe_u32 v21, v15, 16, 1
	s_delay_alu instid0(VALU_DEP_3) | instskip(NEXT) | instid1(VALU_DEP_4)
	v_bfe_u32 v22, v10, 16, 1
	v_mul_f32_e32 v9, v23, v9
	v_cndmask_b32_e32 v8, 0x7fc00000, v17, vcc_lo
	v_add3_u32 v17, v18, v20, 0x7fff
	v_cmp_o_f32_e32 vcc_lo, v2, v2
	v_add3_u32 v20, v15, v21, 0x7fff
	v_bfe_u32 v23, v9, 16, 1
	v_add3_u32 v21, v10, v22, 0x7fff
	v_cndmask_b32_e32 v2, 0x7fc00000, v12, vcc_lo
	v_and_b32_e32 v12, 0xffff0000, v17
	s_delay_alu instid0(VALU_DEP_4) | instskip(SKIP_3) | instid1(VALU_DEP_4)
	v_add3_u32 v22, v9, v23, 0x7fff
	v_cmp_o_f32_e32 vcc_lo, v18, v18
	v_and_b32_e32 v17, 0xffff0000, v20
	v_and_b32_e32 v21, 0xffff0000, v21
	;; [unrolled: 1-line block ×3, first 2 shown]
	v_cndmask_b32_e32 v12, 0x7fc00000, v12, vcc_lo
	v_cmp_o_f32_e32 vcc_lo, v9, v9
	s_delay_alu instid0(VALU_DEP_2) | instskip(NEXT) | instid1(VALU_DEP_4)
	v_mul_f32_e32 v12, v5, v12
	v_cndmask_b32_e32 v9, 0x7fc00000, v20, vcc_lo
	v_cmp_o_f32_e32 vcc_lo, v15, v15
	s_delay_alu instid0(VALU_DEP_3) | instskip(NEXT) | instid1(VALU_DEP_3)
	v_rndne_f32_e32 v12, v12
	v_mul_f32_e32 v9, v5, v9
	v_cndmask_b32_e32 v15, 0x7fc00000, v17, vcc_lo
	v_cmp_o_f32_e32 vcc_lo, v10, v10
	s_delay_alu instid0(VALU_DEP_3) | instskip(NEXT) | instid1(VALU_DEP_3)
	v_rndne_f32_e32 v9, v9
	v_dual_mul_f32 v15, v5, v15 :: v_dual_cndmask_b32 v10, 0x7fc00000, v21
	v_cmp_o_f32_e32 vcc_lo, v16, v16
	s_delay_alu instid0(VALU_DEP_2) | instskip(NEXT) | instid1(VALU_DEP_3)
	v_rndne_f32_e32 v15, v15
	v_dual_mul_f32 v10, v5, v10 :: v_dual_cndmask_b32 v11, 0x7fc0, v11
	v_cmp_o_f32_e32 vcc_lo, v7, v7
	s_delay_alu instid0(VALU_DEP_2) | instskip(NEXT) | instid1(VALU_DEP_3)
	v_rndne_f32_e32 v10, v10
	v_or_b32_e32 v2, v11, v2
	v_cndmask_b32_e32 v7, 0x7fc0, v19, vcc_lo
	v_cmp_nlt_f32_e32 vcc_lo, 0x42fe0000, v9
	s_delay_alu instid0(VALU_DEP_2)
	v_or3_b32 v8, 0, v7, v8
	v_cndmask_b32_e32 v16, 0x42fe0000, v9, vcc_lo
	v_cmp_nlt_f32_e32 vcc_lo, 0x42fe0000, v12
	v_or3_b32 v7, v2, 0, 0
	v_cndmask_b32_e32 v17, 0x42fe0000, v12, vcc_lo
	v_cmp_nlt_f32_e32 vcc_lo, 0x42fe0000, v15
	global_store_b64 v[3:4], v[7:8], off
	v_cndmask_b32_e32 v18, 0x42fe0000, v15, vcc_lo
	v_cmp_ngt_f32_e32 vcc_lo, 0xc3000000, v9
	v_cndmask_b32_e32 v9, 0xc3000000, v16, vcc_lo
	v_cmp_nlt_f32_e32 vcc_lo, 0x42fe0000, v10
	s_delay_alu instid0(VALU_DEP_2) | instskip(SKIP_2) | instid1(VALU_DEP_3)
	v_cvt_i32_f32_e32 v9, v9
	v_cndmask_b32_e32 v16, 0x42fe0000, v10, vcc_lo
	v_cmp_ngt_f32_e32 vcc_lo, 0xc3000000, v15
	v_and_b32_e32 v9, 0xff, v9
	v_cndmask_b32_e32 v15, 0xc3000000, v18, vcc_lo
	v_cmp_ngt_f32_e32 vcc_lo, 0xc3000000, v12
	s_delay_alu instid0(VALU_DEP_3) | instskip(NEXT) | instid1(VALU_DEP_3)
	v_lshlrev_b32_e32 v9, 16, v9
	v_cvt_i32_f32_e32 v15, v15
	v_cndmask_b32_e32 v12, 0xc3000000, v17, vcc_lo
	v_cmp_ngt_f32_e32 vcc_lo, 0xc3000000, v10
	s_delay_alu instid0(VALU_DEP_2) | instskip(SKIP_2) | instid1(VALU_DEP_3)
	v_cvt_i32_f32_e32 v11, v12
	v_cndmask_b32_e32 v10, 0xc3000000, v16, vcc_lo
	v_and_b32_e32 v12, 0xff, v15
	v_and_b32_e32 v2, 0xff, v11
	s_delay_alu instid0(VALU_DEP_3) | instskip(NEXT) | instid1(VALU_DEP_3)
	v_cvt_i32_f32_e32 v10, v10
	v_lshlrev_b32_e32 v11, 8, v12
	s_delay_alu instid0(VALU_DEP_2) | instskip(SKIP_3) | instid1(VALU_DEP_4)
	v_lshl_or_b32 v12, v10, 24, v9
	v_add_co_u32 v9, vcc_lo, s0, v13
	v_add_co_ci_u32_e32 v10, vcc_lo, s1, v14, vcc_lo
	v_cmp_le_u32_e32 vcc_lo, s23, v0
	v_or3_b32 v2, v12, v11, v2
	s_or_not1_b32 s11, vcc_lo, exec_lo
	global_store_b32 v[9:10], v2, off
	s_branch .LBB14_68
.LBB14_75:
	s_nop 0
	s_sendmsg sendmsg(MSG_DEALLOC_VGPRS)
	s_endpgm
	.section	.rodata,"a",@progbits
	.p2align	6, 0x0
	.amdhsa_kernel _ZN4vllm39rms_norm_dynamic_per_token_quant_kernelIN3c108BFloat16EaLb1EEEvPT0_PfPKT_S8_PKffiiPS6_
		.amdhsa_group_segment_fixed_size 528
		.amdhsa_private_segment_fixed_size 0
		.amdhsa_kernarg_size 320
		.amdhsa_user_sgpr_count 15
		.amdhsa_user_sgpr_dispatch_ptr 0
		.amdhsa_user_sgpr_queue_ptr 0
		.amdhsa_user_sgpr_kernarg_segment_ptr 1
		.amdhsa_user_sgpr_dispatch_id 0
		.amdhsa_user_sgpr_private_segment_size 0
		.amdhsa_wavefront_size32 1
		.amdhsa_uses_dynamic_stack 0
		.amdhsa_enable_private_segment 0
		.amdhsa_system_sgpr_workgroup_id_x 1
		.amdhsa_system_sgpr_workgroup_id_y 0
		.amdhsa_system_sgpr_workgroup_id_z 0
		.amdhsa_system_sgpr_workgroup_info 0
		.amdhsa_system_vgpr_workitem_id 0
		.amdhsa_next_free_vgpr 29
		.amdhsa_next_free_sgpr 38
		.amdhsa_reserve_vcc 1
		.amdhsa_float_round_mode_32 0
		.amdhsa_float_round_mode_16_64 0
		.amdhsa_float_denorm_mode_32 3
		.amdhsa_float_denorm_mode_16_64 3
		.amdhsa_dx10_clamp 1
		.amdhsa_ieee_mode 1
		.amdhsa_fp16_overflow 0
		.amdhsa_workgroup_processor_mode 1
		.amdhsa_memory_ordered 1
		.amdhsa_forward_progress 0
		.amdhsa_shared_vgpr_count 0
		.amdhsa_exception_fp_ieee_invalid_op 0
		.amdhsa_exception_fp_denorm_src 0
		.amdhsa_exception_fp_ieee_div_zero 0
		.amdhsa_exception_fp_ieee_overflow 0
		.amdhsa_exception_fp_ieee_underflow 0
		.amdhsa_exception_fp_ieee_inexact 0
		.amdhsa_exception_int_div_zero 0
	.end_amdhsa_kernel
	.section	.text._ZN4vllm39rms_norm_dynamic_per_token_quant_kernelIN3c108BFloat16EaLb1EEEvPT0_PfPKT_S8_PKffiiPS6_,"axG",@progbits,_ZN4vllm39rms_norm_dynamic_per_token_quant_kernelIN3c108BFloat16EaLb1EEEvPT0_PfPKT_S8_PKffiiPS6_,comdat
.Lfunc_end14:
	.size	_ZN4vllm39rms_norm_dynamic_per_token_quant_kernelIN3c108BFloat16EaLb1EEEvPT0_PfPKT_S8_PKffiiPS6_, .Lfunc_end14-_ZN4vllm39rms_norm_dynamic_per_token_quant_kernelIN3c108BFloat16EaLb1EEEvPT0_PfPKT_S8_PKffiiPS6_
                                        ; -- End function
	.section	.AMDGPU.csdata,"",@progbits
; Kernel info:
; codeLenInByte = 13112
; NumSgprs: 40
; NumVgprs: 29
; ScratchSize: 0
; MemoryBound: 0
; FloatMode: 240
; IeeeMode: 1
; LDSByteSize: 528 bytes/workgroup (compile time only)
; SGPRBlocks: 4
; VGPRBlocks: 3
; NumSGPRsForWavesPerEU: 40
; NumVGPRsForWavesPerEU: 29
; Occupancy: 16
; WaveLimiterHint : 0
; COMPUTE_PGM_RSRC2:SCRATCH_EN: 0
; COMPUTE_PGM_RSRC2:USER_SGPR: 15
; COMPUTE_PGM_RSRC2:TRAP_HANDLER: 0
; COMPUTE_PGM_RSRC2:TGID_X_EN: 1
; COMPUTE_PGM_RSRC2:TGID_Y_EN: 0
; COMPUTE_PGM_RSRC2:TGID_Z_EN: 0
; COMPUTE_PGM_RSRC2:TIDIG_COMP_CNT: 0
	.section	.text._ZN4vllm39rms_norm_dynamic_per_token_quant_kernelIN3c108BFloat16ENS1_13Float8_e4m3fnELb0EEEvPT0_PfPKT_S9_PKffiiPS7_,"axG",@progbits,_ZN4vllm39rms_norm_dynamic_per_token_quant_kernelIN3c108BFloat16ENS1_13Float8_e4m3fnELb0EEEvPT0_PfPKT_S9_PKffiiPS7_,comdat
	.protected	_ZN4vllm39rms_norm_dynamic_per_token_quant_kernelIN3c108BFloat16ENS1_13Float8_e4m3fnELb0EEEvPT0_PfPKT_S9_PKffiiPS7_ ; -- Begin function _ZN4vllm39rms_norm_dynamic_per_token_quant_kernelIN3c108BFloat16ENS1_13Float8_e4m3fnELb0EEEvPT0_PfPKT_S9_PKffiiPS7_
	.globl	_ZN4vllm39rms_norm_dynamic_per_token_quant_kernelIN3c108BFloat16ENS1_13Float8_e4m3fnELb0EEEvPT0_PfPKT_S9_PKffiiPS7_
	.p2align	8
	.type	_ZN4vllm39rms_norm_dynamic_per_token_quant_kernelIN3c108BFloat16ENS1_13Float8_e4m3fnELb0EEEvPT0_PfPKT_S9_PKffiiPS7_,@function
_ZN4vllm39rms_norm_dynamic_per_token_quant_kernelIN3c108BFloat16ENS1_13Float8_e4m3fnELb0EEEvPT0_PfPKT_S9_PKffiiPS7_: ; @_ZN4vllm39rms_norm_dynamic_per_token_quant_kernelIN3c108BFloat16ENS1_13Float8_e4m3fnELb0EEEvPT0_PfPKT_S9_PKffiiPS7_
; %bb.0:
	s_mov_b32 s24, s15
	s_clause 0x2
	s_load_b128 s[20:23], s[0:1], 0x28
	s_load_b64 s[26:27], s[0:1], 0x20
	s_load_b256 s[12:19], s[0:1], 0x0
	s_waitcnt lgkmcnt(0)
	s_or_b32 s2, s22, s21
	s_delay_alu instid0(SALU_CYCLE_1) | instskip(NEXT) | instid1(SALU_CYCLE_1)
	s_and_b32 s2, s2, 3
	s_cmp_lg_u32 s2, 0
	s_cbranch_scc0 .LBB15_37
; %bb.1:
	v_cmp_gt_u32_e64 s2, s21, v0
	v_cmp_le_u32_e64 s3, s21, v0
                                        ; implicit-def: $sgpr7
                                        ; implicit-def: $sgpr4_sgpr5
	s_delay_alu instid0(VALU_DEP_1) | instskip(NEXT) | instid1(SALU_CYCLE_1)
	s_and_saveexec_b32 s6, s3
	s_xor_b32 s6, exec_lo, s6
; %bb.2:
	s_add_u32 s4, s0, 64
	s_addc_u32 s5, s1, 0
	s_mov_b32 s7, 0
; %bb.3:
	s_or_saveexec_b32 s6, s6
	v_dual_mov_b32 v1, s4 :: v_dual_mov_b32 v4, s24
	v_dual_mov_b32 v3, s7 :: v_dual_mov_b32 v2, s5
	s_xor_b32 exec_lo, exec_lo, s6
	s_cbranch_execz .LBB15_7
; %bb.4:
	s_load_b32 s9, s[0:1], 0x4c
	s_ashr_i32 s5, s22, 31
	s_mul_hi_u32 s7, s22, s24
	s_mul_i32 s5, s5, s24
	s_mul_i32 s4, s22, s24
	s_add_i32 s5, s7, s5
	v_dual_mov_b32 v2, 0 :: v_dual_mov_b32 v3, 0
	s_lshl_b64 s[4:5], s[4:5], 1
	v_mov_b32_e32 v1, v0
	s_add_u32 s7, s16, s4
	s_addc_u32 s8, s17, s5
	s_add_u32 s4, s0, 64
	s_addc_u32 s5, s1, 0
	s_waitcnt lgkmcnt(0)
	s_and_b32 s10, s9, 0xffff
	s_mov_b32 s9, 0
.LBB15_5:                               ; =>This Inner Loop Header: Depth=1
	v_lshlrev_b64 v[4:5], 1, v[1:2]
	v_add_nc_u32_e32 v1, s10, v1
	s_delay_alu instid0(VALU_DEP_2) | instskip(NEXT) | instid1(VALU_DEP_3)
	v_add_co_u32 v4, vcc_lo, s7, v4
	v_add_co_ci_u32_e32 v5, vcc_lo, s8, v5, vcc_lo
	s_delay_alu instid0(VALU_DEP_3) | instskip(SKIP_4) | instid1(VALU_DEP_1)
	v_cmp_le_u32_e32 vcc_lo, s21, v1
	global_load_u16 v4, v[4:5], off
	s_or_b32 s9, vcc_lo, s9
	s_waitcnt vmcnt(0)
	v_lshlrev_b32_e32 v4, 16, v4
	v_fmac_f32_e32 v3, v4, v4
	s_and_not1_b32 exec_lo, exec_lo, s9
	s_cbranch_execnz .LBB15_5
; %bb.6:
	s_or_b32 exec_lo, exec_lo, s9
	v_dual_mov_b32 v1, s4 :: v_dual_mov_b32 v2, s5
	v_mov_b32_e32 v4, s24
.LBB15_7:
	s_or_b32 exec_lo, exec_lo, s6
	global_load_b32 v5, v[1:2], off
	v_and_b32_e32 v14, 0x3e0, v0
	s_waitcnt vmcnt(0)
	v_cmp_lt_u32_e32 vcc_lo, v4, v5
	v_cndmask_b32_e64 v4, 18, 12, vcc_lo
	s_delay_alu instid0(VALU_DEP_1) | instskip(SKIP_3) | instid1(VALU_DEP_1)
	v_add_co_u32 v1, vcc_lo, v1, v4
	v_add_co_ci_u32_e32 v2, vcc_lo, 0, v2, vcc_lo
	global_load_u16 v1, v[1:2], off
	v_mbcnt_lo_u32_b32 v2, -1, 0
	v_cmp_ne_u32_e32 vcc_lo, 31, v2
	v_add_nc_u32_e32 v5, 1, v2
	v_cmp_eq_u32_e64 s5, 0, v2
	v_add_co_ci_u32_e32 v4, vcc_lo, 0, v2, vcc_lo
	v_cmp_gt_u32_e32 vcc_lo, 30, v2
	s_delay_alu instid0(VALU_DEP_2) | instskip(SKIP_4) | instid1(VALU_DEP_1)
	v_lshlrev_b32_e32 v4, 2, v4
	v_cndmask_b32_e64 v7, 0, 1, vcc_lo
	ds_bpermute_b32 v6, v4, v3
	s_waitcnt lgkmcnt(0)
	v_dual_add_f32 v8, v3, v6 :: v_dual_lshlrev_b32 v7, 1, v7
	v_add_lshl_u32 v6, v7, v2, 2
	s_waitcnt vmcnt(0)
	v_sub_nc_u32_e64 v15, v1, v14 clamp
	s_delay_alu instid0(VALU_DEP_1) | instskip(SKIP_3) | instid1(VALU_DEP_1)
	v_cmp_lt_u32_e32 vcc_lo, v5, v15
	v_cndmask_b32_e32 v3, v3, v8, vcc_lo
	v_cmp_gt_u32_e32 vcc_lo, 28, v2
	v_cndmask_b32_e64 v8, 0, 1, vcc_lo
	v_lshlrev_b32_e32 v9, 2, v8
	v_add_nc_u32_e32 v8, 2, v2
	ds_bpermute_b32 v7, v6, v3
	v_cmp_lt_u32_e32 vcc_lo, v8, v15
	s_waitcnt lgkmcnt(0)
	v_add_f32_e32 v10, v3, v7
	v_add_lshl_u32 v7, v9, v2, 2
	s_delay_alu instid0(VALU_DEP_2) | instskip(SKIP_4) | instid1(VALU_DEP_1)
	v_cndmask_b32_e32 v3, v3, v10, vcc_lo
	v_cmp_gt_u32_e32 vcc_lo, 24, v2
	ds_bpermute_b32 v9, v7, v3
	v_cndmask_b32_e64 v10, 0, 1, vcc_lo
	s_waitcnt lgkmcnt(0)
	v_dual_add_f32 v12, v3, v9 :: v_dual_lshlrev_b32 v11, 3, v10
	v_add_nc_u32_e32 v10, 4, v2
	s_delay_alu instid0(VALU_DEP_2) | instskip(NEXT) | instid1(VALU_DEP_2)
	v_add_lshl_u32 v9, v11, v2, 2
	v_cmp_lt_u32_e32 vcc_lo, v10, v15
	s_delay_alu instid0(VALU_DEP_4) | instskip(SKIP_4) | instid1(VALU_DEP_1)
	v_cndmask_b32_e32 v3, v3, v12, vcc_lo
	v_cmp_gt_u32_e32 vcc_lo, 16, v2
	ds_bpermute_b32 v11, v9, v3
	v_cndmask_b32_e64 v12, 0, 1, vcc_lo
	s_waitcnt lgkmcnt(0)
	v_dual_add_f32 v16, v3, v11 :: v_dual_lshlrev_b32 v13, 4, v12
	v_add_nc_u32_e32 v12, 8, v2
	s_delay_alu instid0(VALU_DEP_2) | instskip(NEXT) | instid1(VALU_DEP_2)
	v_add_lshl_u32 v11, v13, v2, 2
	v_cmp_lt_u32_e32 vcc_lo, v12, v15
	s_delay_alu instid0(VALU_DEP_4) | instskip(SKIP_3) | instid1(VALU_DEP_1)
	v_cndmask_b32_e32 v3, v3, v16, vcc_lo
	ds_bpermute_b32 v16, v11, v3
	s_waitcnt lgkmcnt(0)
	v_dual_add_f32 v16, v3, v16 :: v_dual_add_nc_u32 v13, 16, v2
	v_cmp_lt_u32_e32 vcc_lo, v13, v15
	s_delay_alu instid0(VALU_DEP_2)
	v_cndmask_b32_e32 v3, v3, v16, vcc_lo
	s_and_saveexec_b32 s4, s5
	s_cbranch_execz .LBB15_9
; %bb.8:
	v_lshrrev_b32_e32 v15, 3, v0
	s_delay_alu instid0(VALU_DEP_1)
	v_and_b32_e32 v15, 0x7c, v15
	ds_store_b32 v15, v3 offset:256
.LBB15_9:
	s_or_b32 exec_lo, exec_lo, s4
	v_cmp_gt_u32_e64 s6, 32, v0
	v_lshlrev_b32_e32 v15, 2, v2
	s_waitcnt lgkmcnt(0)
	s_barrier
	buffer_gl0_inv
	s_and_saveexec_b32 s4, s6
	s_cbranch_execz .LBB15_11
; %bb.10:
	ds_load_b32 v2, v15 offset:256
	s_waitcnt lgkmcnt(0)
	ds_bpermute_b32 v3, v4, v2
	s_waitcnt lgkmcnt(0)
	v_add_f32_e32 v3, v2, v3
	v_add_nc_u32_e32 v1, 31, v1
	s_delay_alu instid0(VALU_DEP_1) | instskip(NEXT) | instid1(VALU_DEP_1)
	v_lshrrev_b32_e32 v1, 5, v1
	v_cmp_lt_u32_e32 vcc_lo, v5, v1
	s_delay_alu instid0(VALU_DEP_4) | instskip(SKIP_4) | instid1(VALU_DEP_1)
	v_cndmask_b32_e32 v2, v2, v3, vcc_lo
	v_cmp_lt_u32_e32 vcc_lo, v8, v1
	ds_bpermute_b32 v3, v6, v2
	s_waitcnt lgkmcnt(0)
	v_add_f32_e32 v3, v2, v3
	v_cndmask_b32_e32 v2, v2, v3, vcc_lo
	v_cmp_lt_u32_e32 vcc_lo, v10, v1
	ds_bpermute_b32 v3, v7, v2
	s_waitcnt lgkmcnt(0)
	v_add_f32_e32 v3, v2, v3
	s_delay_alu instid0(VALU_DEP_1) | instskip(SKIP_4) | instid1(VALU_DEP_1)
	v_cndmask_b32_e32 v2, v2, v3, vcc_lo
	v_cmp_lt_u32_e32 vcc_lo, v12, v1
	ds_bpermute_b32 v3, v9, v2
	s_waitcnt lgkmcnt(0)
	v_add_f32_e32 v3, v2, v3
	v_cndmask_b32_e32 v2, v2, v3, vcc_lo
	v_cmp_lt_u32_e32 vcc_lo, v13, v1
	ds_bpermute_b32 v3, v11, v2
	s_waitcnt lgkmcnt(0)
	v_add_f32_e32 v3, v2, v3
	s_delay_alu instid0(VALU_DEP_1)
	v_cndmask_b32_e32 v3, v2, v3, vcc_lo
.LBB15_11:
	s_or_b32 exec_lo, exec_lo, s4
	v_cmp_eq_u32_e64 s4, 0, v0
	s_mov_b32 s25, 0
	s_delay_alu instid0(VALU_DEP_1)
	s_and_saveexec_b32 s7, s4
	s_cbranch_execz .LBB15_13
; %bb.12:
	v_cvt_f32_i32_e32 v1, s21
	s_delay_alu instid0(VALU_DEP_1) | instskip(SKIP_1) | instid1(VALU_DEP_2)
	v_div_scale_f32 v2, null, v1, v1, v3
	v_div_scale_f32 v18, vcc_lo, v3, v1, v3
	v_rcp_f32_e32 v16, v2
	s_waitcnt_depctr 0xfff
	v_fma_f32 v17, -v2, v16, 1.0
	s_delay_alu instid0(VALU_DEP_1) | instskip(NEXT) | instid1(VALU_DEP_1)
	v_fmac_f32_e32 v16, v17, v16
	v_mul_f32_e32 v17, v18, v16
	s_delay_alu instid0(VALU_DEP_1) | instskip(NEXT) | instid1(VALU_DEP_1)
	v_fma_f32 v19, -v2, v17, v18
	v_fmac_f32_e32 v17, v19, v16
	s_delay_alu instid0(VALU_DEP_1) | instskip(NEXT) | instid1(VALU_DEP_1)
	v_fma_f32 v2, -v2, v17, v18
	v_div_fmas_f32 v2, v2, v16, v17
	s_delay_alu instid0(VALU_DEP_1) | instskip(NEXT) | instid1(VALU_DEP_1)
	v_div_fixup_f32 v1, v2, v1, v3
	v_add_f32_e32 v1, s20, v1
	s_delay_alu instid0(VALU_DEP_1) | instskip(SKIP_1) | instid1(VALU_DEP_2)
	v_mul_f32_e32 v2, 0x4b800000, v1
	v_cmp_gt_f32_e32 vcc_lo, 0x800000, v1
	v_cndmask_b32_e32 v1, v1, v2, vcc_lo
	s_delay_alu instid0(VALU_DEP_1) | instskip(SKIP_2) | instid1(VALU_DEP_1)
	v_rsq_f32_e32 v1, v1
	s_waitcnt_depctr 0xfff
	v_mul_f32_e32 v2, 0x45800000, v1
	v_dual_cndmask_b32 v1, v1, v2 :: v_dual_mov_b32 v2, 0
	ds_store_b32 v2, v1 offset:520
.LBB15_13:
	s_or_b32 exec_lo, exec_lo, s7
	v_mov_b32_e32 v1, 0
	s_waitcnt lgkmcnt(0)
	s_barrier
	buffer_gl0_inv
                                        ; implicit-def: $sgpr7
                                        ; implicit-def: $sgpr8_sgpr9
	ds_load_b32 v3, v1 offset:520
	s_waitcnt lgkmcnt(0)
	s_barrier
	buffer_gl0_inv
	s_and_saveexec_b32 s10, s3
	s_delay_alu instid0(SALU_CYCLE_1)
	s_xor_b32 s3, exec_lo, s10
; %bb.14:
	s_add_u32 s8, s0, 64
	s_addc_u32 s9, s1, 0
	s_mov_b32 s7, 0
; %bb.15:
	s_or_saveexec_b32 s3, s3
	v_dual_mov_b32 v16, s7 :: v_dual_mov_b32 v1, s8
	v_mov_b32_e32 v2, s9
	s_mul_hi_u32 s11, s22, s24
	s_mul_i32 s28, s22, s24
	s_xor_b32 exec_lo, exec_lo, s3
	s_cbranch_execz .LBB15_19
; %bb.16:
	s_load_b32 s23, s[0:1], 0x4c
	s_ashr_i32 s7, s22, 31
	v_dual_mov_b32 v2, 0 :: v_dual_mov_b32 v1, v0
	s_mul_i32 s7, s7, s24
	v_mov_b32_e32 v16, 0
	s_add_i32 s29, s11, s7
	s_delay_alu instid0(SALU_CYCLE_1) | instskip(NEXT) | instid1(SALU_CYCLE_1)
	s_lshl_b64 s[8:9], s[28:29], 1
	s_add_u32 s7, s16, s8
	s_addc_u32 s10, s17, s9
	s_add_u32 s8, s0, 64
	s_addc_u32 s9, s1, 0
	s_waitcnt lgkmcnt(0)
	s_and_b32 s29, s23, 0xffff
	s_mov_b32 s23, 0
	s_set_inst_prefetch_distance 0x1
	.p2align	6
.LBB15_17:                              ; =>This Inner Loop Header: Depth=1
	v_lshlrev_b64 v[17:18], 1, v[1:2]
	s_delay_alu instid0(VALU_DEP_2) | instskip(NEXT) | instid1(VALU_DEP_2)
	v_dual_max_f32 v16, v16, v16 :: v_dual_add_nc_u32 v1, s29, v1
	v_add_co_u32 v19, vcc_lo, s7, v17
	s_delay_alu instid0(VALU_DEP_3)
	v_add_co_ci_u32_e32 v20, vcc_lo, s10, v18, vcc_lo
	v_add_co_u32 v17, vcc_lo, s18, v17
	v_add_co_ci_u32_e32 v18, vcc_lo, s19, v18, vcc_lo
	global_load_u16 v19, v[19:20], off
	global_load_u16 v17, v[17:18], off
	s_waitcnt vmcnt(1)
	v_lshlrev_b32_e32 v18, 16, v19
	s_delay_alu instid0(VALU_DEP_1) | instskip(NEXT) | instid1(VALU_DEP_1)
	v_mul_f32_e32 v18, v3, v18
	v_bfe_u32 v19, v18, 16, 1
	s_delay_alu instid0(VALU_DEP_1) | instskip(NEXT) | instid1(VALU_DEP_1)
	v_add3_u32 v19, v18, v19, 0x7fff
	v_and_b32_e32 v19, 0xffff0000, v19
	v_cmp_o_f32_e32 vcc_lo, v18, v18
	s_waitcnt vmcnt(0)
	s_delay_alu instid0(VALU_DEP_2) | instskip(NEXT) | instid1(VALU_DEP_1)
	v_dual_cndmask_b32 v18, 0x7fc00000, v19 :: v_dual_lshlrev_b32 v17, 16, v17
	v_mul_f32_e32 v17, v18, v17
	s_delay_alu instid0(VALU_DEP_1) | instskip(NEXT) | instid1(VALU_DEP_1)
	v_bfe_u32 v18, v17, 16, 1
	v_add3_u32 v18, v17, v18, 0x7fff
	s_delay_alu instid0(VALU_DEP_1) | instskip(SKIP_1) | instid1(VALU_DEP_2)
	v_and_b32_e32 v18, 0xffff0000, v18
	v_cmp_o_f32_e32 vcc_lo, v17, v17
	v_cndmask_b32_e64 v17, 0x7fc00000, |v18|, vcc_lo
	v_cmp_le_u32_e32 vcc_lo, s21, v1
	s_delay_alu instid0(VALU_DEP_2) | instskip(SKIP_1) | instid1(VALU_DEP_1)
	v_max_f32_e32 v17, v17, v17
	s_or_b32 s23, vcc_lo, s23
	v_max_f32_e32 v16, v16, v17
	s_and_not1_b32 exec_lo, exec_lo, s23
	s_cbranch_execnz .LBB15_17
; %bb.18:
	s_set_inst_prefetch_distance 0x2
	s_or_b32 exec_lo, exec_lo, s23
	v_dual_mov_b32 v1, s8 :: v_dual_mov_b32 v2, s9
.LBB15_19:
	s_or_b32 exec_lo, exec_lo, s3
	global_load_b32 v17, v[1:2], off
	s_waitcnt vmcnt(0)
	v_cmp_lt_u32_e32 vcc_lo, s24, v17
	v_cndmask_b32_e64 v17, 18, 12, vcc_lo
	s_delay_alu instid0(VALU_DEP_1)
	v_add_co_u32 v1, vcc_lo, v1, v17
	v_add_co_ci_u32_e32 v2, vcc_lo, 0, v2, vcc_lo
	global_load_u16 v1, v[1:2], off
	ds_bpermute_b32 v2, v4, v16
	s_waitcnt lgkmcnt(0)
	v_cmp_lt_f32_e32 vcc_lo, v16, v2
	v_cndmask_b32_e32 v2, v16, v2, vcc_lo
	s_waitcnt vmcnt(0)
	v_sub_nc_u32_e64 v14, v1, v14 clamp
	s_delay_alu instid0(VALU_DEP_1)
	v_cmp_lt_u32_e32 vcc_lo, v5, v14
	v_cmp_lt_u32_e64 s9, v13, v14
	v_cndmask_b32_e32 v2, v16, v2, vcc_lo
	ds_bpermute_b32 v17, v6, v2
	s_waitcnt lgkmcnt(0)
	v_cmp_lt_f32_e64 s3, v2, v17
	s_delay_alu instid0(VALU_DEP_1) | instskip(SKIP_1) | instid1(VALU_DEP_1)
	v_cndmask_b32_e64 v17, v2, v17, s3
	v_cmp_lt_u32_e64 s3, v8, v14
	v_cndmask_b32_e64 v2, v2, v17, s3
	s_or_b32 s3, vcc_lo, s3
	ds_bpermute_b32 v17, v7, v2
	s_waitcnt lgkmcnt(0)
	v_cmp_lt_f32_e64 s7, v2, v17
	s_delay_alu instid0(VALU_DEP_1) | instskip(SKIP_1) | instid1(VALU_DEP_1)
	v_cndmask_b32_e64 v17, v2, v17, s7
	v_cmp_lt_u32_e64 s7, v10, v14
	v_cndmask_b32_e64 v2, v2, v17, s7
	s_or_b32 s3, s7, s3
	ds_bpermute_b32 v17, v9, v2
	s_waitcnt lgkmcnt(0)
	v_cmp_lt_f32_e64 s8, v2, v17
	s_delay_alu instid0(VALU_DEP_1) | instskip(SKIP_1) | instid1(VALU_DEP_1)
	v_cndmask_b32_e64 v17, v2, v17, s8
	v_cmp_lt_u32_e64 s8, v12, v14
	v_cndmask_b32_e64 v2, v2, v17, s8
	s_or_b32 s3, s8, s3
	ds_bpermute_b32 v17, v11, v2
	s_waitcnt lgkmcnt(0)
	v_cmp_lt_f32_e64 s10, v2, v17
	s_delay_alu instid0(VALU_DEP_1) | instskip(SKIP_2) | instid1(VALU_DEP_1)
	s_and_b32 vcc_lo, s9, s10
	v_cndmask_b32_e32 v2, v2, v17, vcc_lo
	s_or_b32 vcc_lo, s9, s3
	v_cndmask_b32_e32 v2, v16, v2, vcc_lo
	s_and_saveexec_b32 s3, s5
	s_cbranch_execz .LBB15_21
; %bb.20:
	v_lshrrev_b32_e32 v14, 3, v0
	s_delay_alu instid0(VALU_DEP_1)
	v_and_b32_e32 v14, 0x7c, v14
	ds_store_b32 v14, v2 offset:384
.LBB15_21:
	s_or_b32 exec_lo, exec_lo, s3
	s_waitcnt lgkmcnt(0)
	s_barrier
	buffer_gl0_inv
	s_and_saveexec_b32 s9, s6
	s_cbranch_execz .LBB15_23
; %bb.22:
	ds_load_b32 v2, v15 offset:384
	s_waitcnt lgkmcnt(0)
	ds_bpermute_b32 v4, v4, v2
	s_waitcnt lgkmcnt(0)
	v_cmp_lt_f32_e32 vcc_lo, v2, v4
	v_dual_cndmask_b32 v4, v2, v4 :: v_dual_add_nc_u32 v1, 31, v1
	s_delay_alu instid0(VALU_DEP_1) | instskip(NEXT) | instid1(VALU_DEP_1)
	v_lshrrev_b32_e32 v1, 5, v1
	v_cmp_lt_u32_e32 vcc_lo, v5, v1
	v_cmp_lt_u32_e64 s7, v13, v1
	s_delay_alu instid0(VALU_DEP_4) | instskip(SKIP_3) | instid1(VALU_DEP_1)
	v_cndmask_b32_e32 v4, v2, v4, vcc_lo
	ds_bpermute_b32 v5, v6, v4
	s_waitcnt lgkmcnt(0)
	v_cmp_lt_f32_e64 s3, v4, v5
	v_cndmask_b32_e64 v5, v4, v5, s3
	v_cmp_lt_u32_e64 s3, v8, v1
	s_delay_alu instid0(VALU_DEP_1) | instskip(SKIP_4) | instid1(VALU_DEP_1)
	v_cndmask_b32_e64 v4, v4, v5, s3
	s_or_b32 s3, vcc_lo, s3
	ds_bpermute_b32 v5, v7, v4
	s_waitcnt lgkmcnt(0)
	v_cmp_lt_f32_e64 s5, v4, v5
	v_cndmask_b32_e64 v5, v4, v5, s5
	v_cmp_lt_u32_e64 s5, v10, v1
	s_delay_alu instid0(VALU_DEP_1) | instskip(SKIP_4) | instid1(VALU_DEP_1)
	v_cndmask_b32_e64 v4, v4, v5, s5
	s_or_b32 s3, s5, s3
	ds_bpermute_b32 v5, v9, v4
	s_waitcnt lgkmcnt(0)
	v_cmp_lt_f32_e64 s6, v4, v5
	v_cndmask_b32_e64 v5, v4, v5, s6
	v_cmp_lt_u32_e64 s6, v12, v1
	s_delay_alu instid0(VALU_DEP_1) | instskip(SKIP_4) | instid1(VALU_DEP_1)
	v_cndmask_b32_e64 v4, v4, v5, s6
	s_or_b32 s3, s6, s3
	ds_bpermute_b32 v5, v11, v4
	s_waitcnt lgkmcnt(0)
	v_cmp_lt_f32_e64 s8, v4, v5
	s_and_b32 vcc_lo, s7, s8
	v_cndmask_b32_e32 v1, v4, v5, vcc_lo
	s_or_b32 vcc_lo, s7, s3
	s_delay_alu instid0(VALU_DEP_1)
	v_cndmask_b32_e32 v2, v2, v1, vcc_lo
.LBB15_23:
	s_or_b32 exec_lo, exec_lo, s9
	s_and_saveexec_b32 s3, s4
	s_cbranch_execz .LBB15_27
; %bb.24:
	s_cmp_eq_u64 s[26:27], 0
	s_cbranch_scc1 .LBB15_26
; %bb.25:
	s_load_b32 s4, s[26:27], 0x0
	v_max_f32_e32 v1, v2, v2
	s_waitcnt lgkmcnt(0)
	v_max_f32_e64 v2, s4, s4
	s_delay_alu instid0(VALU_DEP_1)
	v_min_f32_e32 v2, v1, v2
.LBB15_26:
	s_delay_alu instid0(VALU_DEP_1) | instskip(SKIP_2) | instid1(VALU_DEP_2)
	v_div_scale_f32 v1, null, 0x43e00000, 0x43e00000, v2
	v_div_scale_f32 v6, vcc_lo, v2, 0x43e00000, v2
	s_lshl_b64 s[4:5], s[24:25], 2
	v_rcp_f32_e32 v4, v1
	s_add_u32 s4, s14, s4
	s_addc_u32 s5, s15, s5
	s_waitcnt_depctr 0xfff
	v_fma_f32 v5, -v1, v4, 1.0
	s_delay_alu instid0(VALU_DEP_1) | instskip(NEXT) | instid1(VALU_DEP_1)
	v_fmac_f32_e32 v4, v5, v4
	v_mul_f32_e32 v5, v6, v4
	s_delay_alu instid0(VALU_DEP_1) | instskip(NEXT) | instid1(VALU_DEP_1)
	v_fma_f32 v7, -v1, v5, v6
	v_fmac_f32_e32 v5, v7, v4
	s_delay_alu instid0(VALU_DEP_1) | instskip(NEXT) | instid1(VALU_DEP_1)
	v_fma_f32 v1, -v1, v5, v6
	v_div_fmas_f32 v1, v1, v4, v5
	s_delay_alu instid0(VALU_DEP_1) | instskip(NEXT) | instid1(VALU_DEP_1)
	v_div_fixup_f32 v1, v1, 0x43e00000, v2
	v_dual_mov_b32 v2, 0 :: v_dual_max_f32 v1, 0x36924925, v1
	ds_store_b32 v2, v1 offset:524
	global_store_b32 v2, v1, s[4:5]
.LBB15_27:
	s_or_b32 exec_lo, exec_lo, s3
	s_waitcnt lgkmcnt(0)
	s_waitcnt_vscnt null, 0x0
	s_barrier
	buffer_gl0_inv
	s_and_saveexec_b32 s3, s2
	s_cbranch_execz .LBB15_36
; %bb.28:
	v_dual_mov_b32 v2, 0 :: v_dual_mov_b32 v1, v0
	s_load_b32 s7, s[0:1], 0x4c
	s_ashr_i32 s4, s22, 31
	s_ashr_i32 s2, s21, 31
	ds_load_b32 v4, v2 offset:524
	s_mul_i32 s4, s4, s24
	s_mul_hi_u32 s5, s21, s24
	s_mul_i32 s2, s2, s24
	s_add_i32 s29, s11, s4
	s_add_i32 s6, s5, s2
	s_lshl_b64 s[4:5], s[28:29], 1
	s_mul_i32 s8, s21, s24
	s_add_u32 s2, s16, s4
	s_addc_u32 s4, s17, s5
	s_add_u32 s5, s12, s8
	s_addc_u32 s6, s13, s6
	s_mov_b32 s8, 0
	s_mov_b32 s9, 0x43e00000
	s_waitcnt lgkmcnt(0)
	s_and_b32 s7, s7, 0xffff
	s_branch .LBB15_31
.LBB15_29:                              ;   in Loop: Header=BB15_31 Depth=1
	s_or_b32 exec_lo, exec_lo, s11
.LBB15_30:                              ;   in Loop: Header=BB15_31 Depth=1
	s_delay_alu instid0(SALU_CYCLE_1) | instskip(SKIP_3) | instid1(VALU_DEP_3)
	s_or_b32 exec_lo, exec_lo, s10
	v_lshrrev_b32_e32 v7, 24, v5
	v_add_co_u32 v5, s10, s5, v1
	v_add_nc_u32_e32 v1, s7, v1
	v_and_or_b32 v7, 0x80, v7, v6
	v_add_co_ci_u32_e64 v6, null, s6, 0, s10
	s_delay_alu instid0(VALU_DEP_3) | instskip(SKIP_2) | instid1(SALU_CYCLE_1)
	v_cmp_le_u32_e32 vcc_lo, s21, v1
	global_store_b8 v[5:6], v7, off
	s_or_b32 s8, vcc_lo, s8
	s_and_not1_b32 exec_lo, exec_lo, s8
	s_cbranch_execz .LBB15_36
.LBB15_31:                              ; =>This Inner Loop Header: Depth=1
	v_lshlrev_b64 v[5:6], 1, v[1:2]
	s_mov_b32 s10, exec_lo
	s_delay_alu instid0(VALU_DEP_1) | instskip(NEXT) | instid1(VALU_DEP_2)
	v_add_co_u32 v7, vcc_lo, s2, v5
	v_add_co_ci_u32_e32 v8, vcc_lo, s4, v6, vcc_lo
	v_add_co_u32 v5, vcc_lo, s18, v5
	v_add_co_ci_u32_e32 v6, vcc_lo, s19, v6, vcc_lo
	global_load_u16 v7, v[7:8], off
	global_load_u16 v5, v[5:6], off
	s_waitcnt vmcnt(1)
	v_lshlrev_b32_e32 v6, 16, v7
	s_delay_alu instid0(VALU_DEP_1) | instskip(NEXT) | instid1(VALU_DEP_1)
	v_mul_f32_e32 v6, v3, v6
	v_bfe_u32 v7, v6, 16, 1
	s_delay_alu instid0(VALU_DEP_1) | instskip(NEXT) | instid1(VALU_DEP_1)
	v_add3_u32 v7, v6, v7, 0x7fff
	v_and_b32_e32 v7, 0xffff0000, v7
	v_cmp_o_f32_e32 vcc_lo, v6, v6
	s_waitcnt vmcnt(0)
	s_delay_alu instid0(VALU_DEP_2) | instskip(NEXT) | instid1(VALU_DEP_1)
	v_dual_cndmask_b32 v6, 0x7fc00000, v7 :: v_dual_lshlrev_b32 v5, 16, v5
	v_mul_f32_e32 v5, v6, v5
	s_delay_alu instid0(VALU_DEP_1) | instskip(NEXT) | instid1(VALU_DEP_1)
	v_bfe_u32 v6, v5, 16, 1
	v_add3_u32 v6, v5, v6, 0x7fff
	s_delay_alu instid0(VALU_DEP_1) | instskip(SKIP_1) | instid1(VALU_DEP_2)
	v_and_b32_e32 v6, 0xffff0000, v6
	v_cmp_o_f32_e32 vcc_lo, v5, v5
	v_cndmask_b32_e32 v5, 0x7fc00000, v6, vcc_lo
	s_delay_alu instid0(VALU_DEP_1) | instskip(SKIP_1) | instid1(VALU_DEP_2)
	v_div_scale_f32 v6, null, v4, v4, v5
	v_div_scale_f32 v9, vcc_lo, v5, v4, v5
	v_rcp_f32_e32 v7, v6
	s_waitcnt_depctr 0xfff
	v_fma_f32 v8, -v6, v7, 1.0
	s_delay_alu instid0(VALU_DEP_1) | instskip(NEXT) | instid1(VALU_DEP_1)
	v_fmac_f32_e32 v7, v8, v7
	v_mul_f32_e32 v8, v9, v7
	s_delay_alu instid0(VALU_DEP_1) | instskip(NEXT) | instid1(VALU_DEP_1)
	v_fma_f32 v10, -v6, v8, v9
	v_fmac_f32_e32 v8, v10, v7
	s_delay_alu instid0(VALU_DEP_1) | instskip(NEXT) | instid1(VALU_DEP_1)
	v_fma_f32 v6, -v6, v8, v9
	v_div_fmas_f32 v6, v6, v7, v8
	s_delay_alu instid0(VALU_DEP_1) | instskip(SKIP_1) | instid1(VALU_DEP_2)
	v_div_fixup_f32 v5, v6, v4, v5
	v_mov_b32_e32 v6, 0x7f
	v_minmax_f32 v5, v5, s9, 0xc3e00000
	s_delay_alu instid0(VALU_DEP_1) | instskip(NEXT) | instid1(VALU_DEP_1)
	v_and_b32_e32 v7, 0x7fffffff, v5
	v_cmpx_gt_u32_e32 0x43f00000, v7
	s_cbranch_execz .LBB15_30
; %bb.32:                               ;   in Loop: Header=BB15_31 Depth=1
	s_mov_b32 s11, exec_lo
                                        ; implicit-def: $vgpr6
	v_cmpx_lt_u32_e32 0x3c7fffff, v7
	s_xor_b32 s11, exec_lo, s11
; %bb.33:                               ;   in Loop: Header=BB15_31 Depth=1
	v_bfe_u32 v6, v5, 20, 1
	s_delay_alu instid0(VALU_DEP_1) | instskip(NEXT) | instid1(VALU_DEP_1)
	v_add3_u32 v6, v5, v6, 0x407ffff
	v_lshrrev_b32_e32 v6, 20, v6
; %bb.34:                               ;   in Loop: Header=BB15_31 Depth=1
	s_and_not1_saveexec_b32 s11, s11
	s_cbranch_execz .LBB15_29
; %bb.35:                               ;   in Loop: Header=BB15_31 Depth=1
	v_add_f32_e64 v6, 0x46800000, |v5|
	s_branch .LBB15_29
.LBB15_36:
	s_or_b32 exec_lo, exec_lo, s3
	s_branch .LBB15_177
.LBB15_37:
	s_cbranch_execz .LBB15_177
; %bb.38:
	s_load_b32 s3, s[0:1], 0x40
	s_ashr_i32 s2, s22, 31
	s_mul_hi_u32 s4, s22, s24
	s_mul_i32 s2, s2, s24
	v_mov_b32_e32 v9, 0
	s_add_i32 s5, s4, s2
	s_mul_i32 s4, s22, s24
	s_mov_b32 s25, 0
	s_lshl_b64 s[4:5], s[4:5], 1
	s_delay_alu instid0(SALU_CYCLE_1)
	s_add_u32 s9, s16, s4
	s_addc_u32 s10, s17, s5
	s_ashr_i32 s11, s21, 2
	s_add_u32 s0, s0, 64
	v_cmp_gt_u32_e64 s2, s11, v0
	s_addc_u32 s1, s1, 0
	s_delay_alu instid0(VALU_DEP_1)
	s_and_saveexec_b32 s4, s2
	s_cbranch_execz .LBB15_48
; %bb.39:
	s_waitcnt lgkmcnt(0)
	s_cmp_lt_u32 s24, s3
	v_dual_mov_b32 v2, 0 :: v_dual_mov_b32 v1, v0
	s_cselect_b32 s5, 12, 18
	s_delay_alu instid0(SALU_CYCLE_1)
	s_add_u32 s6, s0, s5
	s_addc_u32 s7, s1, 0
	s_mov_b32 s5, s25
	global_load_u16 v6, v2, s[6:7]
                                        ; implicit-def: $sgpr6
	v_mov_b32_e32 v9, v2
	s_waitcnt vmcnt(0)
	v_mul_lo_u32 v7, v6, 3
	v_lshlrev_b32_e32 v8, 1, v6
	v_add_nc_u32_e32 v10, v6, v6
	s_branch .LBB15_43
.LBB15_40:                              ;   in Loop: Header=BB15_43 Depth=1
	s_or_b32 exec_lo, exec_lo, s16
	s_delay_alu instid0(SALU_CYCLE_1)
	s_or_not1_b32 s16, s17, exec_lo
.LBB15_41:                              ;   in Loop: Header=BB15_43 Depth=1
	s_or_b32 exec_lo, exec_lo, s8
	s_delay_alu instid0(SALU_CYCLE_1) | instskip(SKIP_1) | instid1(SALU_CYCLE_1)
	s_and_not1_b32 s6, s6, exec_lo
	s_and_b32 s8, s16, exec_lo
	s_or_b32 s6, s6, s8
.LBB15_42:                              ;   in Loop: Header=BB15_43 Depth=1
	s_or_b32 exec_lo, exec_lo, s7
	s_delay_alu instid0(SALU_CYCLE_1) | instskip(NEXT) | instid1(SALU_CYCLE_1)
	s_and_b32 s7, exec_lo, s6
	s_or_b32 s5, s7, s5
	s_delay_alu instid0(SALU_CYCLE_1)
	s_and_not1_b32 exec_lo, exec_lo, s5
	s_cbranch_execz .LBB15_47
.LBB15_43:                              ; =>This Inner Loop Header: Depth=1
	v_lshlrev_b64 v[3:4], 3, v[1:2]
	s_or_b32 s6, s6, exec_lo
	s_mov_b32 s7, exec_lo
	s_delay_alu instid0(VALU_DEP_1) | instskip(NEXT) | instid1(VALU_DEP_2)
	v_add_co_u32 v3, vcc_lo, s9, v3
	v_add_co_ci_u32_e32 v4, vcc_lo, s10, v4, vcc_lo
	global_load_b64 v[3:4], v[3:4], off
	s_waitcnt vmcnt(0)
	v_lshlrev_b32_e32 v5, 16, v3
	v_and_b32_e32 v11, 0xffff0000, v3
	v_alignbit_b32 v3, v4, v3, 16
	s_delay_alu instid0(VALU_DEP_3) | instskip(NEXT) | instid1(VALU_DEP_2)
	v_dual_fmac_f32 v9, v5, v5 :: v_dual_and_b32 v4, 0xffff0000, v4
	v_and_b32_e32 v3, 0xffff0000, v3
	s_delay_alu instid0(VALU_DEP_2) | instskip(NEXT) | instid1(VALU_DEP_1)
	v_fmac_f32_e32 v9, v11, v11
	v_fmac_f32_e32 v9, v3, v3
	v_add_nc_u32_e32 v3, v1, v6
	s_delay_alu instid0(VALU_DEP_2) | instskip(NEXT) | instid1(VALU_DEP_2)
	v_fmac_f32_e32 v9, v4, v4
	v_cmpx_gt_u32_e64 s11, v3
	s_cbranch_execz .LBB15_42
; %bb.44:                               ;   in Loop: Header=BB15_43 Depth=1
	v_mov_b32_e32 v4, v2
	s_mov_b32 s16, -1
	s_mov_b32 s8, exec_lo
	s_delay_alu instid0(VALU_DEP_1) | instskip(NEXT) | instid1(VALU_DEP_1)
	v_lshlrev_b64 v[4:5], 3, v[3:4]
	v_add_co_u32 v4, vcc_lo, s9, v4
	s_delay_alu instid0(VALU_DEP_2)
	v_add_co_ci_u32_e32 v5, vcc_lo, s10, v5, vcc_lo
	global_load_b64 v[4:5], v[4:5], off
	s_waitcnt vmcnt(0)
	v_lshlrev_b32_e32 v11, 16, v4
	v_and_b32_e32 v12, 0xffff0000, v4
	v_alignbit_b32 v4, v5, v4, 16
	v_and_b32_e32 v5, 0xffff0000, v5
	s_delay_alu instid0(VALU_DEP_2) | instskip(NEXT) | instid1(VALU_DEP_1)
	v_dual_fmac_f32 v9, v11, v11 :: v_dual_and_b32 v4, 0xffff0000, v4
	v_fmac_f32_e32 v9, v12, v12
	s_delay_alu instid0(VALU_DEP_1) | instskip(SKIP_1) | instid1(VALU_DEP_2)
	v_fmac_f32_e32 v9, v4, v4
	v_add_nc_u32_e32 v4, v8, v1
	v_fmac_f32_e32 v9, v5, v5
	s_delay_alu instid0(VALU_DEP_2)
	v_cmpx_gt_u32_e64 s11, v4
	s_cbranch_execz .LBB15_41
; %bb.45:                               ;   in Loop: Header=BB15_43 Depth=1
	v_mov_b32_e32 v5, v2
	v_add_nc_u32_e32 v1, v7, v1
	s_mov_b32 s17, -1
	s_mov_b32 s16, exec_lo
	s_delay_alu instid0(VALU_DEP_2) | instskip(NEXT) | instid1(VALU_DEP_1)
	v_lshlrev_b64 v[4:5], 3, v[4:5]
	v_add_co_u32 v4, vcc_lo, s9, v4
	s_delay_alu instid0(VALU_DEP_2)
	v_add_co_ci_u32_e32 v5, vcc_lo, s10, v5, vcc_lo
	global_load_b64 v[4:5], v[4:5], off
	s_waitcnt vmcnt(0)
	v_and_b32_e32 v12, 0xffff0000, v4
	v_lshlrev_b32_e32 v11, 16, v4
	v_alignbit_b32 v4, v5, v4, 16
	v_and_b32_e32 v5, 0xffff0000, v5
	s_delay_alu instid0(VALU_DEP_2) | instskip(NEXT) | instid1(VALU_DEP_1)
	v_dual_fmac_f32 v9, v11, v11 :: v_dual_and_b32 v4, 0xffff0000, v4
	v_fmac_f32_e32 v9, v12, v12
	s_delay_alu instid0(VALU_DEP_1) | instskip(NEXT) | instid1(VALU_DEP_1)
	v_fmac_f32_e32 v9, v4, v4
	v_fmac_f32_e32 v9, v5, v5
	v_cmpx_gt_u32_e64 s11, v1
	s_xor_b32 s16, exec_lo, s16
	s_cbranch_execz .LBB15_40
; %bb.46:                               ;   in Loop: Header=BB15_43 Depth=1
	v_lshlrev_b64 v[4:5], 3, v[1:2]
	s_delay_alu instid0(VALU_DEP_1) | instskip(NEXT) | instid1(VALU_DEP_2)
	v_add_co_u32 v4, vcc_lo, s9, v4
	v_add_co_ci_u32_e32 v5, vcc_lo, s10, v5, vcc_lo
	global_load_b64 v[4:5], v[4:5], off
	s_waitcnt vmcnt(0)
	v_lshlrev_b32_e32 v1, 16, v4
	v_and_b32_e32 v11, 0xffff0000, v4
	v_alignbit_b32 v4, v5, v4, 16
	s_delay_alu instid0(VALU_DEP_3) | instskip(SKIP_1) | instid1(VALU_DEP_3)
	v_fmac_f32_e32 v9, v1, v1
	v_add3_u32 v1, v10, v6, v3
	v_and_b32_e32 v4, 0xffff0000, v4
	v_and_b32_e32 v3, 0xffff0000, v5
	s_delay_alu instid0(VALU_DEP_4) | instskip(NEXT) | instid1(VALU_DEP_4)
	v_fmac_f32_e32 v9, v11, v11
	v_cmp_le_u32_e32 vcc_lo, s11, v1
	s_delay_alu instid0(VALU_DEP_2) | instskip(SKIP_1) | instid1(VALU_DEP_1)
	v_fmac_f32_e32 v9, v4, v4
	s_or_not1_b32 s17, vcc_lo, exec_lo
	v_fmac_f32_e32 v9, v3, v3
	s_branch .LBB15_40
.LBB15_47:
	s_or_b32 exec_lo, exec_lo, s5
.LBB15_48:
	s_delay_alu instid0(SALU_CYCLE_1)
	s_or_b32 exec_lo, exec_lo, s4
	s_waitcnt lgkmcnt(0)
	s_cmp_lt_u32 s24, s3
	v_dual_mov_b32 v1, 0 :: v_dual_and_b32 v4, 0x3e0, v0
	s_cselect_b32 s3, 12, 18
	v_mbcnt_lo_u32_b32 v6, -1, 0
	s_add_u32 s0, s0, s3
	s_addc_u32 s1, s1, 0
	global_load_u16 v1, v1, s[0:1]
	v_cmp_ne_u32_e32 vcc_lo, 31, v6
	v_add_nc_u32_e32 v8, 1, v6
	v_add_nc_u32_e32 v12, 2, v6
	;; [unrolled: 1-line block ×4, first 2 shown]
	v_add_co_ci_u32_e32 v2, vcc_lo, 0, v6, vcc_lo
	v_cmp_gt_u32_e32 vcc_lo, 30, v6
	v_add_nc_u32_e32 v17, 16, v6
	v_cmp_eq_u32_e64 s6, 0, v6
	s_delay_alu instid0(VALU_DEP_4)
	v_lshlrev_b32_e32 v7, 2, v2
	v_cndmask_b32_e64 v3, 0, 1, vcc_lo
	v_cmp_gt_u32_e32 vcc_lo, 28, v6
	ds_bpermute_b32 v2, v7, v9
	v_lshlrev_b32_e32 v3, 1, v3
	v_cndmask_b32_e64 v5, 0, 1, vcc_lo
	v_cmp_gt_u32_e32 vcc_lo, 24, v6
	s_delay_alu instid0(VALU_DEP_2) | instskip(NEXT) | instid1(VALU_DEP_1)
	v_lshlrev_b32_e32 v5, 2, v5
	v_add_lshl_u32 v11, v5, v6, 2
	v_cndmask_b32_e64 v5, 0, 1, vcc_lo
	v_cmp_gt_u32_e32 vcc_lo, 16, v6
	s_waitcnt lgkmcnt(0)
	s_delay_alu instid0(VALU_DEP_2) | instskip(SKIP_1) | instid1(VALU_DEP_2)
	v_dual_add_f32 v2, v9, v2 :: v_dual_lshlrev_b32 v5, 3, v5
	v_add_lshl_u32 v10, v3, v6, 2
	v_add_lshl_u32 v13, v5, v6, 2
	v_cndmask_b32_e64 v5, 0, 1, vcc_lo
	s_delay_alu instid0(VALU_DEP_1) | instskip(NEXT) | instid1(VALU_DEP_1)
	v_lshlrev_b32_e32 v5, 4, v5
	v_add_lshl_u32 v15, v5, v6, 2
	s_waitcnt vmcnt(0)
	v_sub_nc_u32_e64 v4, v1, v4 clamp
	v_readfirstlane_b32 s16, v1
	s_delay_alu instid0(VALU_DEP_2)
	v_cmp_lt_u32_e64 s0, v8, v4
	v_cmp_lt_u32_e64 s1, v12, v4
	;; [unrolled: 1-line block ×5, first 2 shown]
	v_cndmask_b32_e64 v2, v9, v2, s0
	ds_bpermute_b32 v3, v10, v2
	s_waitcnt lgkmcnt(0)
	v_add_f32_e32 v3, v2, v3
	s_delay_alu instid0(VALU_DEP_1) | instskip(SKIP_3) | instid1(VALU_DEP_1)
	v_cndmask_b32_e64 v2, v2, v3, s1
	ds_bpermute_b32 v3, v11, v2
	s_waitcnt lgkmcnt(0)
	v_add_f32_e32 v3, v2, v3
	v_cndmask_b32_e64 v2, v2, v3, s3
	ds_bpermute_b32 v3, v13, v2
	s_waitcnt lgkmcnt(0)
	v_add_f32_e32 v3, v2, v3
	s_delay_alu instid0(VALU_DEP_1) | instskip(SKIP_3) | instid1(VALU_DEP_1)
	v_cndmask_b32_e64 v2, v2, v3, s5
	ds_bpermute_b32 v3, v15, v2
	s_waitcnt lgkmcnt(0)
	v_add_f32_e32 v3, v2, v3
	v_cndmask_b32_e64 v1, v2, v3, s8
	s_and_saveexec_b32 s4, s6
	s_cbranch_execz .LBB15_50
; %bb.49:
	v_lshrrev_b32_e32 v2, 3, v0
	s_delay_alu instid0(VALU_DEP_1)
	v_and_b32_e32 v2, 0x7c, v2
	ds_store_b32 v2, v1
.LBB15_50:
	s_or_b32 exec_lo, exec_lo, s4
	v_cmp_gt_u32_e64 s7, 32, v0
	s_waitcnt lgkmcnt(0)
	s_waitcnt_vscnt null, 0x0
	s_barrier
	buffer_gl0_inv
	s_and_saveexec_b32 s4, s7
	s_cbranch_execz .LBB15_52
; %bb.51:
	v_lshlrev_b32_e32 v1, 2, v6
	s_add_i32 s17, s16, 31
	s_delay_alu instid0(SALU_CYCLE_1) | instskip(NEXT) | instid1(SALU_CYCLE_1)
	s_lshr_b32 s17, s17, 5
	v_cmp_gt_u32_e32 vcc_lo, s17, v8
	ds_load_b32 v1, v1
	s_waitcnt lgkmcnt(0)
	ds_bpermute_b32 v2, v7, v1
	s_waitcnt lgkmcnt(0)
	v_add_f32_e32 v2, v1, v2
	s_delay_alu instid0(VALU_DEP_1) | instskip(SKIP_4) | instid1(VALU_DEP_1)
	v_cndmask_b32_e32 v1, v1, v2, vcc_lo
	v_cmp_gt_u32_e32 vcc_lo, s17, v12
	ds_bpermute_b32 v2, v10, v1
	s_waitcnt lgkmcnt(0)
	v_add_f32_e32 v2, v1, v2
	v_cndmask_b32_e32 v1, v1, v2, vcc_lo
	v_cmp_gt_u32_e32 vcc_lo, s17, v14
	ds_bpermute_b32 v2, v11, v1
	s_waitcnt lgkmcnt(0)
	v_add_f32_e32 v2, v1, v2
	s_delay_alu instid0(VALU_DEP_1) | instskip(SKIP_4) | instid1(VALU_DEP_1)
	v_cndmask_b32_e32 v1, v1, v2, vcc_lo
	v_cmp_gt_u32_e32 vcc_lo, s17, v16
	ds_bpermute_b32 v2, v13, v1
	s_waitcnt lgkmcnt(0)
	v_add_f32_e32 v2, v1, v2
	v_cndmask_b32_e32 v1, v1, v2, vcc_lo
	v_cmp_gt_u32_e32 vcc_lo, s17, v17
	ds_bpermute_b32 v2, v15, v1
	s_waitcnt lgkmcnt(0)
	v_add_f32_e32 v2, v1, v2
	s_delay_alu instid0(VALU_DEP_1)
	v_cndmask_b32_e32 v1, v1, v2, vcc_lo
.LBB15_52:
	s_or_b32 exec_lo, exec_lo, s4
	v_cmp_eq_u32_e64 s4, 0, v0
	s_delay_alu instid0(VALU_DEP_1)
	s_and_saveexec_b32 s17, s4
	s_cbranch_execz .LBB15_54
; %bb.53:
	v_cvt_f32_i32_e32 v2, s21
	s_delay_alu instid0(VALU_DEP_1) | instskip(SKIP_1) | instid1(VALU_DEP_2)
	v_div_scale_f32 v3, null, v2, v2, v1
	v_div_scale_f32 v9, vcc_lo, v1, v2, v1
	v_rcp_f32_e32 v4, v3
	s_waitcnt_depctr 0xfff
	v_fma_f32 v5, -v3, v4, 1.0
	s_delay_alu instid0(VALU_DEP_1) | instskip(NEXT) | instid1(VALU_DEP_1)
	v_fmac_f32_e32 v4, v5, v4
	v_mul_f32_e32 v5, v9, v4
	s_delay_alu instid0(VALU_DEP_1) | instskip(NEXT) | instid1(VALU_DEP_1)
	v_fma_f32 v18, -v3, v5, v9
	v_fmac_f32_e32 v5, v18, v4
	s_delay_alu instid0(VALU_DEP_1) | instskip(NEXT) | instid1(VALU_DEP_1)
	v_fma_f32 v3, -v3, v5, v9
	v_div_fmas_f32 v3, v3, v4, v5
	s_delay_alu instid0(VALU_DEP_1) | instskip(NEXT) | instid1(VALU_DEP_1)
	v_div_fixup_f32 v1, v3, v2, v1
	v_add_f32_e32 v1, s20, v1
	s_delay_alu instid0(VALU_DEP_1) | instskip(SKIP_1) | instid1(VALU_DEP_2)
	v_mul_f32_e32 v2, 0x4b800000, v1
	v_cmp_gt_f32_e32 vcc_lo, 0x800000, v1
	v_cndmask_b32_e32 v1, v1, v2, vcc_lo
	s_delay_alu instid0(VALU_DEP_1) | instskip(SKIP_2) | instid1(VALU_DEP_1)
	v_rsq_f32_e32 v1, v1
	s_waitcnt_depctr 0xfff
	v_mul_f32_e32 v2, 0x45800000, v1
	v_dual_cndmask_b32 v1, v1, v2 :: v_dual_mov_b32 v2, 0
	ds_store_b32 v2, v1 offset:512
.LBB15_54:
	s_or_b32 exec_lo, exec_lo, s17
	v_mov_b32_e32 v18, 0
	s_waitcnt lgkmcnt(0)
	s_barrier
	buffer_gl0_inv
	ds_load_b32 v9, v18 offset:512
	s_and_saveexec_b32 s17, s2
	s_cbranch_execz .LBB15_64
; %bb.55:
	v_dual_mov_b32 v2, 0 :: v_dual_mov_b32 v1, v0
	v_mov_b32_e32 v18, 0
	s_mul_i32 s20, s16, 3
	s_lshl_b32 s23, s16, 1
	s_mov_b32 s22, 0
	s_add_i32 s28, s16, s16
                                        ; implicit-def: $sgpr29
	s_branch .LBB15_59
.LBB15_56:                              ;   in Loop: Header=BB15_59 Depth=1
	s_or_b32 exec_lo, exec_lo, s33
	s_delay_alu instid0(SALU_CYCLE_1)
	s_or_not1_b32 s33, s34, exec_lo
.LBB15_57:                              ;   in Loop: Header=BB15_59 Depth=1
	s_or_b32 exec_lo, exec_lo, s31
	s_delay_alu instid0(SALU_CYCLE_1) | instskip(SKIP_1) | instid1(SALU_CYCLE_1)
	s_and_not1_b32 s29, s29, exec_lo
	s_and_b32 s31, s33, exec_lo
	s_or_b32 s29, s29, s31
.LBB15_58:                              ;   in Loop: Header=BB15_59 Depth=1
	s_or_b32 exec_lo, exec_lo, s30
	s_delay_alu instid0(SALU_CYCLE_1) | instskip(NEXT) | instid1(SALU_CYCLE_1)
	s_and_b32 s30, exec_lo, s29
	s_or_b32 s22, s30, s22
	s_delay_alu instid0(SALU_CYCLE_1)
	s_and_not1_b32 exec_lo, exec_lo, s22
	s_cbranch_execz .LBB15_63
.LBB15_59:                              ; =>This Inner Loop Header: Depth=1
	v_lshlrev_b64 v[3:4], 3, v[1:2]
	s_or_b32 s29, s29, exec_lo
	s_mov_b32 s30, exec_lo
	s_delay_alu instid0(VALU_DEP_1) | instskip(NEXT) | instid1(VALU_DEP_2)
	v_add_co_u32 v19, vcc_lo, s9, v3
	v_add_co_ci_u32_e32 v20, vcc_lo, s10, v4, vcc_lo
	v_add_co_u32 v3, vcc_lo, s18, v3
	v_add_co_ci_u32_e32 v4, vcc_lo, s19, v4, vcc_lo
	global_load_b64 v[19:20], v[19:20], off
	global_load_b64 v[3:4], v[3:4], off
	s_waitcnt vmcnt(1)
	v_lshlrev_b32_e32 v21, 16, v19
	v_and_b32_e32 v5, 0xffff0000, v19
	s_waitcnt vmcnt(0)
	v_and_b32_e32 v22, 0xffff0000, v3
	v_alignbit_b32 v19, v20, v19, 16
	s_waitcnt lgkmcnt(0)
	v_dual_mul_f32 v21, v9, v21 :: v_dual_and_b32 v20, 0xffff0000, v20
	s_delay_alu instid0(VALU_DEP_1) | instskip(SKIP_1) | instid1(VALU_DEP_3)
	v_dual_mul_f32 v20, v9, v20 :: v_dual_and_b32 v19, 0xffff0000, v19
	v_mul_f32_e32 v5, v9, v5
	v_bfe_u32 v24, v21, 16, 1
	v_cmp_o_f32_e32 vcc_lo, v21, v21
	s_delay_alu instid0(VALU_DEP_4) | instskip(SKIP_3) | instid1(VALU_DEP_3)
	v_mul_f32_e32 v19, v9, v19
	v_bfe_u32 v26, v20, 16, 1
	v_bfe_u32 v25, v5, 16, 1
	v_add3_u32 v24, v21, v24, 0x7fff
	v_add3_u32 v26, v20, v26, 0x7fff
	s_delay_alu instid0(VALU_DEP_3) | instskip(NEXT) | instid1(VALU_DEP_3)
	v_add3_u32 v25, v5, v25, 0x7fff
	v_and_b32_e32 v24, 0xffff0000, v24
	s_delay_alu instid0(VALU_DEP_3) | instskip(NEXT) | instid1(VALU_DEP_3)
	v_and_b32_e32 v26, 0xffff0000, v26
	v_and_b32_e32 v25, 0xffff0000, v25
	s_delay_alu instid0(VALU_DEP_3) | instskip(SKIP_1) | instid1(VALU_DEP_3)
	v_cndmask_b32_e32 v21, 0x7fc00000, v24, vcc_lo
	v_cmp_o_f32_e32 vcc_lo, v5, v5
	v_cndmask_b32_e32 v5, 0x7fc00000, v25, vcc_lo
	v_cmp_o_f32_e32 vcc_lo, v20, v20
	s_delay_alu instid0(VALU_DEP_2)
	v_mul_f32_e32 v5, v5, v22
	v_dual_cndmask_b32 v20, 0x7fc00000, v26 :: v_dual_lshlrev_b32 v23, 16, v3
	v_alignbit_b32 v3, v4, v3, 16
	v_and_b32_e32 v4, 0xffff0000, v4
	v_bfe_u32 v27, v19, 16, 1
	v_cmp_o_f32_e32 vcc_lo, v19, v19
	v_bfe_u32 v22, v5, 16, 1
	s_delay_alu instid0(VALU_DEP_4) | instskip(NEXT) | instid1(VALU_DEP_4)
	v_dual_mul_f32 v4, v20, v4 :: v_dual_and_b32 v3, 0xffff0000, v3
	v_add3_u32 v27, v19, v27, 0x7fff
	v_mul_f32_e32 v21, v21, v23
	s_delay_alu instid0(VALU_DEP_4) | instskip(NEXT) | instid1(VALU_DEP_3)
	v_add3_u32 v22, v5, v22, 0x7fff
	v_and_b32_e32 v24, 0xffff0000, v27
	s_delay_alu instid0(VALU_DEP_3) | instskip(NEXT) | instid1(VALU_DEP_3)
	v_bfe_u32 v20, v21, 16, 1
	v_and_b32_e32 v22, 0xffff0000, v22
	s_delay_alu instid0(VALU_DEP_3) | instskip(NEXT) | instid1(VALU_DEP_3)
	v_cndmask_b32_e32 v19, 0x7fc00000, v24, vcc_lo
	v_add3_u32 v20, v21, v20, 0x7fff
	v_cmp_o_f32_e32 vcc_lo, v21, v21
	s_delay_alu instid0(VALU_DEP_3) | instskip(SKIP_1) | instid1(VALU_DEP_4)
	v_mul_f32_e32 v3, v19, v3
	v_bfe_u32 v19, v4, 16, 1
	v_and_b32_e32 v20, 0xffff0000, v20
	s_delay_alu instid0(VALU_DEP_3) | instskip(NEXT) | instid1(VALU_DEP_3)
	v_bfe_u32 v23, v3, 16, 1
	v_add3_u32 v19, v4, v19, 0x7fff
	s_delay_alu instid0(VALU_DEP_3) | instskip(SKIP_1) | instid1(VALU_DEP_4)
	v_cndmask_b32_e64 v20, 0x7fc00000, |v20|, vcc_lo
	v_cmp_o_f32_e32 vcc_lo, v5, v5
	v_add3_u32 v23, v3, v23, 0x7fff
	s_delay_alu instid0(VALU_DEP_4) | instskip(SKIP_2) | instid1(VALU_DEP_4)
	v_and_b32_e32 v19, 0xffff0000, v19
	v_cndmask_b32_e64 v5, 0x7fc00000, |v22|, vcc_lo
	v_cmp_o_f32_e32 vcc_lo, v4, v4
	v_and_b32_e32 v21, 0xffff0000, v23
	s_delay_alu instid0(VALU_DEP_3) | instskip(SKIP_4) | instid1(VALU_DEP_1)
	v_max3_f32 v5, v18, v20, v5
	v_cndmask_b32_e64 v4, 0x7fc00000, |v19|, vcc_lo
	v_cmp_o_f32_e32 vcc_lo, v3, v3
	v_add_nc_u32_e32 v3, s16, v1
	v_cndmask_b32_e64 v18, 0x7fc00000, |v21|, vcc_lo
	v_max3_f32 v18, v5, v18, v4
	s_delay_alu instid0(VALU_DEP_3)
	v_cmpx_gt_u32_e64 s11, v3
	s_cbranch_execz .LBB15_58
; %bb.60:                               ;   in Loop: Header=BB15_59 Depth=1
	v_mov_b32_e32 v4, v2
	s_mov_b32 s33, -1
	s_mov_b32 s31, exec_lo
	s_delay_alu instid0(VALU_DEP_1) | instskip(NEXT) | instid1(VALU_DEP_1)
	v_lshlrev_b64 v[4:5], 3, v[3:4]
	v_add_co_u32 v19, vcc_lo, s9, v4
	s_delay_alu instid0(VALU_DEP_2)
	v_add_co_ci_u32_e32 v20, vcc_lo, s10, v5, vcc_lo
	v_add_co_u32 v4, vcc_lo, s18, v4
	v_add_co_ci_u32_e32 v5, vcc_lo, s19, v5, vcc_lo
	global_load_b64 v[19:20], v[19:20], off
	global_load_b64 v[4:5], v[4:5], off
	s_waitcnt vmcnt(1)
	v_and_b32_e32 v21, 0xffff0000, v19
	v_lshlrev_b32_e32 v22, 16, v19
	v_alignbit_b32 v19, v20, v19, 16
	s_delay_alu instid0(VALU_DEP_3) | instskip(SKIP_1) | instid1(VALU_DEP_3)
	v_mul_f32_e32 v21, v9, v21
	s_waitcnt vmcnt(0)
	v_dual_mul_f32 v22, v9, v22 :: v_dual_and_b32 v23, 0xffff0000, v4
	s_delay_alu instid0(VALU_DEP_3) | instskip(SKIP_2) | instid1(VALU_DEP_4)
	v_and_b32_e32 v19, 0xffff0000, v19
	v_and_b32_e32 v20, 0xffff0000, v20
	v_bfe_u32 v26, v21, 16, 1
	v_bfe_u32 v25, v22, 16, 1
	s_delay_alu instid0(VALU_DEP_4) | instskip(NEXT) | instid1(VALU_DEP_4)
	v_mul_f32_e32 v19, v9, v19
	v_mul_f32_e32 v20, v9, v20
	s_delay_alu instid0(VALU_DEP_4)
	v_add3_u32 v26, v21, v26, 0x7fff
	v_cmp_o_f32_e32 vcc_lo, v22, v22
	v_add3_u32 v25, v22, v25, 0x7fff
	v_bfe_u32 v28, v19, 16, 1
	v_bfe_u32 v27, v20, 16, 1
	v_and_b32_e32 v26, 0xffff0000, v26
	s_delay_alu instid0(VALU_DEP_4) | instskip(NEXT) | instid1(VALU_DEP_4)
	v_and_b32_e32 v25, 0xffff0000, v25
	v_add3_u32 v28, v19, v28, 0x7fff
	s_delay_alu instid0(VALU_DEP_4) | instskip(NEXT) | instid1(VALU_DEP_3)
	v_add3_u32 v27, v20, v27, 0x7fff
	v_cndmask_b32_e32 v22, 0x7fc00000, v25, vcc_lo
	v_cmp_o_f32_e32 vcc_lo, v21, v21
	v_lshlrev_b32_e32 v24, 16, v4
	s_delay_alu instid0(VALU_DEP_4)
	v_and_b32_e32 v27, 0xffff0000, v27
	v_alignbit_b32 v4, v5, v4, 16
	v_and_b32_e32 v25, 0xffff0000, v28
	v_cndmask_b32_e32 v21, 0x7fc00000, v26, vcc_lo
	v_cmp_o_f32_e32 vcc_lo, v20, v20
	v_dual_mul_f32 v22, v22, v24 :: v_dual_and_b32 v5, 0xffff0000, v5
	s_delay_alu instid0(VALU_DEP_3) | instskip(SKIP_2) | instid1(VALU_DEP_3)
	v_dual_mul_f32 v21, v21, v23 :: v_dual_and_b32 v4, 0xffff0000, v4
	v_cndmask_b32_e32 v20, 0x7fc00000, v27, vcc_lo
	v_cmp_o_f32_e32 vcc_lo, v19, v19
	v_bfe_u32 v23, v21, 16, 1
	s_delay_alu instid0(VALU_DEP_3) | instskip(SKIP_4) | instid1(VALU_DEP_4)
	v_mul_f32_e32 v5, v20, v5
	v_bfe_u32 v20, v22, 16, 1
	v_cndmask_b32_e32 v19, 0x7fc00000, v25, vcc_lo
	v_cmp_o_f32_e32 vcc_lo, v22, v22
	v_add3_u32 v23, v21, v23, 0x7fff
	v_add3_u32 v20, v22, v20, 0x7fff
	s_delay_alu instid0(VALU_DEP_4) | instskip(SKIP_1) | instid1(VALU_DEP_4)
	v_mul_f32_e32 v4, v19, v4
	v_bfe_u32 v19, v5, 16, 1
	v_and_b32_e32 v23, 0xffff0000, v23
	s_delay_alu instid0(VALU_DEP_4) | instskip(NEXT) | instid1(VALU_DEP_4)
	v_and_b32_e32 v20, 0xffff0000, v20
	v_bfe_u32 v24, v4, 16, 1
	s_delay_alu instid0(VALU_DEP_4) | instskip(NEXT) | instid1(VALU_DEP_3)
	v_add3_u32 v19, v5, v19, 0x7fff
	v_cndmask_b32_e64 v20, 0x7fc00000, |v20|, vcc_lo
	v_cmp_o_f32_e32 vcc_lo, v21, v21
	s_delay_alu instid0(VALU_DEP_4) | instskip(NEXT) | instid1(VALU_DEP_4)
	v_add3_u32 v24, v4, v24, 0x7fff
	v_and_b32_e32 v19, 0xffff0000, v19
	v_cndmask_b32_e64 v21, 0x7fc00000, |v23|, vcc_lo
	v_cmp_o_f32_e32 vcc_lo, v5, v5
	s_delay_alu instid0(VALU_DEP_4) | instskip(NEXT) | instid1(VALU_DEP_3)
	v_and_b32_e32 v22, 0xffff0000, v24
	v_max3_f32 v18, v18, v20, v21
	v_cndmask_b32_e64 v5, 0x7fc00000, |v19|, vcc_lo
	v_cmp_o_f32_e32 vcc_lo, v4, v4
	v_add_nc_u32_e32 v4, s23, v1
	v_cndmask_b32_e64 v19, 0x7fc00000, |v22|, vcc_lo
	s_delay_alu instid0(VALU_DEP_1) | instskip(NEXT) | instid1(VALU_DEP_3)
	v_max3_f32 v18, v18, v19, v5
	v_cmpx_gt_u32_e64 s11, v4
	s_cbranch_execz .LBB15_57
; %bb.61:                               ;   in Loop: Header=BB15_59 Depth=1
	v_mov_b32_e32 v5, v2
	v_add_nc_u32_e32 v1, s20, v1
	s_mov_b32 s34, -1
	s_mov_b32 s33, exec_lo
	s_delay_alu instid0(VALU_DEP_2) | instskip(NEXT) | instid1(VALU_DEP_1)
	v_lshlrev_b64 v[4:5], 3, v[4:5]
	v_add_co_u32 v19, vcc_lo, s9, v4
	s_delay_alu instid0(VALU_DEP_2)
	v_add_co_ci_u32_e32 v20, vcc_lo, s10, v5, vcc_lo
	v_add_co_u32 v4, vcc_lo, s18, v4
	v_add_co_ci_u32_e32 v5, vcc_lo, s19, v5, vcc_lo
	global_load_b64 v[19:20], v[19:20], off
	global_load_b64 v[4:5], v[4:5], off
	s_waitcnt vmcnt(1)
	v_lshlrev_b32_e32 v22, 16, v19
	v_and_b32_e32 v21, 0xffff0000, v19
	v_alignbit_b32 v19, v20, v19, 16
	s_waitcnt vmcnt(0)
	s_delay_alu instid0(VALU_DEP_3) | instskip(NEXT) | instid1(VALU_DEP_3)
	v_dual_mul_f32 v22, v9, v22 :: v_dual_and_b32 v23, 0xffff0000, v4
	v_dual_mul_f32 v21, v9, v21 :: v_dual_and_b32 v20, 0xffff0000, v20
	s_delay_alu instid0(VALU_DEP_3) | instskip(NEXT) | instid1(VALU_DEP_3)
	v_and_b32_e32 v19, 0xffff0000, v19
	v_bfe_u32 v25, v22, 16, 1
	s_delay_alu instid0(VALU_DEP_3) | instskip(NEXT) | instid1(VALU_DEP_4)
	v_mul_f32_e32 v20, v9, v20
	v_bfe_u32 v26, v21, 16, 1
	v_cmp_o_f32_e32 vcc_lo, v22, v22
	v_dual_mul_f32 v19, v9, v19 :: v_dual_lshlrev_b32 v24, 16, v4
	v_add3_u32 v25, v22, v25, 0x7fff
	v_bfe_u32 v27, v20, 16, 1
	v_add3_u32 v26, v21, v26, 0x7fff
	v_alignbit_b32 v4, v5, v4, 16
	v_bfe_u32 v28, v19, 16, 1
	v_and_b32_e32 v25, 0xffff0000, v25
	v_add3_u32 v27, v20, v27, 0x7fff
	s_delay_alu instid0(VALU_DEP_3) | instskip(NEXT) | instid1(VALU_DEP_3)
	v_add3_u32 v28, v19, v28, 0x7fff
	v_cndmask_b32_e32 v22, 0x7fc00000, v25, vcc_lo
	v_and_b32_e32 v5, 0xffff0000, v5
	v_cmp_o_f32_e32 vcc_lo, v21, v21
	v_and_b32_e32 v27, 0xffff0000, v27
	v_and_b32_e32 v25, 0xffff0000, v28
	v_mul_f32_e32 v22, v22, v24
	v_and_b32_e32 v26, 0xffff0000, v26
	s_delay_alu instid0(VALU_DEP_1) | instskip(SKIP_1) | instid1(VALU_DEP_2)
	v_cndmask_b32_e32 v21, 0x7fc00000, v26, vcc_lo
	v_cmp_o_f32_e32 vcc_lo, v20, v20
	v_dual_mul_f32 v21, v21, v23 :: v_dual_and_b32 v4, 0xffff0000, v4
	v_cndmask_b32_e32 v20, 0x7fc00000, v27, vcc_lo
	v_cmp_o_f32_e32 vcc_lo, v19, v19
	s_delay_alu instid0(VALU_DEP_3) | instskip(NEXT) | instid1(VALU_DEP_3)
	v_bfe_u32 v23, v21, 16, 1
	v_mul_f32_e32 v5, v20, v5
	v_bfe_u32 v20, v22, 16, 1
	v_cndmask_b32_e32 v19, 0x7fc00000, v25, vcc_lo
	v_cmp_o_f32_e32 vcc_lo, v22, v22
	v_add3_u32 v23, v21, v23, 0x7fff
	s_delay_alu instid0(VALU_DEP_4) | instskip(NEXT) | instid1(VALU_DEP_4)
	v_add3_u32 v20, v22, v20, 0x7fff
	v_mul_f32_e32 v4, v19, v4
	v_bfe_u32 v19, v5, 16, 1
	s_delay_alu instid0(VALU_DEP_4) | instskip(NEXT) | instid1(VALU_DEP_4)
	v_and_b32_e32 v23, 0xffff0000, v23
	v_and_b32_e32 v20, 0xffff0000, v20
	s_delay_alu instid0(VALU_DEP_4) | instskip(NEXT) | instid1(VALU_DEP_4)
	v_bfe_u32 v24, v4, 16, 1
	v_add3_u32 v19, v5, v19, 0x7fff
	s_delay_alu instid0(VALU_DEP_3) | instskip(SKIP_1) | instid1(VALU_DEP_4)
	v_cndmask_b32_e64 v20, 0x7fc00000, |v20|, vcc_lo
	v_cmp_o_f32_e32 vcc_lo, v21, v21
	v_add3_u32 v24, v4, v24, 0x7fff
	s_delay_alu instid0(VALU_DEP_4) | instskip(SKIP_2) | instid1(VALU_DEP_4)
	v_and_b32_e32 v19, 0xffff0000, v19
	v_cndmask_b32_e64 v21, 0x7fc00000, |v23|, vcc_lo
	v_cmp_o_f32_e32 vcc_lo, v5, v5
	v_and_b32_e32 v22, 0xffff0000, v24
	s_delay_alu instid0(VALU_DEP_3) | instskip(SKIP_2) | instid1(VALU_DEP_4)
	v_max3_f32 v18, v18, v20, v21
	v_cndmask_b32_e64 v5, 0x7fc00000, |v19|, vcc_lo
	v_cmp_o_f32_e32 vcc_lo, v4, v4
	v_cndmask_b32_e64 v4, 0x7fc00000, |v22|, vcc_lo
	s_delay_alu instid0(VALU_DEP_1)
	v_max3_f32 v18, v18, v4, v5
	v_cmpx_gt_u32_e64 s11, v1
	s_xor_b32 s33, exec_lo, s33
	s_cbranch_execz .LBB15_56
; %bb.62:                               ;   in Loop: Header=BB15_59 Depth=1
	v_lshlrev_b64 v[4:5], 3, v[1:2]
	s_delay_alu instid0(VALU_DEP_1) | instskip(NEXT) | instid1(VALU_DEP_2)
	v_add_co_u32 v19, vcc_lo, s9, v4
	v_add_co_ci_u32_e32 v20, vcc_lo, s10, v5, vcc_lo
	v_add_co_u32 v4, vcc_lo, s18, v4
	v_add_co_ci_u32_e32 v5, vcc_lo, s19, v5, vcc_lo
	global_load_b64 v[19:20], v[19:20], off
	global_load_b64 v[4:5], v[4:5], off
	s_waitcnt vmcnt(1)
	v_lshlrev_b32_e32 v21, 16, v19
	v_and_b32_e32 v1, 0xffff0000, v19
	s_waitcnt vmcnt(0)
	v_and_b32_e32 v22, 0xffff0000, v4
	v_alignbit_b32 v19, v20, v19, 16
	v_dual_mul_f32 v21, v9, v21 :: v_dual_and_b32 v20, 0xffff0000, v20
	v_lshlrev_b32_e32 v23, 16, v4
	v_alignbit_b32 v4, v5, v4, 16
	s_delay_alu instid0(VALU_DEP_3) | instskip(SKIP_3) | instid1(VALU_DEP_4)
	v_dual_mul_f32 v20, v9, v20 :: v_dual_and_b32 v19, 0xffff0000, v19
	v_mul_f32_e32 v1, v9, v1
	v_bfe_u32 v24, v21, 16, 1
	v_cmp_o_f32_e32 vcc_lo, v21, v21
	v_dual_mul_f32 v19, v9, v19 :: v_dual_and_b32 v4, 0xffff0000, v4
	s_delay_alu instid0(VALU_DEP_4) | instskip(NEXT) | instid1(VALU_DEP_4)
	v_bfe_u32 v25, v1, 16, 1
	v_add3_u32 v24, v21, v24, 0x7fff
	v_bfe_u32 v26, v20, 16, 1
	s_delay_alu instid0(VALU_DEP_4) | instskip(NEXT) | instid1(VALU_DEP_4)
	v_bfe_u32 v27, v19, 16, 1
	v_add3_u32 v25, v1, v25, 0x7fff
	s_delay_alu instid0(VALU_DEP_4) | instskip(NEXT) | instid1(VALU_DEP_4)
	v_and_b32_e32 v24, 0xffff0000, v24
	v_add3_u32 v26, v20, v26, 0x7fff
	s_delay_alu instid0(VALU_DEP_4) | instskip(NEXT) | instid1(VALU_DEP_4)
	v_add3_u32 v27, v19, v27, 0x7fff
	v_and_b32_e32 v25, 0xffff0000, v25
	s_delay_alu instid0(VALU_DEP_4) | instskip(SKIP_1) | instid1(VALU_DEP_2)
	v_cndmask_b32_e32 v21, 0x7fc00000, v24, vcc_lo
	v_cmp_o_f32_e32 vcc_lo, v1, v1
	v_dual_mul_f32 v21, v21, v23 :: v_dual_and_b32 v26, 0xffff0000, v26
	s_delay_alu instid0(VALU_DEP_4) | instskip(SKIP_1) | instid1(VALU_DEP_2)
	v_cndmask_b32_e32 v1, 0x7fc00000, v25, vcc_lo
	v_cmp_o_f32_e32 vcc_lo, v20, v20
	v_dual_mul_f32 v1, v1, v22 :: v_dual_and_b32 v24, 0xffff0000, v27
	s_delay_alu instid0(VALU_DEP_4) | instskip(SKIP_2) | instid1(VALU_DEP_4)
	v_cndmask_b32_e32 v20, 0x7fc00000, v26, vcc_lo
	v_cmp_o_f32_e32 vcc_lo, v19, v19
	v_bfe_u32 v22, v21, 16, 1
	v_cndmask_b32_e32 v19, 0x7fc00000, v24, vcc_lo
	v_and_b32_e32 v5, 0xffff0000, v5
	v_cmp_o_f32_e32 vcc_lo, v21, v21
	s_delay_alu instid0(VALU_DEP_2) | instskip(SKIP_2) | instid1(VALU_DEP_3)
	v_dual_mul_f32 v4, v19, v4 :: v_dual_mul_f32 v5, v20, v5
	v_bfe_u32 v20, v1, 16, 1
	v_add3_u32 v19, v21, v22, 0x7fff
	v_bfe_u32 v23, v4, 16, 1
	s_delay_alu instid0(VALU_DEP_4) | instskip(NEXT) | instid1(VALU_DEP_4)
	v_bfe_u32 v22, v5, 16, 1
	v_add3_u32 v20, v1, v20, 0x7fff
	s_delay_alu instid0(VALU_DEP_4) | instskip(NEXT) | instid1(VALU_DEP_4)
	v_and_b32_e32 v19, 0xffff0000, v19
	v_add3_u32 v23, v4, v23, 0x7fff
	s_delay_alu instid0(VALU_DEP_4) | instskip(NEXT) | instid1(VALU_DEP_4)
	v_add3_u32 v22, v5, v22, 0x7fff
	v_and_b32_e32 v20, 0xffff0000, v20
	s_delay_alu instid0(VALU_DEP_4)
	v_cndmask_b32_e64 v19, 0x7fc00000, |v19|, vcc_lo
	v_cmp_o_f32_e32 vcc_lo, v1, v1
	v_and_b32_e32 v21, 0xffff0000, v23
	v_add3_u32 v1, s28, s16, v3
	v_and_b32_e32 v3, 0xffff0000, v22
	v_cndmask_b32_e64 v20, 0x7fc00000, |v20|, vcc_lo
	v_cmp_o_f32_e32 vcc_lo, v4, v4
	s_delay_alu instid0(VALU_DEP_2) | instskip(SKIP_4) | instid1(VALU_DEP_2)
	v_max3_f32 v18, v18, v19, v20
	v_cndmask_b32_e64 v4, 0x7fc00000, |v21|, vcc_lo
	v_cmp_o_f32_e32 vcc_lo, v5, v5
	v_cndmask_b32_e64 v3, 0x7fc00000, |v3|, vcc_lo
	v_cmp_le_u32_e32 vcc_lo, s11, v1
	v_max3_f32 v18, v18, v4, v3
	s_or_not1_b32 s34, vcc_lo, exec_lo
	s_branch .LBB15_56
.LBB15_63:
	s_or_b32 exec_lo, exec_lo, s22
.LBB15_64:
	s_delay_alu instid0(SALU_CYCLE_1) | instskip(SKIP_4) | instid1(VALU_DEP_1)
	s_or_b32 exec_lo, exec_lo, s17
	ds_bpermute_b32 v1, v7, v18
	s_waitcnt lgkmcnt(0)
	v_cmp_lt_f32_e32 vcc_lo, v18, v1
	v_cndmask_b32_e32 v1, v18, v1, vcc_lo
	v_cndmask_b32_e64 v1, v18, v1, s0
	s_or_b32 s0, s0, s1
	s_delay_alu instid0(SALU_CYCLE_1) | instskip(NEXT) | instid1(SALU_CYCLE_1)
	s_or_b32 s0, s3, s0
	s_or_b32 s0, s5, s0
	ds_bpermute_b32 v2, v10, v1
	s_waitcnt lgkmcnt(0)
	v_cmp_lt_f32_e32 vcc_lo, v1, v2
	v_cndmask_b32_e32 v2, v1, v2, vcc_lo
	s_delay_alu instid0(VALU_DEP_1) | instskip(SKIP_4) | instid1(VALU_DEP_1)
	v_cndmask_b32_e64 v1, v1, v2, s1
	ds_bpermute_b32 v2, v11, v1
	s_waitcnt lgkmcnt(0)
	v_cmp_lt_f32_e32 vcc_lo, v1, v2
	v_cndmask_b32_e32 v2, v1, v2, vcc_lo
	v_cndmask_b32_e64 v1, v1, v2, s3
	ds_bpermute_b32 v2, v13, v1
	s_waitcnt lgkmcnt(0)
	v_cmp_lt_f32_e32 vcc_lo, v1, v2
	v_cndmask_b32_e32 v2, v1, v2, vcc_lo
	s_delay_alu instid0(VALU_DEP_1)
	v_cndmask_b32_e64 v1, v1, v2, s5
	ds_bpermute_b32 v2, v15, v1
	s_waitcnt lgkmcnt(0)
	v_cmp_lt_f32_e32 vcc_lo, v1, v2
	s_and_b32 vcc_lo, s8, vcc_lo
	v_cndmask_b32_e32 v1, v1, v2, vcc_lo
	s_or_b32 vcc_lo, s8, s0
	s_delay_alu instid0(VALU_DEP_1)
	v_cndmask_b32_e32 v1, v18, v1, vcc_lo
	s_and_saveexec_b32 s0, s6
	s_cbranch_execz .LBB15_66
; %bb.65:
	v_lshrrev_b32_e32 v2, 3, v0
	s_delay_alu instid0(VALU_DEP_1)
	v_and_b32_e32 v2, 0x7c, v2
	ds_store_b32 v2, v1 offset:128
.LBB15_66:
	s_or_b32 exec_lo, exec_lo, s0
	s_waitcnt lgkmcnt(0)
	s_barrier
	buffer_gl0_inv
	s_and_saveexec_b32 s8, s7
	s_cbranch_execz .LBB15_68
; %bb.67:
	v_lshlrev_b32_e32 v1, 2, v6
	s_add_i32 s0, s16, 31
	s_delay_alu instid0(SALU_CYCLE_1)
	s_lshr_b32 s5, s0, 5
	ds_load_b32 v1, v1 offset:128
	s_waitcnt lgkmcnt(0)
	ds_bpermute_b32 v2, v7, v1
	s_waitcnt lgkmcnt(0)
	v_cmp_lt_f32_e32 vcc_lo, v1, v2
	v_cndmask_b32_e32 v2, v1, v2, vcc_lo
	v_cmp_gt_u32_e32 vcc_lo, s5, v8
	s_delay_alu instid0(VALU_DEP_2) | instskip(SKIP_3) | instid1(VALU_DEP_1)
	v_cndmask_b32_e32 v2, v1, v2, vcc_lo
	ds_bpermute_b32 v3, v10, v2
	s_waitcnt lgkmcnt(0)
	v_cmp_lt_f32_e64 s0, v2, v3
	v_cndmask_b32_e64 v3, v2, v3, s0
	v_cmp_gt_u32_e64 s0, s5, v12
	s_delay_alu instid0(VALU_DEP_1) | instskip(SKIP_4) | instid1(VALU_DEP_1)
	v_cndmask_b32_e64 v2, v2, v3, s0
	s_or_b32 s0, vcc_lo, s0
	ds_bpermute_b32 v3, v11, v2
	s_waitcnt lgkmcnt(0)
	v_cmp_lt_f32_e64 s1, v2, v3
	v_cndmask_b32_e64 v3, v2, v3, s1
	v_cmp_gt_u32_e64 s1, s5, v14
	s_delay_alu instid0(VALU_DEP_1) | instskip(SKIP_4) | instid1(VALU_DEP_1)
	v_cndmask_b32_e64 v2, v2, v3, s1
	s_or_b32 s0, s1, s0
	ds_bpermute_b32 v3, v13, v2
	s_waitcnt lgkmcnt(0)
	v_cmp_lt_f32_e64 s3, v2, v3
	v_cndmask_b32_e64 v3, v2, v3, s3
	v_cmp_gt_u32_e64 s3, s5, v16
	v_cmp_gt_u32_e64 s5, s5, v17
	s_delay_alu instid0(VALU_DEP_2) | instskip(SKIP_4) | instid1(VALU_DEP_1)
	v_cndmask_b32_e64 v2, v2, v3, s3
	s_or_b32 s0, s3, s0
	ds_bpermute_b32 v3, v15, v2
	s_waitcnt lgkmcnt(0)
	v_cmp_lt_f32_e64 s6, v2, v3
	s_and_b32 vcc_lo, s5, s6
	v_cndmask_b32_e32 v2, v2, v3, vcc_lo
	s_or_b32 vcc_lo, s5, s0
	s_delay_alu instid0(VALU_DEP_1)
	v_cndmask_b32_e32 v1, v1, v2, vcc_lo
.LBB15_68:
	s_or_b32 exec_lo, exec_lo, s8
	s_and_saveexec_b32 s0, s4
	s_cbranch_execz .LBB15_72
; %bb.69:
	s_cmp_eq_u64 s[26:27], 0
	s_cbranch_scc1 .LBB15_71
; %bb.70:
	s_load_b32 s1, s[26:27], 0x0
	v_max_f32_e32 v1, v1, v1
	s_waitcnt lgkmcnt(0)
	v_max_f32_e64 v2, s1, s1
	s_delay_alu instid0(VALU_DEP_1)
	v_min_f32_e32 v1, v1, v2
.LBB15_71:
	s_delay_alu instid0(VALU_DEP_1) | instskip(SKIP_2) | instid1(VALU_DEP_2)
	v_div_scale_f32 v2, null, 0x43e00000, 0x43e00000, v1
	v_div_scale_f32 v5, vcc_lo, v1, 0x43e00000, v1
	s_lshl_b64 s[4:5], s[24:25], 2
	v_rcp_f32_e32 v3, v2
	s_add_u32 s4, s14, s4
	s_addc_u32 s5, s15, s5
	s_waitcnt_depctr 0xfff
	v_fma_f32 v4, -v2, v3, 1.0
	s_delay_alu instid0(VALU_DEP_1) | instskip(NEXT) | instid1(VALU_DEP_1)
	v_fmac_f32_e32 v3, v4, v3
	v_mul_f32_e32 v4, v5, v3
	s_delay_alu instid0(VALU_DEP_1) | instskip(NEXT) | instid1(VALU_DEP_1)
	v_fma_f32 v6, -v2, v4, v5
	v_fmac_f32_e32 v4, v6, v3
	s_delay_alu instid0(VALU_DEP_1) | instskip(NEXT) | instid1(VALU_DEP_1)
	v_fma_f32 v2, -v2, v4, v5
	v_div_fmas_f32 v2, v2, v3, v4
	s_delay_alu instid0(VALU_DEP_1) | instskip(NEXT) | instid1(VALU_DEP_1)
	v_div_fixup_f32 v1, v2, 0x43e00000, v1
	v_dual_mov_b32 v2, 0 :: v_dual_max_f32 v1, 0x36924925, v1
	ds_store_b32 v2, v1 offset:516
	global_store_b32 v2, v1, s[4:5]
.LBB15_72:
	s_or_b32 exec_lo, exec_lo, s0
	s_waitcnt lgkmcnt(0)
	s_waitcnt_vscnt null, 0x0
	s_barrier
	buffer_gl0_inv
	s_and_saveexec_b32 s0, s2
	s_cbranch_execz .LBB15_177
; %bb.73:
	v_mov_b32_e32 v1, 0
	s_ashr_i32 s0, s21, 31
	s_mul_hi_u32 s1, s21, s24
	s_mul_i32 s0, s0, s24
	s_mul_i32 s2, s21, s24
	ds_load_b32 v10, v1 offset:516
	s_add_i32 s1, s1, s0
	s_add_u32 s0, s12, s2
	s_addc_u32 s1, s13, s1
	s_mul_i32 s2, s16, 3
	s_lshl_b32 s3, s16, 1
	s_mov_b32 s4, 0
	s_mov_b32 s5, 0x43e00000
	s_add_i32 s6, s16, s16
	s_branch .LBB15_79
.LBB15_74:                              ;   in Loop: Header=BB15_79 Depth=1
	s_or_b32 exec_lo, exec_lo, s14
.LBB15_75:                              ;   in Loop: Header=BB15_79 Depth=1
	s_delay_alu instid0(SALU_CYCLE_1)
	s_or_b32 exec_lo, exec_lo, s13
	v_lshrrev_b32_e32 v6, 24, v13
	v_lshrrev_b32_e32 v12, 24, v12
	v_and_b32_e32 v13, 0x80000000, v4
	v_lshrrev_b32_e32 v11, 24, v11
	v_and_b32_e32 v8, 0xff, v8
	v_and_b32_e32 v6, 0x80, v6
	;; [unrolled: 1-line block ×3, first 2 shown]
	s_delay_alu instid0(VALU_DEP_3) | instskip(NEXT) | instid1(VALU_DEP_3)
	v_and_or_b32 v8, 0x80, v11, v8
	v_and_or_b32 v5, 0xff, v5, v6
	v_lshlrev_b32_e32 v6, 24, v3
	v_lshlrev_b64 v[3:4], 2, v[0:1]
	v_and_or_b32 v7, 0xff, v7, v12
	v_add3_u32 v0, s6, s16, v2
	v_lshlrev_b32_e32 v5, 16, v5
	s_delay_alu instid0(VALU_DEP_3) | instskip(SKIP_1) | instid1(VALU_DEP_3)
	v_lshlrev_b32_e32 v7, 8, v7
	v_add_co_u32 v2, vcc_lo, s0, v3
	v_or3_b32 v5, v13, v6, v5
	v_add_co_ci_u32_e32 v3, vcc_lo, s1, v4, vcc_lo
	v_cmp_le_u32_e32 vcc_lo, s11, v0
	s_delay_alu instid0(VALU_DEP_3)
	v_or3_b32 v4, v5, v7, v8
	s_or_not1_b32 s13, vcc_lo, exec_lo
	global_store_b32 v[2:3], v4, off
.LBB15_76:                              ;   in Loop: Header=BB15_79 Depth=1
	s_or_b32 exec_lo, exec_lo, s12
	s_delay_alu instid0(SALU_CYCLE_1)
	s_or_not1_b32 s12, s13, exec_lo
.LBB15_77:                              ;   in Loop: Header=BB15_79 Depth=1
	s_or_b32 exec_lo, exec_lo, s8
	s_delay_alu instid0(SALU_CYCLE_1)
	s_or_not1_b32 s8, s12, exec_lo
.LBB15_78:                              ;   in Loop: Header=BB15_79 Depth=1
	s_or_b32 exec_lo, exec_lo, s7
	s_delay_alu instid0(SALU_CYCLE_1) | instskip(NEXT) | instid1(SALU_CYCLE_1)
	s_and_b32 s7, exec_lo, s8
	s_or_b32 s4, s7, s4
	s_delay_alu instid0(SALU_CYCLE_1)
	s_and_not1_b32 exec_lo, exec_lo, s4
	s_cbranch_execz .LBB15_177
.LBB15_79:                              ; =>This Inner Loop Header: Depth=1
	v_lshlrev_b64 v[2:3], 3, v[0:1]
	s_mov_b32 s7, exec_lo
	s_delay_alu instid0(VALU_DEP_1) | instskip(NEXT) | instid1(VALU_DEP_2)
	v_add_co_u32 v4, vcc_lo, s9, v2
	v_add_co_ci_u32_e32 v5, vcc_lo, s10, v3, vcc_lo
	v_add_co_u32 v2, vcc_lo, s18, v2
	v_add_co_ci_u32_e32 v3, vcc_lo, s19, v3, vcc_lo
	global_load_b64 v[4:5], v[4:5], off
	global_load_b64 v[2:3], v[2:3], off
	s_waitcnt vmcnt(1)
	v_lshlrev_b32_e32 v6, 16, v4
	s_waitcnt vmcnt(0)
	v_lshlrev_b32_e32 v8, 16, v2
	s_delay_alu instid0(VALU_DEP_2) | instskip(NEXT) | instid1(VALU_DEP_1)
	v_mul_f32_e32 v6, v9, v6
	v_bfe_u32 v7, v6, 16, 1
	s_delay_alu instid0(VALU_DEP_1) | instskip(NEXT) | instid1(VALU_DEP_1)
	v_add3_u32 v7, v6, v7, 0x7fff
	v_and_b32_e32 v7, 0xffff0000, v7
	v_cmp_o_f32_e32 vcc_lo, v6, v6
	s_delay_alu instid0(VALU_DEP_2) | instskip(NEXT) | instid1(VALU_DEP_1)
	v_cndmask_b32_e32 v6, 0x7fc00000, v7, vcc_lo
	v_mul_f32_e32 v6, v6, v8
	s_delay_alu instid0(VALU_DEP_1) | instskip(NEXT) | instid1(VALU_DEP_1)
	v_bfe_u32 v7, v6, 16, 1
	v_add3_u32 v7, v6, v7, 0x7fff
	s_delay_alu instid0(VALU_DEP_1) | instskip(SKIP_1) | instid1(VALU_DEP_2)
	v_and_b32_e32 v7, 0xffff0000, v7
	v_cmp_o_f32_e32 vcc_lo, v6, v6
	v_cndmask_b32_e32 v6, 0x7fc00000, v7, vcc_lo
	s_waitcnt lgkmcnt(0)
	s_delay_alu instid0(VALU_DEP_1) | instskip(SKIP_1) | instid1(VALU_DEP_2)
	v_div_scale_f32 v7, null, v10, v10, v6
	v_div_scale_f32 v12, vcc_lo, v6, v10, v6
	v_rcp_f32_e32 v8, v7
	s_waitcnt_depctr 0xfff
	v_fma_f32 v11, -v7, v8, 1.0
	s_delay_alu instid0(VALU_DEP_1) | instskip(NEXT) | instid1(VALU_DEP_1)
	v_fmac_f32_e32 v8, v11, v8
	v_mul_f32_e32 v11, v12, v8
	s_delay_alu instid0(VALU_DEP_1) | instskip(NEXT) | instid1(VALU_DEP_1)
	v_fma_f32 v13, -v7, v11, v12
	v_fmac_f32_e32 v11, v13, v8
	s_delay_alu instid0(VALU_DEP_1) | instskip(NEXT) | instid1(VALU_DEP_1)
	v_fma_f32 v7, -v7, v11, v12
	v_div_fmas_f32 v7, v7, v8, v11
	s_delay_alu instid0(VALU_DEP_1) | instskip(SKIP_1) | instid1(VALU_DEP_2)
	v_div_fixup_f32 v6, v7, v10, v6
	v_mov_b32_e32 v7, 0x7f
	v_minmax_f32 v8, v6, s5, 0xc3e00000
	v_mov_b32_e32 v6, 0x7f
	s_delay_alu instid0(VALU_DEP_2) | instskip(NEXT) | instid1(VALU_DEP_1)
	v_and_b32_e32 v11, 0x7fffffff, v8
	v_cmpx_gt_u32_e32 0x43f00000, v11
	s_cbranch_execz .LBB15_85
; %bb.80:                               ;   in Loop: Header=BB15_79 Depth=1
	s_mov_b32 s8, exec_lo
                                        ; implicit-def: $vgpr7
	v_cmpx_lt_u32_e32 0x3c7fffff, v11
	s_xor_b32 s8, exec_lo, s8
; %bb.81:                               ;   in Loop: Header=BB15_79 Depth=1
	v_bfe_u32 v7, v8, 20, 1
	s_delay_alu instid0(VALU_DEP_1) | instskip(NEXT) | instid1(VALU_DEP_1)
	v_add3_u32 v7, v8, v7, 0x407ffff
	v_lshrrev_b32_e32 v7, 20, v7
; %bb.82:                               ;   in Loop: Header=BB15_79 Depth=1
	s_and_not1_saveexec_b32 s8, s8
; %bb.83:                               ;   in Loop: Header=BB15_79 Depth=1
	v_add_f32_e64 v7, 0x46800000, |v8|
; %bb.84:                               ;   in Loop: Header=BB15_79 Depth=1
	s_or_b32 exec_lo, exec_lo, s8
.LBB15_85:                              ;   in Loop: Header=BB15_79 Depth=1
	s_delay_alu instid0(SALU_CYCLE_1) | instskip(SKIP_3) | instid1(VALU_DEP_2)
	s_or_b32 exec_lo, exec_lo, s7
	v_and_b32_e32 v11, 0xffff0000, v4
	v_and_b32_e32 v13, 0xffff0000, v2
	s_mov_b32 s7, exec_lo
	v_mul_f32_e32 v11, v9, v11
	s_delay_alu instid0(VALU_DEP_1) | instskip(NEXT) | instid1(VALU_DEP_1)
	v_bfe_u32 v12, v11, 16, 1
	v_add3_u32 v12, v11, v12, 0x7fff
	s_delay_alu instid0(VALU_DEP_1) | instskip(SKIP_1) | instid1(VALU_DEP_2)
	v_and_b32_e32 v12, 0xffff0000, v12
	v_cmp_o_f32_e32 vcc_lo, v11, v11
	v_cndmask_b32_e32 v11, 0x7fc00000, v12, vcc_lo
	s_delay_alu instid0(VALU_DEP_1) | instskip(NEXT) | instid1(VALU_DEP_1)
	v_mul_f32_e32 v11, v11, v13
	v_bfe_u32 v12, v11, 16, 1
	s_delay_alu instid0(VALU_DEP_1) | instskip(NEXT) | instid1(VALU_DEP_1)
	v_add3_u32 v12, v11, v12, 0x7fff
	v_and_b32_e32 v12, 0xffff0000, v12
	v_cmp_o_f32_e32 vcc_lo, v11, v11
	s_delay_alu instid0(VALU_DEP_2) | instskip(NEXT) | instid1(VALU_DEP_1)
	v_cndmask_b32_e32 v11, 0x7fc00000, v12, vcc_lo
	v_div_scale_f32 v12, null, v10, v10, v11
	s_delay_alu instid0(VALU_DEP_1) | instskip(SKIP_2) | instid1(VALU_DEP_1)
	v_rcp_f32_e32 v13, v12
	s_waitcnt_depctr 0xfff
	v_fma_f32 v14, -v12, v13, 1.0
	v_fmac_f32_e32 v13, v14, v13
	v_div_scale_f32 v14, vcc_lo, v11, v10, v11
	s_delay_alu instid0(VALU_DEP_1) | instskip(NEXT) | instid1(VALU_DEP_1)
	v_mul_f32_e32 v15, v14, v13
	v_fma_f32 v16, -v12, v15, v14
	s_delay_alu instid0(VALU_DEP_1) | instskip(NEXT) | instid1(VALU_DEP_1)
	v_fmac_f32_e32 v15, v16, v13
	v_fma_f32 v12, -v12, v15, v14
	s_delay_alu instid0(VALU_DEP_1) | instskip(NEXT) | instid1(VALU_DEP_1)
	v_div_fmas_f32 v12, v12, v13, v15
	v_div_fixup_f32 v11, v12, v10, v11
	s_delay_alu instid0(VALU_DEP_1) | instskip(NEXT) | instid1(VALU_DEP_1)
	v_minmax_f32 v11, v11, s5, 0xc3e00000
	v_and_b32_e32 v12, 0x7fffffff, v11
	s_delay_alu instid0(VALU_DEP_1)
	v_cmpx_gt_u32_e32 0x43f00000, v12
	s_cbranch_execz .LBB15_91
; %bb.86:                               ;   in Loop: Header=BB15_79 Depth=1
	s_mov_b32 s8, exec_lo
                                        ; implicit-def: $vgpr6
	v_cmpx_lt_u32_e32 0x3c7fffff, v12
	s_xor_b32 s8, exec_lo, s8
; %bb.87:                               ;   in Loop: Header=BB15_79 Depth=1
	v_bfe_u32 v6, v11, 20, 1
	s_delay_alu instid0(VALU_DEP_1) | instskip(NEXT) | instid1(VALU_DEP_1)
	v_add3_u32 v6, v11, v6, 0x407ffff
	v_lshrrev_b32_e32 v6, 20, v6
; %bb.88:                               ;   in Loop: Header=BB15_79 Depth=1
	s_and_not1_saveexec_b32 s8, s8
; %bb.89:                               ;   in Loop: Header=BB15_79 Depth=1
	v_add_f32_e64 v6, 0x46800000, |v11|
; %bb.90:                               ;   in Loop: Header=BB15_79 Depth=1
	s_or_b32 exec_lo, exec_lo, s8
.LBB15_91:                              ;   in Loop: Header=BB15_79 Depth=1
	s_delay_alu instid0(SALU_CYCLE_1) | instskip(SKIP_3) | instid1(VALU_DEP_2)
	s_or_b32 exec_lo, exec_lo, s7
	v_alignbit_b32 v4, v5, v4, 16
	v_alignbit_b32 v2, v3, v2, 16
	s_mov_b32 s7, exec_lo
	v_and_b32_e32 v4, 0xffff0000, v4
	s_delay_alu instid0(VALU_DEP_2) | instskip(NEXT) | instid1(VALU_DEP_2)
	v_and_b32_e32 v2, 0xffff0000, v2
	v_mul_f32_e32 v4, v9, v4
	s_delay_alu instid0(VALU_DEP_1) | instskip(SKIP_1) | instid1(VALU_DEP_2)
	v_bfe_u32 v12, v4, 16, 1
	v_cmp_o_f32_e32 vcc_lo, v4, v4
	v_add3_u32 v12, v4, v12, 0x7fff
	s_delay_alu instid0(VALU_DEP_1) | instskip(NEXT) | instid1(VALU_DEP_1)
	v_and_b32_e32 v12, 0xffff0000, v12
	v_cndmask_b32_e32 v4, 0x7fc00000, v12, vcc_lo
	s_delay_alu instid0(VALU_DEP_1) | instskip(NEXT) | instid1(VALU_DEP_1)
	v_mul_f32_e32 v2, v4, v2
	v_bfe_u32 v4, v2, 16, 1
	v_cmp_o_f32_e32 vcc_lo, v2, v2
	s_delay_alu instid0(VALU_DEP_2) | instskip(NEXT) | instid1(VALU_DEP_1)
	v_add3_u32 v4, v2, v4, 0x7fff
	v_and_b32_e32 v4, 0xffff0000, v4
	s_delay_alu instid0(VALU_DEP_1) | instskip(NEXT) | instid1(VALU_DEP_1)
	v_cndmask_b32_e32 v2, 0x7fc00000, v4, vcc_lo
	v_div_scale_f32 v4, null, v10, v10, v2
	v_div_scale_f32 v14, vcc_lo, v2, v10, v2
	s_delay_alu instid0(VALU_DEP_2) | instskip(SKIP_2) | instid1(VALU_DEP_1)
	v_rcp_f32_e32 v12, v4
	s_waitcnt_depctr 0xfff
	v_fma_f32 v13, -v4, v12, 1.0
	v_fmac_f32_e32 v12, v13, v12
	s_delay_alu instid0(VALU_DEP_1) | instskip(NEXT) | instid1(VALU_DEP_1)
	v_mul_f32_e32 v13, v14, v12
	v_fma_f32 v15, -v4, v13, v14
	s_delay_alu instid0(VALU_DEP_1) | instskip(NEXT) | instid1(VALU_DEP_1)
	v_fmac_f32_e32 v13, v15, v12
	v_fma_f32 v4, -v4, v13, v14
	s_delay_alu instid0(VALU_DEP_1) | instskip(NEXT) | instid1(VALU_DEP_1)
	v_div_fmas_f32 v4, v4, v12, v13
	v_div_fixup_f32 v2, v4, v10, v2
	v_mov_b32_e32 v4, 0x7f
	s_delay_alu instid0(VALU_DEP_2) | instskip(SKIP_1) | instid1(VALU_DEP_2)
	v_minmax_f32 v12, v2, s5, 0xc3e00000
	v_mov_b32_e32 v2, 0x7f
	v_and_b32_e32 v13, 0x7fffffff, v12
	s_delay_alu instid0(VALU_DEP_1)
	v_cmpx_gt_u32_e32 0x43f00000, v13
	s_cbranch_execz .LBB15_97
; %bb.92:                               ;   in Loop: Header=BB15_79 Depth=1
	s_mov_b32 s8, exec_lo
                                        ; implicit-def: $vgpr4
	v_cmpx_lt_u32_e32 0x3c7fffff, v13
	s_xor_b32 s8, exec_lo, s8
; %bb.93:                               ;   in Loop: Header=BB15_79 Depth=1
	v_bfe_u32 v4, v12, 20, 1
	s_delay_alu instid0(VALU_DEP_1) | instskip(NEXT) | instid1(VALU_DEP_1)
	v_add3_u32 v4, v12, v4, 0x407ffff
	v_lshrrev_b32_e32 v4, 20, v4
; %bb.94:                               ;   in Loop: Header=BB15_79 Depth=1
	s_and_not1_saveexec_b32 s8, s8
; %bb.95:                               ;   in Loop: Header=BB15_79 Depth=1
	v_add_f32_e64 v4, 0x46800000, |v12|
; %bb.96:                               ;   in Loop: Header=BB15_79 Depth=1
	s_or_b32 exec_lo, exec_lo, s8
.LBB15_97:                              ;   in Loop: Header=BB15_79 Depth=1
	s_delay_alu instid0(SALU_CYCLE_1) | instskip(SKIP_3) | instid1(VALU_DEP_2)
	s_or_b32 exec_lo, exec_lo, s7
	v_and_b32_e32 v5, 0xffff0000, v5
	v_and_b32_e32 v3, 0xffff0000, v3
	s_mov_b32 s7, exec_lo
	v_mul_f32_e32 v5, v9, v5
	s_delay_alu instid0(VALU_DEP_1) | instskip(SKIP_1) | instid1(VALU_DEP_2)
	v_bfe_u32 v13, v5, 16, 1
	v_cmp_o_f32_e32 vcc_lo, v5, v5
	v_add3_u32 v13, v5, v13, 0x7fff
	s_delay_alu instid0(VALU_DEP_1) | instskip(NEXT) | instid1(VALU_DEP_1)
	v_and_b32_e32 v13, 0xffff0000, v13
	v_cndmask_b32_e32 v5, 0x7fc00000, v13, vcc_lo
	s_delay_alu instid0(VALU_DEP_1) | instskip(NEXT) | instid1(VALU_DEP_1)
	v_mul_f32_e32 v3, v5, v3
	v_bfe_u32 v5, v3, 16, 1
	v_cmp_o_f32_e32 vcc_lo, v3, v3
	s_delay_alu instid0(VALU_DEP_2) | instskip(NEXT) | instid1(VALU_DEP_1)
	v_add3_u32 v5, v3, v5, 0x7fff
	v_and_b32_e32 v5, 0xffff0000, v5
	s_delay_alu instid0(VALU_DEP_1) | instskip(NEXT) | instid1(VALU_DEP_1)
	v_cndmask_b32_e32 v3, 0x7fc00000, v5, vcc_lo
	v_div_scale_f32 v5, null, v10, v10, v3
	s_delay_alu instid0(VALU_DEP_1) | instskip(SKIP_2) | instid1(VALU_DEP_1)
	v_rcp_f32_e32 v13, v5
	s_waitcnt_depctr 0xfff
	v_fma_f32 v14, -v5, v13, 1.0
	v_fmac_f32_e32 v13, v14, v13
	v_div_scale_f32 v14, vcc_lo, v3, v10, v3
	s_delay_alu instid0(VALU_DEP_1) | instskip(NEXT) | instid1(VALU_DEP_1)
	v_mul_f32_e32 v15, v14, v13
	v_fma_f32 v16, -v5, v15, v14
	s_delay_alu instid0(VALU_DEP_1) | instskip(NEXT) | instid1(VALU_DEP_1)
	v_fmac_f32_e32 v15, v16, v13
	v_fma_f32 v5, -v5, v15, v14
	s_delay_alu instid0(VALU_DEP_1) | instskip(NEXT) | instid1(VALU_DEP_1)
	v_div_fmas_f32 v5, v5, v13, v15
	v_div_fixup_f32 v3, v5, v10, v3
	s_delay_alu instid0(VALU_DEP_1) | instskip(NEXT) | instid1(VALU_DEP_1)
	v_minmax_f32 v3, v3, s5, 0xc3e00000
	v_and_b32_e32 v5, 0x7fffffff, v3
	s_delay_alu instid0(VALU_DEP_1)
	v_cmpx_gt_u32_e32 0x43f00000, v5
	s_cbranch_execz .LBB15_103
; %bb.98:                               ;   in Loop: Header=BB15_79 Depth=1
	s_mov_b32 s8, exec_lo
                                        ; implicit-def: $vgpr2
	v_cmpx_lt_u32_e32 0x3c7fffff, v5
	s_xor_b32 s8, exec_lo, s8
; %bb.99:                               ;   in Loop: Header=BB15_79 Depth=1
	v_bfe_u32 v2, v3, 20, 1
	s_delay_alu instid0(VALU_DEP_1) | instskip(NEXT) | instid1(VALU_DEP_1)
	v_add3_u32 v2, v3, v2, 0x407ffff
	v_lshrrev_b32_e32 v2, 20, v2
; %bb.100:                              ;   in Loop: Header=BB15_79 Depth=1
	s_and_not1_saveexec_b32 s8, s8
; %bb.101:                              ;   in Loop: Header=BB15_79 Depth=1
	v_add_f32_e64 v2, 0x46800000, |v3|
; %bb.102:                              ;   in Loop: Header=BB15_79 Depth=1
	s_or_b32 exec_lo, exec_lo, s8
.LBB15_103:                             ;   in Loop: Header=BB15_79 Depth=1
	s_delay_alu instid0(SALU_CYCLE_1)
	s_or_b32 exec_lo, exec_lo, s7
	v_lshrrev_b32_e32 v5, 24, v12
	v_lshrrev_b32_e32 v11, 24, v11
	;; [unrolled: 1-line block ×3, first 2 shown]
	v_lshlrev_b32_e32 v2, 24, v2
	v_and_b32_e32 v7, 0xff, v7
	v_and_b32_e32 v5, 0x80, v5
	;; [unrolled: 1-line block ×3, first 2 shown]
	s_mov_b32 s8, -1
	s_mov_b32 s7, exec_lo
	v_and_or_b32 v7, 0x80, v8, v7
	v_and_or_b32 v4, 0xff, v4, v5
	v_and_b32_e32 v5, 0x80000000, v3
	v_and_or_b32 v6, 0xff, v6, v11
	s_delay_alu instid0(VALU_DEP_3) | instskip(SKIP_1) | instid1(VALU_DEP_3)
	v_lshlrev_b32_e32 v11, 16, v4
	v_lshlrev_b64 v[3:4], 2, v[0:1]
	v_lshlrev_b32_e32 v6, 8, v6
	s_delay_alu instid0(VALU_DEP_3) | instskip(SKIP_1) | instid1(VALU_DEP_4)
	v_or3_b32 v5, v5, v2, v11
	v_add_nc_u32_e32 v2, s16, v0
	v_add_co_u32 v3, vcc_lo, s0, v3
	v_add_co_ci_u32_e32 v4, vcc_lo, s1, v4, vcc_lo
	s_delay_alu instid0(VALU_DEP_4)
	v_or3_b32 v5, v5, v6, v7
	global_store_b32 v[3:4], v5, off
	v_cmpx_gt_u32_e64 s11, v2
	s_cbranch_execz .LBB15_78
; %bb.104:                              ;   in Loop: Header=BB15_79 Depth=1
	v_mov_b32_e32 v3, v1
	s_mov_b32 s8, exec_lo
	s_delay_alu instid0(VALU_DEP_1) | instskip(NEXT) | instid1(VALU_DEP_1)
	v_lshlrev_b64 v[4:5], 3, v[2:3]
	v_add_co_u32 v6, vcc_lo, s9, v4
	s_delay_alu instid0(VALU_DEP_2)
	v_add_co_ci_u32_e32 v7, vcc_lo, s10, v5, vcc_lo
	v_add_co_u32 v4, vcc_lo, s18, v4
	v_add_co_ci_u32_e32 v5, vcc_lo, s19, v5, vcc_lo
	global_load_b64 v[6:7], v[6:7], off
	global_load_b64 v[4:5], v[4:5], off
	s_waitcnt vmcnt(1)
	v_lshlrev_b32_e32 v8, 16, v6
	s_waitcnt vmcnt(0)
	v_lshlrev_b32_e32 v12, 16, v4
	s_delay_alu instid0(VALU_DEP_2) | instskip(NEXT) | instid1(VALU_DEP_1)
	v_mul_f32_e32 v8, v9, v8
	v_bfe_u32 v11, v8, 16, 1
	s_delay_alu instid0(VALU_DEP_1) | instskip(NEXT) | instid1(VALU_DEP_1)
	v_add3_u32 v11, v8, v11, 0x7fff
	v_and_b32_e32 v11, 0xffff0000, v11
	v_cmp_o_f32_e32 vcc_lo, v8, v8
	s_delay_alu instid0(VALU_DEP_2) | instskip(NEXT) | instid1(VALU_DEP_1)
	v_cndmask_b32_e32 v8, 0x7fc00000, v11, vcc_lo
	v_mul_f32_e32 v8, v8, v12
	s_delay_alu instid0(VALU_DEP_1) | instskip(NEXT) | instid1(VALU_DEP_1)
	v_bfe_u32 v11, v8, 16, 1
	v_add3_u32 v11, v8, v11, 0x7fff
	s_delay_alu instid0(VALU_DEP_1) | instskip(SKIP_1) | instid1(VALU_DEP_2)
	v_and_b32_e32 v11, 0xffff0000, v11
	v_cmp_o_f32_e32 vcc_lo, v8, v8
	v_cndmask_b32_e32 v8, 0x7fc00000, v11, vcc_lo
	s_delay_alu instid0(VALU_DEP_1) | instskip(SKIP_1) | instid1(VALU_DEP_2)
	v_div_scale_f32 v11, null, v10, v10, v8
	v_div_scale_f32 v14, vcc_lo, v8, v10, v8
	v_rcp_f32_e32 v12, v11
	s_waitcnt_depctr 0xfff
	v_fma_f32 v13, -v11, v12, 1.0
	s_delay_alu instid0(VALU_DEP_1) | instskip(NEXT) | instid1(VALU_DEP_1)
	v_fmac_f32_e32 v12, v13, v12
	v_mul_f32_e32 v13, v14, v12
	s_delay_alu instid0(VALU_DEP_1) | instskip(NEXT) | instid1(VALU_DEP_1)
	v_fma_f32 v15, -v11, v13, v14
	v_fmac_f32_e32 v13, v15, v12
	s_delay_alu instid0(VALU_DEP_1) | instskip(NEXT) | instid1(VALU_DEP_1)
	v_fma_f32 v11, -v11, v13, v14
	v_div_fmas_f32 v11, v11, v12, v13
	s_delay_alu instid0(VALU_DEP_1) | instskip(SKIP_1) | instid1(VALU_DEP_2)
	v_div_fixup_f32 v8, v11, v10, v8
	v_mov_b32_e32 v11, 0x7f
	v_minmax_f32 v12, v8, s5, 0xc3e00000
	v_mov_b32_e32 v8, 0x7f
	s_delay_alu instid0(VALU_DEP_2) | instskip(NEXT) | instid1(VALU_DEP_1)
	v_and_b32_e32 v13, 0x7fffffff, v12
	v_cmpx_gt_u32_e32 0x43f00000, v13
	s_cbranch_execz .LBB15_110
; %bb.105:                              ;   in Loop: Header=BB15_79 Depth=1
	s_mov_b32 s12, exec_lo
                                        ; implicit-def: $vgpr11
	v_cmpx_lt_u32_e32 0x3c7fffff, v13
	s_xor_b32 s12, exec_lo, s12
; %bb.106:                              ;   in Loop: Header=BB15_79 Depth=1
	v_bfe_u32 v11, v12, 20, 1
	s_delay_alu instid0(VALU_DEP_1) | instskip(NEXT) | instid1(VALU_DEP_1)
	v_add3_u32 v11, v12, v11, 0x407ffff
	v_lshrrev_b32_e32 v11, 20, v11
; %bb.107:                              ;   in Loop: Header=BB15_79 Depth=1
	s_and_not1_saveexec_b32 s12, s12
; %bb.108:                              ;   in Loop: Header=BB15_79 Depth=1
	v_add_f32_e64 v11, 0x46800000, |v12|
; %bb.109:                              ;   in Loop: Header=BB15_79 Depth=1
	s_or_b32 exec_lo, exec_lo, s12
.LBB15_110:                             ;   in Loop: Header=BB15_79 Depth=1
	s_delay_alu instid0(SALU_CYCLE_1) | instskip(SKIP_3) | instid1(VALU_DEP_2)
	s_or_b32 exec_lo, exec_lo, s8
	v_and_b32_e32 v13, 0xffff0000, v6
	v_and_b32_e32 v15, 0xffff0000, v4
	s_mov_b32 s8, exec_lo
	v_mul_f32_e32 v13, v9, v13
	s_delay_alu instid0(VALU_DEP_1) | instskip(NEXT) | instid1(VALU_DEP_1)
	v_bfe_u32 v14, v13, 16, 1
	v_add3_u32 v14, v13, v14, 0x7fff
	s_delay_alu instid0(VALU_DEP_1) | instskip(SKIP_1) | instid1(VALU_DEP_2)
	v_and_b32_e32 v14, 0xffff0000, v14
	v_cmp_o_f32_e32 vcc_lo, v13, v13
	v_cndmask_b32_e32 v13, 0x7fc00000, v14, vcc_lo
	s_delay_alu instid0(VALU_DEP_1) | instskip(NEXT) | instid1(VALU_DEP_1)
	v_mul_f32_e32 v13, v13, v15
	v_bfe_u32 v14, v13, 16, 1
	s_delay_alu instid0(VALU_DEP_1) | instskip(NEXT) | instid1(VALU_DEP_1)
	v_add3_u32 v14, v13, v14, 0x7fff
	v_and_b32_e32 v14, 0xffff0000, v14
	v_cmp_o_f32_e32 vcc_lo, v13, v13
	s_delay_alu instid0(VALU_DEP_2) | instskip(NEXT) | instid1(VALU_DEP_1)
	v_cndmask_b32_e32 v13, 0x7fc00000, v14, vcc_lo
	v_div_scale_f32 v14, null, v10, v10, v13
	s_delay_alu instid0(VALU_DEP_1) | instskip(SKIP_2) | instid1(VALU_DEP_1)
	v_rcp_f32_e32 v15, v14
	s_waitcnt_depctr 0xfff
	v_fma_f32 v16, -v14, v15, 1.0
	v_fmac_f32_e32 v15, v16, v15
	v_div_scale_f32 v16, vcc_lo, v13, v10, v13
	s_delay_alu instid0(VALU_DEP_1) | instskip(NEXT) | instid1(VALU_DEP_1)
	v_mul_f32_e32 v17, v16, v15
	v_fma_f32 v18, -v14, v17, v16
	s_delay_alu instid0(VALU_DEP_1) | instskip(NEXT) | instid1(VALU_DEP_1)
	v_fmac_f32_e32 v17, v18, v15
	v_fma_f32 v14, -v14, v17, v16
	s_delay_alu instid0(VALU_DEP_1) | instskip(NEXT) | instid1(VALU_DEP_1)
	v_div_fmas_f32 v14, v14, v15, v17
	v_div_fixup_f32 v13, v14, v10, v13
	s_delay_alu instid0(VALU_DEP_1) | instskip(NEXT) | instid1(VALU_DEP_1)
	v_minmax_f32 v13, v13, s5, 0xc3e00000
	v_and_b32_e32 v14, 0x7fffffff, v13
	s_delay_alu instid0(VALU_DEP_1)
	v_cmpx_gt_u32_e32 0x43f00000, v14
	s_cbranch_execz .LBB15_116
; %bb.111:                              ;   in Loop: Header=BB15_79 Depth=1
	s_mov_b32 s12, exec_lo
                                        ; implicit-def: $vgpr8
	v_cmpx_lt_u32_e32 0x3c7fffff, v14
	s_xor_b32 s12, exec_lo, s12
; %bb.112:                              ;   in Loop: Header=BB15_79 Depth=1
	v_bfe_u32 v8, v13, 20, 1
	s_delay_alu instid0(VALU_DEP_1) | instskip(NEXT) | instid1(VALU_DEP_1)
	v_add3_u32 v8, v13, v8, 0x407ffff
	v_lshrrev_b32_e32 v8, 20, v8
; %bb.113:                              ;   in Loop: Header=BB15_79 Depth=1
	s_and_not1_saveexec_b32 s12, s12
; %bb.114:                              ;   in Loop: Header=BB15_79 Depth=1
	v_add_f32_e64 v8, 0x46800000, |v13|
; %bb.115:                              ;   in Loop: Header=BB15_79 Depth=1
	s_or_b32 exec_lo, exec_lo, s12
.LBB15_116:                             ;   in Loop: Header=BB15_79 Depth=1
	s_delay_alu instid0(SALU_CYCLE_1) | instskip(SKIP_3) | instid1(VALU_DEP_2)
	s_or_b32 exec_lo, exec_lo, s8
	v_alignbit_b32 v6, v7, v6, 16
	v_alignbit_b32 v4, v5, v4, 16
	s_mov_b32 s8, exec_lo
	v_and_b32_e32 v6, 0xffff0000, v6
	s_delay_alu instid0(VALU_DEP_2) | instskip(NEXT) | instid1(VALU_DEP_2)
	v_and_b32_e32 v4, 0xffff0000, v4
	v_mul_f32_e32 v6, v9, v6
	s_delay_alu instid0(VALU_DEP_1) | instskip(SKIP_1) | instid1(VALU_DEP_2)
	v_bfe_u32 v14, v6, 16, 1
	v_cmp_o_f32_e32 vcc_lo, v6, v6
	v_add3_u32 v14, v6, v14, 0x7fff
	s_delay_alu instid0(VALU_DEP_1) | instskip(NEXT) | instid1(VALU_DEP_1)
	v_and_b32_e32 v14, 0xffff0000, v14
	v_cndmask_b32_e32 v6, 0x7fc00000, v14, vcc_lo
	s_delay_alu instid0(VALU_DEP_1) | instskip(NEXT) | instid1(VALU_DEP_1)
	v_mul_f32_e32 v4, v6, v4
	v_bfe_u32 v6, v4, 16, 1
	v_cmp_o_f32_e32 vcc_lo, v4, v4
	s_delay_alu instid0(VALU_DEP_2) | instskip(NEXT) | instid1(VALU_DEP_1)
	v_add3_u32 v6, v4, v6, 0x7fff
	v_and_b32_e32 v6, 0xffff0000, v6
	s_delay_alu instid0(VALU_DEP_1) | instskip(NEXT) | instid1(VALU_DEP_1)
	v_cndmask_b32_e32 v4, 0x7fc00000, v6, vcc_lo
	v_div_scale_f32 v6, null, v10, v10, v4
	v_div_scale_f32 v16, vcc_lo, v4, v10, v4
	s_delay_alu instid0(VALU_DEP_2) | instskip(SKIP_2) | instid1(VALU_DEP_1)
	v_rcp_f32_e32 v14, v6
	s_waitcnt_depctr 0xfff
	v_fma_f32 v15, -v6, v14, 1.0
	v_fmac_f32_e32 v14, v15, v14
	s_delay_alu instid0(VALU_DEP_1) | instskip(NEXT) | instid1(VALU_DEP_1)
	v_mul_f32_e32 v15, v16, v14
	v_fma_f32 v17, -v6, v15, v16
	s_delay_alu instid0(VALU_DEP_1) | instskip(NEXT) | instid1(VALU_DEP_1)
	v_fmac_f32_e32 v15, v17, v14
	v_fma_f32 v6, -v6, v15, v16
	s_delay_alu instid0(VALU_DEP_1) | instskip(NEXT) | instid1(VALU_DEP_1)
	v_div_fmas_f32 v6, v6, v14, v15
	v_div_fixup_f32 v4, v6, v10, v4
	v_mov_b32_e32 v6, 0x7f
	s_delay_alu instid0(VALU_DEP_2) | instskip(SKIP_1) | instid1(VALU_DEP_2)
	v_minmax_f32 v14, v4, s5, 0xc3e00000
	v_mov_b32_e32 v4, 0x7f
	v_and_b32_e32 v15, 0x7fffffff, v14
	s_delay_alu instid0(VALU_DEP_1)
	v_cmpx_gt_u32_e32 0x43f00000, v15
	s_cbranch_execz .LBB15_122
; %bb.117:                              ;   in Loop: Header=BB15_79 Depth=1
	s_mov_b32 s12, exec_lo
                                        ; implicit-def: $vgpr6
	v_cmpx_lt_u32_e32 0x3c7fffff, v15
	s_xor_b32 s12, exec_lo, s12
; %bb.118:                              ;   in Loop: Header=BB15_79 Depth=1
	v_bfe_u32 v6, v14, 20, 1
	s_delay_alu instid0(VALU_DEP_1) | instskip(NEXT) | instid1(VALU_DEP_1)
	v_add3_u32 v6, v14, v6, 0x407ffff
	v_lshrrev_b32_e32 v6, 20, v6
; %bb.119:                              ;   in Loop: Header=BB15_79 Depth=1
	s_and_not1_saveexec_b32 s12, s12
; %bb.120:                              ;   in Loop: Header=BB15_79 Depth=1
	v_add_f32_e64 v6, 0x46800000, |v14|
; %bb.121:                              ;   in Loop: Header=BB15_79 Depth=1
	s_or_b32 exec_lo, exec_lo, s12
.LBB15_122:                             ;   in Loop: Header=BB15_79 Depth=1
	s_delay_alu instid0(SALU_CYCLE_1) | instskip(SKIP_3) | instid1(VALU_DEP_2)
	s_or_b32 exec_lo, exec_lo, s8
	v_and_b32_e32 v7, 0xffff0000, v7
	v_and_b32_e32 v5, 0xffff0000, v5
	s_mov_b32 s8, exec_lo
	v_mul_f32_e32 v7, v9, v7
	s_delay_alu instid0(VALU_DEP_1) | instskip(SKIP_1) | instid1(VALU_DEP_2)
	v_bfe_u32 v15, v7, 16, 1
	v_cmp_o_f32_e32 vcc_lo, v7, v7
	v_add3_u32 v15, v7, v15, 0x7fff
	s_delay_alu instid0(VALU_DEP_1) | instskip(NEXT) | instid1(VALU_DEP_1)
	v_and_b32_e32 v15, 0xffff0000, v15
	v_cndmask_b32_e32 v7, 0x7fc00000, v15, vcc_lo
	s_delay_alu instid0(VALU_DEP_1) | instskip(NEXT) | instid1(VALU_DEP_1)
	v_mul_f32_e32 v5, v7, v5
	v_bfe_u32 v7, v5, 16, 1
	v_cmp_o_f32_e32 vcc_lo, v5, v5
	s_delay_alu instid0(VALU_DEP_2) | instskip(NEXT) | instid1(VALU_DEP_1)
	v_add3_u32 v7, v5, v7, 0x7fff
	v_and_b32_e32 v7, 0xffff0000, v7
	s_delay_alu instid0(VALU_DEP_1) | instskip(NEXT) | instid1(VALU_DEP_1)
	v_cndmask_b32_e32 v5, 0x7fc00000, v7, vcc_lo
	v_div_scale_f32 v7, null, v10, v10, v5
	s_delay_alu instid0(VALU_DEP_1) | instskip(SKIP_2) | instid1(VALU_DEP_1)
	v_rcp_f32_e32 v15, v7
	s_waitcnt_depctr 0xfff
	v_fma_f32 v16, -v7, v15, 1.0
	v_fmac_f32_e32 v15, v16, v15
	v_div_scale_f32 v16, vcc_lo, v5, v10, v5
	s_delay_alu instid0(VALU_DEP_1) | instskip(NEXT) | instid1(VALU_DEP_1)
	v_mul_f32_e32 v17, v16, v15
	v_fma_f32 v18, -v7, v17, v16
	s_delay_alu instid0(VALU_DEP_1) | instskip(NEXT) | instid1(VALU_DEP_1)
	v_fmac_f32_e32 v17, v18, v15
	v_fma_f32 v7, -v7, v17, v16
	s_delay_alu instid0(VALU_DEP_1) | instskip(NEXT) | instid1(VALU_DEP_1)
	v_div_fmas_f32 v7, v7, v15, v17
	v_div_fixup_f32 v5, v7, v10, v5
	s_delay_alu instid0(VALU_DEP_1) | instskip(NEXT) | instid1(VALU_DEP_1)
	v_minmax_f32 v5, v5, s5, 0xc3e00000
	v_and_b32_e32 v7, 0x7fffffff, v5
	s_delay_alu instid0(VALU_DEP_1)
	v_cmpx_gt_u32_e32 0x43f00000, v7
	s_cbranch_execz .LBB15_128
; %bb.123:                              ;   in Loop: Header=BB15_79 Depth=1
	s_mov_b32 s12, exec_lo
                                        ; implicit-def: $vgpr4
	v_cmpx_lt_u32_e32 0x3c7fffff, v7
	s_xor_b32 s12, exec_lo, s12
; %bb.124:                              ;   in Loop: Header=BB15_79 Depth=1
	v_bfe_u32 v4, v5, 20, 1
	s_delay_alu instid0(VALU_DEP_1) | instskip(NEXT) | instid1(VALU_DEP_1)
	v_add3_u32 v4, v5, v4, 0x407ffff
	v_lshrrev_b32_e32 v4, 20, v4
; %bb.125:                              ;   in Loop: Header=BB15_79 Depth=1
	s_and_not1_saveexec_b32 s12, s12
; %bb.126:                              ;   in Loop: Header=BB15_79 Depth=1
	v_add_f32_e64 v4, 0x46800000, |v5|
; %bb.127:                              ;   in Loop: Header=BB15_79 Depth=1
	s_or_b32 exec_lo, exec_lo, s12
.LBB15_128:                             ;   in Loop: Header=BB15_79 Depth=1
	s_delay_alu instid0(SALU_CYCLE_1)
	s_or_b32 exec_lo, exec_lo, s8
	v_lshrrev_b32_e32 v7, 24, v14
	v_lshrrev_b32_e32 v13, 24, v13
	;; [unrolled: 1-line block ×3, first 2 shown]
	v_and_b32_e32 v14, 0x80000000, v5
	v_and_b32_e32 v11, 0xff, v11
	;; [unrolled: 1-line block ×4, first 2 shown]
	s_mov_b32 s12, -1
	s_mov_b32 s8, exec_lo
	v_and_or_b32 v11, 0x80, v12, v11
	v_and_or_b32 v6, 0xff, v6, v7
	v_lshlrev_b32_e32 v7, 24, v4
	v_and_or_b32 v8, 0xff, v8, v13
	v_lshlrev_b64 v[4:5], 2, v[2:3]
	v_add_nc_u32_e32 v3, s3, v0
	v_lshlrev_b32_e32 v6, 16, v6
	s_delay_alu instid0(VALU_DEP_4) | instskip(NEXT) | instid1(VALU_DEP_4)
	v_lshlrev_b32_e32 v8, 8, v8
	v_add_co_u32 v4, vcc_lo, s0, v4
	s_delay_alu instid0(VALU_DEP_3) | instskip(SKIP_1) | instid1(VALU_DEP_2)
	v_or3_b32 v6, v14, v7, v6
	v_add_co_ci_u32_e32 v5, vcc_lo, s1, v5, vcc_lo
	v_or3_b32 v6, v6, v8, v11
	global_store_b32 v[4:5], v6, off
	v_cmpx_gt_u32_e64 s11, v3
	s_cbranch_execz .LBB15_77
; %bb.129:                              ;   in Loop: Header=BB15_79 Depth=1
	v_mov_b32_e32 v4, v1
	s_mov_b32 s12, exec_lo
	s_delay_alu instid0(VALU_DEP_1) | instskip(NEXT) | instid1(VALU_DEP_1)
	v_lshlrev_b64 v[5:6], 3, v[3:4]
	v_add_co_u32 v7, vcc_lo, s9, v5
	s_delay_alu instid0(VALU_DEP_2)
	v_add_co_ci_u32_e32 v8, vcc_lo, s10, v6, vcc_lo
	v_add_co_u32 v5, vcc_lo, s18, v5
	v_add_co_ci_u32_e32 v6, vcc_lo, s19, v6, vcc_lo
	global_load_b64 v[7:8], v[7:8], off
	global_load_b64 v[5:6], v[5:6], off
	s_waitcnt vmcnt(1)
	v_lshlrev_b32_e32 v11, 16, v7
	s_waitcnt vmcnt(0)
	v_lshlrev_b32_e32 v13, 16, v5
	s_delay_alu instid0(VALU_DEP_2) | instskip(NEXT) | instid1(VALU_DEP_1)
	v_mul_f32_e32 v11, v9, v11
	v_bfe_u32 v12, v11, 16, 1
	s_delay_alu instid0(VALU_DEP_1) | instskip(NEXT) | instid1(VALU_DEP_1)
	v_add3_u32 v12, v11, v12, 0x7fff
	v_and_b32_e32 v12, 0xffff0000, v12
	v_cmp_o_f32_e32 vcc_lo, v11, v11
	s_delay_alu instid0(VALU_DEP_2) | instskip(NEXT) | instid1(VALU_DEP_1)
	v_cndmask_b32_e32 v11, 0x7fc00000, v12, vcc_lo
	v_mul_f32_e32 v11, v11, v13
	s_delay_alu instid0(VALU_DEP_1) | instskip(NEXT) | instid1(VALU_DEP_1)
	v_bfe_u32 v12, v11, 16, 1
	v_add3_u32 v12, v11, v12, 0x7fff
	s_delay_alu instid0(VALU_DEP_1) | instskip(SKIP_1) | instid1(VALU_DEP_2)
	v_and_b32_e32 v12, 0xffff0000, v12
	v_cmp_o_f32_e32 vcc_lo, v11, v11
	v_cndmask_b32_e32 v11, 0x7fc00000, v12, vcc_lo
	s_delay_alu instid0(VALU_DEP_1) | instskip(SKIP_1) | instid1(VALU_DEP_2)
	v_div_scale_f32 v12, null, v10, v10, v11
	v_div_scale_f32 v15, vcc_lo, v11, v10, v11
	v_rcp_f32_e32 v13, v12
	s_waitcnt_depctr 0xfff
	v_fma_f32 v14, -v12, v13, 1.0
	s_delay_alu instid0(VALU_DEP_1) | instskip(NEXT) | instid1(VALU_DEP_1)
	v_fmac_f32_e32 v13, v14, v13
	v_mul_f32_e32 v14, v15, v13
	s_delay_alu instid0(VALU_DEP_1) | instskip(NEXT) | instid1(VALU_DEP_1)
	v_fma_f32 v16, -v12, v14, v15
	v_fmac_f32_e32 v14, v16, v13
	s_delay_alu instid0(VALU_DEP_1) | instskip(NEXT) | instid1(VALU_DEP_1)
	v_fma_f32 v12, -v12, v14, v15
	v_div_fmas_f32 v12, v12, v13, v14
	s_delay_alu instid0(VALU_DEP_1) | instskip(SKIP_1) | instid1(VALU_DEP_2)
	v_div_fixup_f32 v11, v12, v10, v11
	v_mov_b32_e32 v12, 0x7f
	v_minmax_f32 v13, v11, s5, 0xc3e00000
	v_mov_b32_e32 v11, 0x7f
	s_delay_alu instid0(VALU_DEP_2) | instskip(NEXT) | instid1(VALU_DEP_1)
	v_and_b32_e32 v14, 0x7fffffff, v13
	v_cmpx_gt_u32_e32 0x43f00000, v14
	s_cbranch_execz .LBB15_135
; %bb.130:                              ;   in Loop: Header=BB15_79 Depth=1
	s_mov_b32 s13, exec_lo
                                        ; implicit-def: $vgpr12
	v_cmpx_lt_u32_e32 0x3c7fffff, v14
	s_xor_b32 s13, exec_lo, s13
; %bb.131:                              ;   in Loop: Header=BB15_79 Depth=1
	v_bfe_u32 v12, v13, 20, 1
	s_delay_alu instid0(VALU_DEP_1) | instskip(NEXT) | instid1(VALU_DEP_1)
	v_add3_u32 v12, v13, v12, 0x407ffff
	v_lshrrev_b32_e32 v12, 20, v12
; %bb.132:                              ;   in Loop: Header=BB15_79 Depth=1
	s_and_not1_saveexec_b32 s13, s13
; %bb.133:                              ;   in Loop: Header=BB15_79 Depth=1
	v_add_f32_e64 v12, 0x46800000, |v13|
; %bb.134:                              ;   in Loop: Header=BB15_79 Depth=1
	s_or_b32 exec_lo, exec_lo, s13
.LBB15_135:                             ;   in Loop: Header=BB15_79 Depth=1
	s_delay_alu instid0(SALU_CYCLE_1) | instskip(SKIP_3) | instid1(VALU_DEP_2)
	s_or_b32 exec_lo, exec_lo, s12
	v_and_b32_e32 v14, 0xffff0000, v7
	v_and_b32_e32 v16, 0xffff0000, v5
	s_mov_b32 s12, exec_lo
	v_mul_f32_e32 v14, v9, v14
	s_delay_alu instid0(VALU_DEP_1) | instskip(NEXT) | instid1(VALU_DEP_1)
	v_bfe_u32 v15, v14, 16, 1
	v_add3_u32 v15, v14, v15, 0x7fff
	s_delay_alu instid0(VALU_DEP_1) | instskip(SKIP_1) | instid1(VALU_DEP_2)
	v_and_b32_e32 v15, 0xffff0000, v15
	v_cmp_o_f32_e32 vcc_lo, v14, v14
	v_cndmask_b32_e32 v14, 0x7fc00000, v15, vcc_lo
	s_delay_alu instid0(VALU_DEP_1) | instskip(NEXT) | instid1(VALU_DEP_1)
	v_mul_f32_e32 v14, v14, v16
	v_bfe_u32 v15, v14, 16, 1
	s_delay_alu instid0(VALU_DEP_1) | instskip(NEXT) | instid1(VALU_DEP_1)
	v_add3_u32 v15, v14, v15, 0x7fff
	v_and_b32_e32 v15, 0xffff0000, v15
	v_cmp_o_f32_e32 vcc_lo, v14, v14
	s_delay_alu instid0(VALU_DEP_2) | instskip(NEXT) | instid1(VALU_DEP_1)
	v_cndmask_b32_e32 v14, 0x7fc00000, v15, vcc_lo
	v_div_scale_f32 v15, null, v10, v10, v14
	s_delay_alu instid0(VALU_DEP_1) | instskip(SKIP_2) | instid1(VALU_DEP_1)
	v_rcp_f32_e32 v16, v15
	s_waitcnt_depctr 0xfff
	v_fma_f32 v17, -v15, v16, 1.0
	v_fmac_f32_e32 v16, v17, v16
	v_div_scale_f32 v17, vcc_lo, v14, v10, v14
	s_delay_alu instid0(VALU_DEP_1) | instskip(NEXT) | instid1(VALU_DEP_1)
	v_mul_f32_e32 v18, v17, v16
	v_fma_f32 v19, -v15, v18, v17
	s_delay_alu instid0(VALU_DEP_1) | instskip(NEXT) | instid1(VALU_DEP_1)
	v_fmac_f32_e32 v18, v19, v16
	v_fma_f32 v15, -v15, v18, v17
	s_delay_alu instid0(VALU_DEP_1) | instskip(NEXT) | instid1(VALU_DEP_1)
	v_div_fmas_f32 v15, v15, v16, v18
	v_div_fixup_f32 v14, v15, v10, v14
	s_delay_alu instid0(VALU_DEP_1) | instskip(NEXT) | instid1(VALU_DEP_1)
	v_minmax_f32 v14, v14, s5, 0xc3e00000
	v_and_b32_e32 v15, 0x7fffffff, v14
	s_delay_alu instid0(VALU_DEP_1)
	v_cmpx_gt_u32_e32 0x43f00000, v15
	s_cbranch_execz .LBB15_141
; %bb.136:                              ;   in Loop: Header=BB15_79 Depth=1
	s_mov_b32 s13, exec_lo
                                        ; implicit-def: $vgpr11
	v_cmpx_lt_u32_e32 0x3c7fffff, v15
	s_xor_b32 s13, exec_lo, s13
; %bb.137:                              ;   in Loop: Header=BB15_79 Depth=1
	v_bfe_u32 v11, v14, 20, 1
	s_delay_alu instid0(VALU_DEP_1) | instskip(NEXT) | instid1(VALU_DEP_1)
	v_add3_u32 v11, v14, v11, 0x407ffff
	v_lshrrev_b32_e32 v11, 20, v11
; %bb.138:                              ;   in Loop: Header=BB15_79 Depth=1
	s_and_not1_saveexec_b32 s13, s13
; %bb.139:                              ;   in Loop: Header=BB15_79 Depth=1
	v_add_f32_e64 v11, 0x46800000, |v14|
; %bb.140:                              ;   in Loop: Header=BB15_79 Depth=1
	s_or_b32 exec_lo, exec_lo, s13
.LBB15_141:                             ;   in Loop: Header=BB15_79 Depth=1
	s_delay_alu instid0(SALU_CYCLE_1) | instskip(SKIP_3) | instid1(VALU_DEP_2)
	s_or_b32 exec_lo, exec_lo, s12
	v_alignbit_b32 v7, v8, v7, 16
	v_alignbit_b32 v5, v6, v5, 16
	s_mov_b32 s12, exec_lo
	v_and_b32_e32 v7, 0xffff0000, v7
	s_delay_alu instid0(VALU_DEP_2) | instskip(NEXT) | instid1(VALU_DEP_2)
	v_and_b32_e32 v5, 0xffff0000, v5
	v_mul_f32_e32 v7, v9, v7
	s_delay_alu instid0(VALU_DEP_1) | instskip(SKIP_1) | instid1(VALU_DEP_2)
	v_bfe_u32 v15, v7, 16, 1
	v_cmp_o_f32_e32 vcc_lo, v7, v7
	v_add3_u32 v15, v7, v15, 0x7fff
	s_delay_alu instid0(VALU_DEP_1) | instskip(NEXT) | instid1(VALU_DEP_1)
	v_and_b32_e32 v15, 0xffff0000, v15
	v_cndmask_b32_e32 v7, 0x7fc00000, v15, vcc_lo
	s_delay_alu instid0(VALU_DEP_1) | instskip(NEXT) | instid1(VALU_DEP_1)
	v_mul_f32_e32 v5, v7, v5
	v_bfe_u32 v7, v5, 16, 1
	v_cmp_o_f32_e32 vcc_lo, v5, v5
	s_delay_alu instid0(VALU_DEP_2) | instskip(NEXT) | instid1(VALU_DEP_1)
	v_add3_u32 v7, v5, v7, 0x7fff
	v_and_b32_e32 v7, 0xffff0000, v7
	s_delay_alu instid0(VALU_DEP_1) | instskip(NEXT) | instid1(VALU_DEP_1)
	v_cndmask_b32_e32 v5, 0x7fc00000, v7, vcc_lo
	v_div_scale_f32 v7, null, v10, v10, v5
	v_div_scale_f32 v17, vcc_lo, v5, v10, v5
	s_delay_alu instid0(VALU_DEP_2) | instskip(SKIP_2) | instid1(VALU_DEP_1)
	v_rcp_f32_e32 v15, v7
	s_waitcnt_depctr 0xfff
	v_fma_f32 v16, -v7, v15, 1.0
	v_fmac_f32_e32 v15, v16, v15
	s_delay_alu instid0(VALU_DEP_1) | instskip(NEXT) | instid1(VALU_DEP_1)
	v_mul_f32_e32 v16, v17, v15
	v_fma_f32 v18, -v7, v16, v17
	s_delay_alu instid0(VALU_DEP_1) | instskip(NEXT) | instid1(VALU_DEP_1)
	v_fmac_f32_e32 v16, v18, v15
	v_fma_f32 v7, -v7, v16, v17
	s_delay_alu instid0(VALU_DEP_1) | instskip(NEXT) | instid1(VALU_DEP_1)
	v_div_fmas_f32 v7, v7, v15, v16
	v_div_fixup_f32 v5, v7, v10, v5
	v_mov_b32_e32 v7, 0x7f
	s_delay_alu instid0(VALU_DEP_2) | instskip(SKIP_1) | instid1(VALU_DEP_2)
	v_minmax_f32 v15, v5, s5, 0xc3e00000
	v_mov_b32_e32 v5, 0x7f
	v_and_b32_e32 v16, 0x7fffffff, v15
	s_delay_alu instid0(VALU_DEP_1)
	v_cmpx_gt_u32_e32 0x43f00000, v16
	s_cbranch_execz .LBB15_147
; %bb.142:                              ;   in Loop: Header=BB15_79 Depth=1
	s_mov_b32 s13, exec_lo
                                        ; implicit-def: $vgpr7
	v_cmpx_lt_u32_e32 0x3c7fffff, v16
	s_xor_b32 s13, exec_lo, s13
; %bb.143:                              ;   in Loop: Header=BB15_79 Depth=1
	v_bfe_u32 v7, v15, 20, 1
	s_delay_alu instid0(VALU_DEP_1) | instskip(NEXT) | instid1(VALU_DEP_1)
	v_add3_u32 v7, v15, v7, 0x407ffff
	v_lshrrev_b32_e32 v7, 20, v7
; %bb.144:                              ;   in Loop: Header=BB15_79 Depth=1
	s_and_not1_saveexec_b32 s13, s13
; %bb.145:                              ;   in Loop: Header=BB15_79 Depth=1
	v_add_f32_e64 v7, 0x46800000, |v15|
; %bb.146:                              ;   in Loop: Header=BB15_79 Depth=1
	s_or_b32 exec_lo, exec_lo, s13
.LBB15_147:                             ;   in Loop: Header=BB15_79 Depth=1
	s_delay_alu instid0(SALU_CYCLE_1) | instskip(SKIP_3) | instid1(VALU_DEP_2)
	s_or_b32 exec_lo, exec_lo, s12
	v_and_b32_e32 v8, 0xffff0000, v8
	v_and_b32_e32 v6, 0xffff0000, v6
	s_mov_b32 s12, exec_lo
	v_mul_f32_e32 v8, v9, v8
	s_delay_alu instid0(VALU_DEP_1) | instskip(SKIP_1) | instid1(VALU_DEP_2)
	v_bfe_u32 v16, v8, 16, 1
	v_cmp_o_f32_e32 vcc_lo, v8, v8
	v_add3_u32 v16, v8, v16, 0x7fff
	s_delay_alu instid0(VALU_DEP_1) | instskip(NEXT) | instid1(VALU_DEP_1)
	v_and_b32_e32 v16, 0xffff0000, v16
	v_cndmask_b32_e32 v8, 0x7fc00000, v16, vcc_lo
	s_delay_alu instid0(VALU_DEP_1) | instskip(NEXT) | instid1(VALU_DEP_1)
	v_mul_f32_e32 v6, v8, v6
	v_bfe_u32 v8, v6, 16, 1
	v_cmp_o_f32_e32 vcc_lo, v6, v6
	s_delay_alu instid0(VALU_DEP_2) | instskip(NEXT) | instid1(VALU_DEP_1)
	v_add3_u32 v8, v6, v8, 0x7fff
	v_and_b32_e32 v8, 0xffff0000, v8
	s_delay_alu instid0(VALU_DEP_1) | instskip(NEXT) | instid1(VALU_DEP_1)
	v_cndmask_b32_e32 v6, 0x7fc00000, v8, vcc_lo
	v_div_scale_f32 v8, null, v10, v10, v6
	s_delay_alu instid0(VALU_DEP_1) | instskip(SKIP_2) | instid1(VALU_DEP_1)
	v_rcp_f32_e32 v16, v8
	s_waitcnt_depctr 0xfff
	v_fma_f32 v17, -v8, v16, 1.0
	v_fmac_f32_e32 v16, v17, v16
	v_div_scale_f32 v17, vcc_lo, v6, v10, v6
	s_delay_alu instid0(VALU_DEP_1) | instskip(NEXT) | instid1(VALU_DEP_1)
	v_mul_f32_e32 v18, v17, v16
	v_fma_f32 v19, -v8, v18, v17
	s_delay_alu instid0(VALU_DEP_1) | instskip(NEXT) | instid1(VALU_DEP_1)
	v_fmac_f32_e32 v18, v19, v16
	v_fma_f32 v8, -v8, v18, v17
	s_delay_alu instid0(VALU_DEP_1) | instskip(NEXT) | instid1(VALU_DEP_1)
	v_div_fmas_f32 v8, v8, v16, v18
	v_div_fixup_f32 v6, v8, v10, v6
	s_delay_alu instid0(VALU_DEP_1) | instskip(NEXT) | instid1(VALU_DEP_1)
	v_minmax_f32 v6, v6, s5, 0xc3e00000
	v_and_b32_e32 v8, 0x7fffffff, v6
	s_delay_alu instid0(VALU_DEP_1)
	v_cmpx_gt_u32_e32 0x43f00000, v8
	s_cbranch_execz .LBB15_153
; %bb.148:                              ;   in Loop: Header=BB15_79 Depth=1
	s_mov_b32 s13, exec_lo
                                        ; implicit-def: $vgpr5
	v_cmpx_lt_u32_e32 0x3c7fffff, v8
	s_xor_b32 s13, exec_lo, s13
; %bb.149:                              ;   in Loop: Header=BB15_79 Depth=1
	v_bfe_u32 v5, v6, 20, 1
	s_delay_alu instid0(VALU_DEP_1) | instskip(NEXT) | instid1(VALU_DEP_1)
	v_add3_u32 v5, v6, v5, 0x407ffff
	v_lshrrev_b32_e32 v5, 20, v5
; %bb.150:                              ;   in Loop: Header=BB15_79 Depth=1
	s_and_not1_saveexec_b32 s13, s13
; %bb.151:                              ;   in Loop: Header=BB15_79 Depth=1
	v_add_f32_e64 v5, 0x46800000, |v6|
; %bb.152:                              ;   in Loop: Header=BB15_79 Depth=1
	s_or_b32 exec_lo, exec_lo, s13
.LBB15_153:                             ;   in Loop: Header=BB15_79 Depth=1
	s_delay_alu instid0(SALU_CYCLE_1)
	s_or_b32 exec_lo, exec_lo, s12
	v_lshrrev_b32_e32 v8, 24, v15
	v_lshrrev_b32_e32 v14, 24, v14
	;; [unrolled: 1-line block ×3, first 2 shown]
	v_lshlrev_b32_e32 v5, 24, v5
	v_and_b32_e32 v6, 0x80000000, v6
	v_and_b32_e32 v8, 0x80, v8
	;; [unrolled: 1-line block ×3, first 2 shown]
	v_lshlrev_b64 v[3:4], 2, v[3:4]
	v_add_nc_u32_e32 v0, s2, v0
	s_mov_b32 s13, -1
	v_and_or_b32 v7, 0xff, v7, v8
	v_and_b32_e32 v8, 0xff, v12
	v_and_or_b32 v11, 0xff, v11, v14
	v_add_co_u32 v3, vcc_lo, s0, v3
	s_delay_alu instid0(VALU_DEP_4) | instskip(NEXT) | instid1(VALU_DEP_4)
	v_lshlrev_b32_e32 v7, 16, v7
	v_and_or_b32 v8, 0x80, v13, v8
	s_delay_alu instid0(VALU_DEP_4) | instskip(SKIP_1) | instid1(VALU_DEP_4)
	v_lshlrev_b32_e32 v11, 8, v11
	v_add_co_ci_u32_e32 v4, vcc_lo, s1, v4, vcc_lo
	v_or3_b32 v5, v6, v5, v7
	s_mov_b32 s12, exec_lo
	s_delay_alu instid0(VALU_DEP_1)
	v_or3_b32 v5, v5, v11, v8
	global_store_b32 v[3:4], v5, off
	v_cmpx_gt_u32_e64 s11, v0
	s_cbranch_execz .LBB15_76
; %bb.154:                              ;   in Loop: Header=BB15_79 Depth=1
	v_lshlrev_b64 v[3:4], 3, v[0:1]
	s_mov_b32 s13, exec_lo
	s_delay_alu instid0(VALU_DEP_1) | instskip(NEXT) | instid1(VALU_DEP_2)
	v_add_co_u32 v5, vcc_lo, s9, v3
	v_add_co_ci_u32_e32 v6, vcc_lo, s10, v4, vcc_lo
	v_add_co_u32 v3, vcc_lo, s18, v3
	v_add_co_ci_u32_e32 v4, vcc_lo, s19, v4, vcc_lo
	global_load_b64 v[5:6], v[5:6], off
	global_load_b64 v[3:4], v[3:4], off
	s_waitcnt vmcnt(1)
	v_lshlrev_b32_e32 v7, 16, v5
	s_waitcnt vmcnt(0)
	v_lshlrev_b32_e32 v11, 16, v3
	s_delay_alu instid0(VALU_DEP_2) | instskip(NEXT) | instid1(VALU_DEP_1)
	v_mul_f32_e32 v7, v9, v7
	v_bfe_u32 v8, v7, 16, 1
	s_delay_alu instid0(VALU_DEP_1) | instskip(NEXT) | instid1(VALU_DEP_1)
	v_add3_u32 v8, v7, v8, 0x7fff
	v_and_b32_e32 v8, 0xffff0000, v8
	v_cmp_o_f32_e32 vcc_lo, v7, v7
	s_delay_alu instid0(VALU_DEP_2) | instskip(NEXT) | instid1(VALU_DEP_1)
	v_cndmask_b32_e32 v7, 0x7fc00000, v8, vcc_lo
	v_mul_f32_e32 v7, v7, v11
	s_delay_alu instid0(VALU_DEP_1) | instskip(NEXT) | instid1(VALU_DEP_1)
	v_bfe_u32 v8, v7, 16, 1
	v_add3_u32 v8, v7, v8, 0x7fff
	s_delay_alu instid0(VALU_DEP_1) | instskip(SKIP_1) | instid1(VALU_DEP_2)
	v_and_b32_e32 v8, 0xffff0000, v8
	v_cmp_o_f32_e32 vcc_lo, v7, v7
	v_cndmask_b32_e32 v7, 0x7fc00000, v8, vcc_lo
	s_delay_alu instid0(VALU_DEP_1) | instskip(SKIP_1) | instid1(VALU_DEP_2)
	v_div_scale_f32 v8, null, v10, v10, v7
	v_div_scale_f32 v13, vcc_lo, v7, v10, v7
	v_rcp_f32_e32 v11, v8
	s_waitcnt_depctr 0xfff
	v_fma_f32 v12, -v8, v11, 1.0
	s_delay_alu instid0(VALU_DEP_1) | instskip(NEXT) | instid1(VALU_DEP_1)
	v_fmac_f32_e32 v11, v12, v11
	v_mul_f32_e32 v12, v13, v11
	s_delay_alu instid0(VALU_DEP_1) | instskip(NEXT) | instid1(VALU_DEP_1)
	v_fma_f32 v14, -v8, v12, v13
	v_fmac_f32_e32 v12, v14, v11
	s_delay_alu instid0(VALU_DEP_1) | instskip(NEXT) | instid1(VALU_DEP_1)
	v_fma_f32 v8, -v8, v12, v13
	v_div_fmas_f32 v8, v8, v11, v12
	s_delay_alu instid0(VALU_DEP_1) | instskip(SKIP_1) | instid1(VALU_DEP_2)
	v_div_fixup_f32 v7, v8, v10, v7
	v_mov_b32_e32 v8, 0x7f
	v_minmax_f32 v11, v7, s5, 0xc3e00000
	v_mov_b32_e32 v7, 0x7f
	s_delay_alu instid0(VALU_DEP_2) | instskip(NEXT) | instid1(VALU_DEP_1)
	v_and_b32_e32 v12, 0x7fffffff, v11
	v_cmpx_gt_u32_e32 0x43f00000, v12
	s_cbranch_execz .LBB15_160
; %bb.155:                              ;   in Loop: Header=BB15_79 Depth=1
	s_mov_b32 s14, exec_lo
                                        ; implicit-def: $vgpr8
	v_cmpx_lt_u32_e32 0x3c7fffff, v12
	s_xor_b32 s14, exec_lo, s14
; %bb.156:                              ;   in Loop: Header=BB15_79 Depth=1
	v_bfe_u32 v8, v11, 20, 1
	s_delay_alu instid0(VALU_DEP_1) | instskip(NEXT) | instid1(VALU_DEP_1)
	v_add3_u32 v8, v11, v8, 0x407ffff
	v_lshrrev_b32_e32 v8, 20, v8
; %bb.157:                              ;   in Loop: Header=BB15_79 Depth=1
	s_and_not1_saveexec_b32 s14, s14
; %bb.158:                              ;   in Loop: Header=BB15_79 Depth=1
	v_add_f32_e64 v8, 0x46800000, |v11|
; %bb.159:                              ;   in Loop: Header=BB15_79 Depth=1
	s_or_b32 exec_lo, exec_lo, s14
.LBB15_160:                             ;   in Loop: Header=BB15_79 Depth=1
	s_delay_alu instid0(SALU_CYCLE_1) | instskip(SKIP_3) | instid1(VALU_DEP_2)
	s_or_b32 exec_lo, exec_lo, s13
	v_and_b32_e32 v12, 0xffff0000, v5
	v_and_b32_e32 v14, 0xffff0000, v3
	s_mov_b32 s13, exec_lo
	v_mul_f32_e32 v12, v9, v12
	s_delay_alu instid0(VALU_DEP_1) | instskip(NEXT) | instid1(VALU_DEP_1)
	v_bfe_u32 v13, v12, 16, 1
	v_add3_u32 v13, v12, v13, 0x7fff
	s_delay_alu instid0(VALU_DEP_1) | instskip(SKIP_1) | instid1(VALU_DEP_2)
	v_and_b32_e32 v13, 0xffff0000, v13
	v_cmp_o_f32_e32 vcc_lo, v12, v12
	v_cndmask_b32_e32 v12, 0x7fc00000, v13, vcc_lo
	s_delay_alu instid0(VALU_DEP_1) | instskip(NEXT) | instid1(VALU_DEP_1)
	v_mul_f32_e32 v12, v12, v14
	v_bfe_u32 v13, v12, 16, 1
	s_delay_alu instid0(VALU_DEP_1) | instskip(NEXT) | instid1(VALU_DEP_1)
	v_add3_u32 v13, v12, v13, 0x7fff
	v_and_b32_e32 v13, 0xffff0000, v13
	v_cmp_o_f32_e32 vcc_lo, v12, v12
	s_delay_alu instid0(VALU_DEP_2) | instskip(NEXT) | instid1(VALU_DEP_1)
	v_cndmask_b32_e32 v12, 0x7fc00000, v13, vcc_lo
	v_div_scale_f32 v13, null, v10, v10, v12
	s_delay_alu instid0(VALU_DEP_1) | instskip(SKIP_2) | instid1(VALU_DEP_1)
	v_rcp_f32_e32 v14, v13
	s_waitcnt_depctr 0xfff
	v_fma_f32 v15, -v13, v14, 1.0
	v_fmac_f32_e32 v14, v15, v14
	v_div_scale_f32 v15, vcc_lo, v12, v10, v12
	s_delay_alu instid0(VALU_DEP_1) | instskip(NEXT) | instid1(VALU_DEP_1)
	v_mul_f32_e32 v16, v15, v14
	v_fma_f32 v17, -v13, v16, v15
	s_delay_alu instid0(VALU_DEP_1) | instskip(NEXT) | instid1(VALU_DEP_1)
	v_fmac_f32_e32 v16, v17, v14
	v_fma_f32 v13, -v13, v16, v15
	s_delay_alu instid0(VALU_DEP_1) | instskip(NEXT) | instid1(VALU_DEP_1)
	v_div_fmas_f32 v13, v13, v14, v16
	v_div_fixup_f32 v12, v13, v10, v12
	s_delay_alu instid0(VALU_DEP_1) | instskip(NEXT) | instid1(VALU_DEP_1)
	v_minmax_f32 v12, v12, s5, 0xc3e00000
	v_and_b32_e32 v13, 0x7fffffff, v12
	s_delay_alu instid0(VALU_DEP_1)
	v_cmpx_gt_u32_e32 0x43f00000, v13
	s_cbranch_execz .LBB15_166
; %bb.161:                              ;   in Loop: Header=BB15_79 Depth=1
	s_mov_b32 s14, exec_lo
                                        ; implicit-def: $vgpr7
	v_cmpx_lt_u32_e32 0x3c7fffff, v13
	s_xor_b32 s14, exec_lo, s14
; %bb.162:                              ;   in Loop: Header=BB15_79 Depth=1
	v_bfe_u32 v7, v12, 20, 1
	s_delay_alu instid0(VALU_DEP_1) | instskip(NEXT) | instid1(VALU_DEP_1)
	v_add3_u32 v7, v12, v7, 0x407ffff
	v_lshrrev_b32_e32 v7, 20, v7
; %bb.163:                              ;   in Loop: Header=BB15_79 Depth=1
	s_and_not1_saveexec_b32 s14, s14
; %bb.164:                              ;   in Loop: Header=BB15_79 Depth=1
	v_add_f32_e64 v7, 0x46800000, |v12|
; %bb.165:                              ;   in Loop: Header=BB15_79 Depth=1
	s_or_b32 exec_lo, exec_lo, s14
.LBB15_166:                             ;   in Loop: Header=BB15_79 Depth=1
	s_delay_alu instid0(SALU_CYCLE_1) | instskip(SKIP_3) | instid1(VALU_DEP_2)
	s_or_b32 exec_lo, exec_lo, s13
	v_alignbit_b32 v5, v6, v5, 16
	v_alignbit_b32 v3, v4, v3, 16
	s_mov_b32 s13, exec_lo
	v_and_b32_e32 v5, 0xffff0000, v5
	s_delay_alu instid0(VALU_DEP_2) | instskip(NEXT) | instid1(VALU_DEP_2)
	v_and_b32_e32 v3, 0xffff0000, v3
	v_mul_f32_e32 v5, v9, v5
	s_delay_alu instid0(VALU_DEP_1) | instskip(SKIP_1) | instid1(VALU_DEP_2)
	v_bfe_u32 v13, v5, 16, 1
	v_cmp_o_f32_e32 vcc_lo, v5, v5
	v_add3_u32 v13, v5, v13, 0x7fff
	s_delay_alu instid0(VALU_DEP_1) | instskip(NEXT) | instid1(VALU_DEP_1)
	v_and_b32_e32 v13, 0xffff0000, v13
	v_cndmask_b32_e32 v5, 0x7fc00000, v13, vcc_lo
	s_delay_alu instid0(VALU_DEP_1) | instskip(NEXT) | instid1(VALU_DEP_1)
	v_mul_f32_e32 v3, v5, v3
	v_bfe_u32 v5, v3, 16, 1
	v_cmp_o_f32_e32 vcc_lo, v3, v3
	s_delay_alu instid0(VALU_DEP_2) | instskip(NEXT) | instid1(VALU_DEP_1)
	v_add3_u32 v5, v3, v5, 0x7fff
	v_and_b32_e32 v5, 0xffff0000, v5
	s_delay_alu instid0(VALU_DEP_1) | instskip(NEXT) | instid1(VALU_DEP_1)
	v_cndmask_b32_e32 v3, 0x7fc00000, v5, vcc_lo
	v_div_scale_f32 v5, null, v10, v10, v3
	v_div_scale_f32 v15, vcc_lo, v3, v10, v3
	s_delay_alu instid0(VALU_DEP_2) | instskip(SKIP_2) | instid1(VALU_DEP_1)
	v_rcp_f32_e32 v13, v5
	s_waitcnt_depctr 0xfff
	v_fma_f32 v14, -v5, v13, 1.0
	v_fmac_f32_e32 v13, v14, v13
	s_delay_alu instid0(VALU_DEP_1) | instskip(NEXT) | instid1(VALU_DEP_1)
	v_mul_f32_e32 v14, v15, v13
	v_fma_f32 v16, -v5, v14, v15
	s_delay_alu instid0(VALU_DEP_1) | instskip(NEXT) | instid1(VALU_DEP_1)
	v_fmac_f32_e32 v14, v16, v13
	v_fma_f32 v5, -v5, v14, v15
	s_delay_alu instid0(VALU_DEP_1) | instskip(NEXT) | instid1(VALU_DEP_1)
	v_div_fmas_f32 v5, v5, v13, v14
	v_div_fixup_f32 v3, v5, v10, v3
	v_mov_b32_e32 v5, 0x7f
	s_delay_alu instid0(VALU_DEP_2) | instskip(SKIP_1) | instid1(VALU_DEP_2)
	v_minmax_f32 v13, v3, s5, 0xc3e00000
	v_mov_b32_e32 v3, 0x7f
	v_and_b32_e32 v14, 0x7fffffff, v13
	s_delay_alu instid0(VALU_DEP_1)
	v_cmpx_gt_u32_e32 0x43f00000, v14
	s_cbranch_execz .LBB15_172
; %bb.167:                              ;   in Loop: Header=BB15_79 Depth=1
	s_mov_b32 s14, exec_lo
                                        ; implicit-def: $vgpr5
	v_cmpx_lt_u32_e32 0x3c7fffff, v14
	s_xor_b32 s14, exec_lo, s14
; %bb.168:                              ;   in Loop: Header=BB15_79 Depth=1
	v_bfe_u32 v5, v13, 20, 1
	s_delay_alu instid0(VALU_DEP_1) | instskip(NEXT) | instid1(VALU_DEP_1)
	v_add3_u32 v5, v13, v5, 0x407ffff
	v_lshrrev_b32_e32 v5, 20, v5
; %bb.169:                              ;   in Loop: Header=BB15_79 Depth=1
	s_and_not1_saveexec_b32 s14, s14
; %bb.170:                              ;   in Loop: Header=BB15_79 Depth=1
	v_add_f32_e64 v5, 0x46800000, |v13|
; %bb.171:                              ;   in Loop: Header=BB15_79 Depth=1
	s_or_b32 exec_lo, exec_lo, s14
.LBB15_172:                             ;   in Loop: Header=BB15_79 Depth=1
	s_delay_alu instid0(SALU_CYCLE_1) | instskip(SKIP_3) | instid1(VALU_DEP_2)
	s_or_b32 exec_lo, exec_lo, s13
	v_and_b32_e32 v6, 0xffff0000, v6
	v_and_b32_e32 v4, 0xffff0000, v4
	s_mov_b32 s13, exec_lo
	v_mul_f32_e32 v6, v9, v6
	s_delay_alu instid0(VALU_DEP_1) | instskip(SKIP_1) | instid1(VALU_DEP_2)
	v_bfe_u32 v14, v6, 16, 1
	v_cmp_o_f32_e32 vcc_lo, v6, v6
	v_add3_u32 v14, v6, v14, 0x7fff
	s_delay_alu instid0(VALU_DEP_1) | instskip(NEXT) | instid1(VALU_DEP_1)
	v_and_b32_e32 v14, 0xffff0000, v14
	v_cndmask_b32_e32 v6, 0x7fc00000, v14, vcc_lo
	s_delay_alu instid0(VALU_DEP_1) | instskip(NEXT) | instid1(VALU_DEP_1)
	v_mul_f32_e32 v4, v6, v4
	v_bfe_u32 v6, v4, 16, 1
	v_cmp_o_f32_e32 vcc_lo, v4, v4
	s_delay_alu instid0(VALU_DEP_2) | instskip(NEXT) | instid1(VALU_DEP_1)
	v_add3_u32 v6, v4, v6, 0x7fff
	v_and_b32_e32 v6, 0xffff0000, v6
	s_delay_alu instid0(VALU_DEP_1) | instskip(NEXT) | instid1(VALU_DEP_1)
	v_cndmask_b32_e32 v4, 0x7fc00000, v6, vcc_lo
	v_div_scale_f32 v6, null, v10, v10, v4
	s_delay_alu instid0(VALU_DEP_1) | instskip(SKIP_2) | instid1(VALU_DEP_1)
	v_rcp_f32_e32 v14, v6
	s_waitcnt_depctr 0xfff
	v_fma_f32 v15, -v6, v14, 1.0
	v_fmac_f32_e32 v14, v15, v14
	v_div_scale_f32 v15, vcc_lo, v4, v10, v4
	s_delay_alu instid0(VALU_DEP_1) | instskip(NEXT) | instid1(VALU_DEP_1)
	v_mul_f32_e32 v16, v15, v14
	v_fma_f32 v17, -v6, v16, v15
	s_delay_alu instid0(VALU_DEP_1) | instskip(NEXT) | instid1(VALU_DEP_1)
	v_fmac_f32_e32 v16, v17, v14
	v_fma_f32 v6, -v6, v16, v15
	s_delay_alu instid0(VALU_DEP_1) | instskip(NEXT) | instid1(VALU_DEP_1)
	v_div_fmas_f32 v6, v6, v14, v16
	v_div_fixup_f32 v4, v6, v10, v4
	s_delay_alu instid0(VALU_DEP_1) | instskip(NEXT) | instid1(VALU_DEP_1)
	v_minmax_f32 v4, v4, s5, 0xc3e00000
	v_and_b32_e32 v6, 0x7fffffff, v4
	s_delay_alu instid0(VALU_DEP_1)
	v_cmpx_gt_u32_e32 0x43f00000, v6
	s_cbranch_execz .LBB15_75
; %bb.173:                              ;   in Loop: Header=BB15_79 Depth=1
	s_mov_b32 s14, exec_lo
                                        ; implicit-def: $vgpr3
	v_cmpx_lt_u32_e32 0x3c7fffff, v6
	s_xor_b32 s14, exec_lo, s14
; %bb.174:                              ;   in Loop: Header=BB15_79 Depth=1
	v_bfe_u32 v3, v4, 20, 1
	s_delay_alu instid0(VALU_DEP_1) | instskip(NEXT) | instid1(VALU_DEP_1)
	v_add3_u32 v3, v4, v3, 0x407ffff
	v_lshrrev_b32_e32 v3, 20, v3
; %bb.175:                              ;   in Loop: Header=BB15_79 Depth=1
	s_and_not1_saveexec_b32 s14, s14
	s_cbranch_execz .LBB15_74
; %bb.176:                              ;   in Loop: Header=BB15_79 Depth=1
	v_add_f32_e64 v3, 0x46800000, |v4|
	s_branch .LBB15_74
.LBB15_177:
	s_nop 0
	s_sendmsg sendmsg(MSG_DEALLOC_VGPRS)
	s_endpgm
	.section	.rodata,"a",@progbits
	.p2align	6, 0x0
	.amdhsa_kernel _ZN4vllm39rms_norm_dynamic_per_token_quant_kernelIN3c108BFloat16ENS1_13Float8_e4m3fnELb0EEEvPT0_PfPKT_S9_PKffiiPS7_
		.amdhsa_group_segment_fixed_size 528
		.amdhsa_private_segment_fixed_size 0
		.amdhsa_kernarg_size 320
		.amdhsa_user_sgpr_count 15
		.amdhsa_user_sgpr_dispatch_ptr 0
		.amdhsa_user_sgpr_queue_ptr 0
		.amdhsa_user_sgpr_kernarg_segment_ptr 1
		.amdhsa_user_sgpr_dispatch_id 0
		.amdhsa_user_sgpr_private_segment_size 0
		.amdhsa_wavefront_size32 1
		.amdhsa_uses_dynamic_stack 0
		.amdhsa_enable_private_segment 0
		.amdhsa_system_sgpr_workgroup_id_x 1
		.amdhsa_system_sgpr_workgroup_id_y 0
		.amdhsa_system_sgpr_workgroup_id_z 0
		.amdhsa_system_sgpr_workgroup_info 0
		.amdhsa_system_vgpr_workitem_id 0
		.amdhsa_next_free_vgpr 29
		.amdhsa_next_free_sgpr 35
		.amdhsa_reserve_vcc 1
		.amdhsa_float_round_mode_32 0
		.amdhsa_float_round_mode_16_64 0
		.amdhsa_float_denorm_mode_32 3
		.amdhsa_float_denorm_mode_16_64 3
		.amdhsa_dx10_clamp 1
		.amdhsa_ieee_mode 1
		.amdhsa_fp16_overflow 0
		.amdhsa_workgroup_processor_mode 1
		.amdhsa_memory_ordered 1
		.amdhsa_forward_progress 0
		.amdhsa_shared_vgpr_count 0
		.amdhsa_exception_fp_ieee_invalid_op 0
		.amdhsa_exception_fp_denorm_src 0
		.amdhsa_exception_fp_ieee_div_zero 0
		.amdhsa_exception_fp_ieee_overflow 0
		.amdhsa_exception_fp_ieee_underflow 0
		.amdhsa_exception_fp_ieee_inexact 0
		.amdhsa_exception_int_div_zero 0
	.end_amdhsa_kernel
	.section	.text._ZN4vllm39rms_norm_dynamic_per_token_quant_kernelIN3c108BFloat16ENS1_13Float8_e4m3fnELb0EEEvPT0_PfPKT_S9_PKffiiPS7_,"axG",@progbits,_ZN4vllm39rms_norm_dynamic_per_token_quant_kernelIN3c108BFloat16ENS1_13Float8_e4m3fnELb0EEEvPT0_PfPKT_S9_PKffiiPS7_,comdat
.Lfunc_end15:
	.size	_ZN4vllm39rms_norm_dynamic_per_token_quant_kernelIN3c108BFloat16ENS1_13Float8_e4m3fnELb0EEEvPT0_PfPKT_S9_PKffiiPS7_, .Lfunc_end15-_ZN4vllm39rms_norm_dynamic_per_token_quant_kernelIN3c108BFloat16ENS1_13Float8_e4m3fnELb0EEEvPT0_PfPKT_S9_PKffiiPS7_
                                        ; -- End function
	.section	.AMDGPU.csdata,"",@progbits
; Kernel info:
; codeLenInByte = 14312
; NumSgprs: 37
; NumVgprs: 29
; ScratchSize: 0
; MemoryBound: 0
; FloatMode: 240
; IeeeMode: 1
; LDSByteSize: 528 bytes/workgroup (compile time only)
; SGPRBlocks: 4
; VGPRBlocks: 3
; NumSGPRsForWavesPerEU: 37
; NumVGPRsForWavesPerEU: 29
; Occupancy: 16
; WaveLimiterHint : 0
; COMPUTE_PGM_RSRC2:SCRATCH_EN: 0
; COMPUTE_PGM_RSRC2:USER_SGPR: 15
; COMPUTE_PGM_RSRC2:TRAP_HANDLER: 0
; COMPUTE_PGM_RSRC2:TGID_X_EN: 1
; COMPUTE_PGM_RSRC2:TGID_Y_EN: 0
; COMPUTE_PGM_RSRC2:TGID_Z_EN: 0
; COMPUTE_PGM_RSRC2:TIDIG_COMP_CNT: 0
	.section	.text._ZN4vllm39rms_norm_dynamic_per_token_quant_kernelIN3c108BFloat16ENS1_15Float8_e4m3fnuzELb0EEEvPT0_PfPKT_S9_PKffiiPS7_,"axG",@progbits,_ZN4vllm39rms_norm_dynamic_per_token_quant_kernelIN3c108BFloat16ENS1_15Float8_e4m3fnuzELb0EEEvPT0_PfPKT_S9_PKffiiPS7_,comdat
	.protected	_ZN4vllm39rms_norm_dynamic_per_token_quant_kernelIN3c108BFloat16ENS1_15Float8_e4m3fnuzELb0EEEvPT0_PfPKT_S9_PKffiiPS7_ ; -- Begin function _ZN4vllm39rms_norm_dynamic_per_token_quant_kernelIN3c108BFloat16ENS1_15Float8_e4m3fnuzELb0EEEvPT0_PfPKT_S9_PKffiiPS7_
	.globl	_ZN4vllm39rms_norm_dynamic_per_token_quant_kernelIN3c108BFloat16ENS1_15Float8_e4m3fnuzELb0EEEvPT0_PfPKT_S9_PKffiiPS7_
	.p2align	8
	.type	_ZN4vllm39rms_norm_dynamic_per_token_quant_kernelIN3c108BFloat16ENS1_15Float8_e4m3fnuzELb0EEEvPT0_PfPKT_S9_PKffiiPS7_,@function
_ZN4vllm39rms_norm_dynamic_per_token_quant_kernelIN3c108BFloat16ENS1_15Float8_e4m3fnuzELb0EEEvPT0_PfPKT_S9_PKffiiPS7_: ; @_ZN4vllm39rms_norm_dynamic_per_token_quant_kernelIN3c108BFloat16ENS1_15Float8_e4m3fnuzELb0EEEvPT0_PfPKT_S9_PKffiiPS7_
; %bb.0:
	s_mov_b32 s24, s15
	s_clause 0x2
	s_load_b128 s[20:23], s[0:1], 0x28
	s_load_b64 s[26:27], s[0:1], 0x20
	s_load_b256 s[12:19], s[0:1], 0x0
	s_waitcnt lgkmcnt(0)
	s_or_b32 s2, s22, s21
	s_delay_alu instid0(SALU_CYCLE_1) | instskip(NEXT) | instid1(SALU_CYCLE_1)
	s_and_b32 s2, s2, 3
	s_cmp_lg_u32 s2, 0
	s_cbranch_scc0 .LBB16_39
; %bb.1:
	v_cmp_gt_u32_e64 s2, s21, v0
	v_cmp_le_u32_e64 s3, s21, v0
                                        ; implicit-def: $sgpr7
                                        ; implicit-def: $sgpr4_sgpr5
	s_delay_alu instid0(VALU_DEP_1) | instskip(NEXT) | instid1(SALU_CYCLE_1)
	s_and_saveexec_b32 s6, s3
	s_xor_b32 s6, exec_lo, s6
; %bb.2:
	s_add_u32 s4, s0, 64
	s_addc_u32 s5, s1, 0
	s_mov_b32 s7, 0
; %bb.3:
	s_or_saveexec_b32 s6, s6
	v_dual_mov_b32 v1, s4 :: v_dual_mov_b32 v4, s24
	v_dual_mov_b32 v3, s7 :: v_dual_mov_b32 v2, s5
	s_xor_b32 exec_lo, exec_lo, s6
	s_cbranch_execz .LBB16_7
; %bb.4:
	s_load_b32 s9, s[0:1], 0x4c
	s_ashr_i32 s5, s22, 31
	s_mul_hi_u32 s7, s22, s24
	s_mul_i32 s5, s5, s24
	s_mul_i32 s4, s22, s24
	s_add_i32 s5, s7, s5
	v_dual_mov_b32 v2, 0 :: v_dual_mov_b32 v3, 0
	s_lshl_b64 s[4:5], s[4:5], 1
	v_mov_b32_e32 v1, v0
	s_add_u32 s7, s16, s4
	s_addc_u32 s8, s17, s5
	s_add_u32 s4, s0, 64
	s_addc_u32 s5, s1, 0
	s_waitcnt lgkmcnt(0)
	s_and_b32 s10, s9, 0xffff
	s_mov_b32 s9, 0
.LBB16_5:                               ; =>This Inner Loop Header: Depth=1
	v_lshlrev_b64 v[4:5], 1, v[1:2]
	v_add_nc_u32_e32 v1, s10, v1
	s_delay_alu instid0(VALU_DEP_2) | instskip(NEXT) | instid1(VALU_DEP_3)
	v_add_co_u32 v4, vcc_lo, s7, v4
	v_add_co_ci_u32_e32 v5, vcc_lo, s8, v5, vcc_lo
	s_delay_alu instid0(VALU_DEP_3) | instskip(SKIP_4) | instid1(VALU_DEP_1)
	v_cmp_le_u32_e32 vcc_lo, s21, v1
	global_load_u16 v4, v[4:5], off
	s_or_b32 s9, vcc_lo, s9
	s_waitcnt vmcnt(0)
	v_lshlrev_b32_e32 v4, 16, v4
	v_fmac_f32_e32 v3, v4, v4
	s_and_not1_b32 exec_lo, exec_lo, s9
	s_cbranch_execnz .LBB16_5
; %bb.6:
	s_or_b32 exec_lo, exec_lo, s9
	v_dual_mov_b32 v1, s4 :: v_dual_mov_b32 v2, s5
	v_mov_b32_e32 v4, s24
.LBB16_7:
	s_or_b32 exec_lo, exec_lo, s6
	global_load_b32 v5, v[1:2], off
	v_and_b32_e32 v14, 0x3e0, v0
	s_waitcnt vmcnt(0)
	v_cmp_lt_u32_e32 vcc_lo, v4, v5
	v_cndmask_b32_e64 v4, 18, 12, vcc_lo
	s_delay_alu instid0(VALU_DEP_1) | instskip(SKIP_3) | instid1(VALU_DEP_1)
	v_add_co_u32 v1, vcc_lo, v1, v4
	v_add_co_ci_u32_e32 v2, vcc_lo, 0, v2, vcc_lo
	global_load_u16 v1, v[1:2], off
	v_mbcnt_lo_u32_b32 v2, -1, 0
	v_cmp_ne_u32_e32 vcc_lo, 31, v2
	v_add_nc_u32_e32 v5, 1, v2
	v_cmp_eq_u32_e64 s5, 0, v2
	v_add_co_ci_u32_e32 v4, vcc_lo, 0, v2, vcc_lo
	v_cmp_gt_u32_e32 vcc_lo, 30, v2
	s_delay_alu instid0(VALU_DEP_2) | instskip(SKIP_4) | instid1(VALU_DEP_1)
	v_lshlrev_b32_e32 v4, 2, v4
	v_cndmask_b32_e64 v7, 0, 1, vcc_lo
	ds_bpermute_b32 v6, v4, v3
	s_waitcnt lgkmcnt(0)
	v_dual_add_f32 v8, v3, v6 :: v_dual_lshlrev_b32 v7, 1, v7
	v_add_lshl_u32 v6, v7, v2, 2
	s_waitcnt vmcnt(0)
	v_sub_nc_u32_e64 v15, v1, v14 clamp
	s_delay_alu instid0(VALU_DEP_1) | instskip(SKIP_3) | instid1(VALU_DEP_1)
	v_cmp_lt_u32_e32 vcc_lo, v5, v15
	v_cndmask_b32_e32 v3, v3, v8, vcc_lo
	v_cmp_gt_u32_e32 vcc_lo, 28, v2
	v_cndmask_b32_e64 v8, 0, 1, vcc_lo
	v_lshlrev_b32_e32 v9, 2, v8
	v_add_nc_u32_e32 v8, 2, v2
	ds_bpermute_b32 v7, v6, v3
	v_cmp_lt_u32_e32 vcc_lo, v8, v15
	s_waitcnt lgkmcnt(0)
	v_add_f32_e32 v10, v3, v7
	v_add_lshl_u32 v7, v9, v2, 2
	s_delay_alu instid0(VALU_DEP_2) | instskip(SKIP_4) | instid1(VALU_DEP_1)
	v_cndmask_b32_e32 v3, v3, v10, vcc_lo
	v_cmp_gt_u32_e32 vcc_lo, 24, v2
	ds_bpermute_b32 v9, v7, v3
	v_cndmask_b32_e64 v10, 0, 1, vcc_lo
	s_waitcnt lgkmcnt(0)
	v_dual_add_f32 v12, v3, v9 :: v_dual_lshlrev_b32 v11, 3, v10
	v_add_nc_u32_e32 v10, 4, v2
	s_delay_alu instid0(VALU_DEP_2) | instskip(NEXT) | instid1(VALU_DEP_2)
	v_add_lshl_u32 v9, v11, v2, 2
	v_cmp_lt_u32_e32 vcc_lo, v10, v15
	s_delay_alu instid0(VALU_DEP_4) | instskip(SKIP_4) | instid1(VALU_DEP_1)
	v_cndmask_b32_e32 v3, v3, v12, vcc_lo
	v_cmp_gt_u32_e32 vcc_lo, 16, v2
	ds_bpermute_b32 v11, v9, v3
	v_cndmask_b32_e64 v12, 0, 1, vcc_lo
	s_waitcnt lgkmcnt(0)
	v_dual_add_f32 v16, v3, v11 :: v_dual_lshlrev_b32 v13, 4, v12
	v_add_nc_u32_e32 v12, 8, v2
	s_delay_alu instid0(VALU_DEP_2) | instskip(NEXT) | instid1(VALU_DEP_2)
	v_add_lshl_u32 v11, v13, v2, 2
	v_cmp_lt_u32_e32 vcc_lo, v12, v15
	s_delay_alu instid0(VALU_DEP_4) | instskip(SKIP_3) | instid1(VALU_DEP_1)
	v_cndmask_b32_e32 v3, v3, v16, vcc_lo
	ds_bpermute_b32 v16, v11, v3
	s_waitcnt lgkmcnt(0)
	v_dual_add_f32 v16, v3, v16 :: v_dual_add_nc_u32 v13, 16, v2
	v_cmp_lt_u32_e32 vcc_lo, v13, v15
	s_delay_alu instid0(VALU_DEP_2)
	v_cndmask_b32_e32 v3, v3, v16, vcc_lo
	s_and_saveexec_b32 s4, s5
	s_cbranch_execz .LBB16_9
; %bb.8:
	v_lshrrev_b32_e32 v15, 3, v0
	s_delay_alu instid0(VALU_DEP_1)
	v_and_b32_e32 v15, 0x7c, v15
	ds_store_b32 v15, v3 offset:256
.LBB16_9:
	s_or_b32 exec_lo, exec_lo, s4
	v_cmp_gt_u32_e64 s6, 32, v0
	v_lshlrev_b32_e32 v15, 2, v2
	s_waitcnt lgkmcnt(0)
	s_barrier
	buffer_gl0_inv
	s_and_saveexec_b32 s4, s6
	s_cbranch_execz .LBB16_11
; %bb.10:
	ds_load_b32 v2, v15 offset:256
	s_waitcnt lgkmcnt(0)
	ds_bpermute_b32 v3, v4, v2
	s_waitcnt lgkmcnt(0)
	v_add_f32_e32 v3, v2, v3
	v_add_nc_u32_e32 v1, 31, v1
	s_delay_alu instid0(VALU_DEP_1) | instskip(NEXT) | instid1(VALU_DEP_1)
	v_lshrrev_b32_e32 v1, 5, v1
	v_cmp_lt_u32_e32 vcc_lo, v5, v1
	s_delay_alu instid0(VALU_DEP_4) | instskip(SKIP_4) | instid1(VALU_DEP_1)
	v_cndmask_b32_e32 v2, v2, v3, vcc_lo
	v_cmp_lt_u32_e32 vcc_lo, v8, v1
	ds_bpermute_b32 v3, v6, v2
	s_waitcnt lgkmcnt(0)
	v_add_f32_e32 v3, v2, v3
	v_cndmask_b32_e32 v2, v2, v3, vcc_lo
	v_cmp_lt_u32_e32 vcc_lo, v10, v1
	ds_bpermute_b32 v3, v7, v2
	s_waitcnt lgkmcnt(0)
	v_add_f32_e32 v3, v2, v3
	s_delay_alu instid0(VALU_DEP_1) | instskip(SKIP_4) | instid1(VALU_DEP_1)
	v_cndmask_b32_e32 v2, v2, v3, vcc_lo
	v_cmp_lt_u32_e32 vcc_lo, v12, v1
	ds_bpermute_b32 v3, v9, v2
	s_waitcnt lgkmcnt(0)
	v_add_f32_e32 v3, v2, v3
	v_cndmask_b32_e32 v2, v2, v3, vcc_lo
	v_cmp_lt_u32_e32 vcc_lo, v13, v1
	ds_bpermute_b32 v3, v11, v2
	s_waitcnt lgkmcnt(0)
	v_add_f32_e32 v3, v2, v3
	s_delay_alu instid0(VALU_DEP_1)
	v_cndmask_b32_e32 v3, v2, v3, vcc_lo
.LBB16_11:
	s_or_b32 exec_lo, exec_lo, s4
	v_cmp_eq_u32_e64 s4, 0, v0
	s_mov_b32 s25, 0
	s_delay_alu instid0(VALU_DEP_1)
	s_and_saveexec_b32 s7, s4
	s_cbranch_execz .LBB16_13
; %bb.12:
	v_cvt_f32_i32_e32 v1, s21
	s_delay_alu instid0(VALU_DEP_1) | instskip(SKIP_1) | instid1(VALU_DEP_2)
	v_div_scale_f32 v2, null, v1, v1, v3
	v_div_scale_f32 v18, vcc_lo, v3, v1, v3
	v_rcp_f32_e32 v16, v2
	s_waitcnt_depctr 0xfff
	v_fma_f32 v17, -v2, v16, 1.0
	s_delay_alu instid0(VALU_DEP_1) | instskip(NEXT) | instid1(VALU_DEP_1)
	v_fmac_f32_e32 v16, v17, v16
	v_mul_f32_e32 v17, v18, v16
	s_delay_alu instid0(VALU_DEP_1) | instskip(NEXT) | instid1(VALU_DEP_1)
	v_fma_f32 v19, -v2, v17, v18
	v_fmac_f32_e32 v17, v19, v16
	s_delay_alu instid0(VALU_DEP_1) | instskip(NEXT) | instid1(VALU_DEP_1)
	v_fma_f32 v2, -v2, v17, v18
	v_div_fmas_f32 v2, v2, v16, v17
	s_delay_alu instid0(VALU_DEP_1) | instskip(NEXT) | instid1(VALU_DEP_1)
	v_div_fixup_f32 v1, v2, v1, v3
	v_add_f32_e32 v1, s20, v1
	s_delay_alu instid0(VALU_DEP_1) | instskip(SKIP_1) | instid1(VALU_DEP_2)
	v_mul_f32_e32 v2, 0x4b800000, v1
	v_cmp_gt_f32_e32 vcc_lo, 0x800000, v1
	v_cndmask_b32_e32 v1, v1, v2, vcc_lo
	s_delay_alu instid0(VALU_DEP_1) | instskip(SKIP_2) | instid1(VALU_DEP_1)
	v_rsq_f32_e32 v1, v1
	s_waitcnt_depctr 0xfff
	v_mul_f32_e32 v2, 0x45800000, v1
	v_dual_cndmask_b32 v1, v1, v2 :: v_dual_mov_b32 v2, 0
	ds_store_b32 v2, v1 offset:520
.LBB16_13:
	s_or_b32 exec_lo, exec_lo, s7
	v_mov_b32_e32 v1, 0
	s_waitcnt lgkmcnt(0)
	s_barrier
	buffer_gl0_inv
                                        ; implicit-def: $sgpr7
                                        ; implicit-def: $sgpr8_sgpr9
	ds_load_b32 v3, v1 offset:520
	s_waitcnt lgkmcnt(0)
	s_barrier
	buffer_gl0_inv
	s_and_saveexec_b32 s10, s3
	s_delay_alu instid0(SALU_CYCLE_1)
	s_xor_b32 s3, exec_lo, s10
; %bb.14:
	s_add_u32 s8, s0, 64
	s_addc_u32 s9, s1, 0
	s_mov_b32 s7, 0
; %bb.15:
	s_or_saveexec_b32 s3, s3
	v_dual_mov_b32 v16, s7 :: v_dual_mov_b32 v1, s8
	v_mov_b32_e32 v2, s9
	s_mul_hi_u32 s11, s22, s24
	s_mul_i32 s28, s22, s24
	s_xor_b32 exec_lo, exec_lo, s3
	s_cbranch_execz .LBB16_19
; %bb.16:
	s_load_b32 s23, s[0:1], 0x4c
	s_ashr_i32 s7, s22, 31
	v_dual_mov_b32 v2, 0 :: v_dual_mov_b32 v1, v0
	s_mul_i32 s7, s7, s24
	v_mov_b32_e32 v16, 0
	s_add_i32 s29, s11, s7
	s_delay_alu instid0(SALU_CYCLE_1) | instskip(NEXT) | instid1(SALU_CYCLE_1)
	s_lshl_b64 s[8:9], s[28:29], 1
	s_add_u32 s7, s16, s8
	s_addc_u32 s10, s17, s9
	s_add_u32 s8, s0, 64
	s_addc_u32 s9, s1, 0
	s_waitcnt lgkmcnt(0)
	s_and_b32 s29, s23, 0xffff
	s_mov_b32 s23, 0
	s_set_inst_prefetch_distance 0x1
	.p2align	6
.LBB16_17:                              ; =>This Inner Loop Header: Depth=1
	v_lshlrev_b64 v[17:18], 1, v[1:2]
	s_delay_alu instid0(VALU_DEP_2) | instskip(NEXT) | instid1(VALU_DEP_2)
	v_dual_max_f32 v16, v16, v16 :: v_dual_add_nc_u32 v1, s29, v1
	v_add_co_u32 v19, vcc_lo, s7, v17
	s_delay_alu instid0(VALU_DEP_3)
	v_add_co_ci_u32_e32 v20, vcc_lo, s10, v18, vcc_lo
	v_add_co_u32 v17, vcc_lo, s18, v17
	v_add_co_ci_u32_e32 v18, vcc_lo, s19, v18, vcc_lo
	global_load_u16 v19, v[19:20], off
	global_load_u16 v17, v[17:18], off
	s_waitcnt vmcnt(1)
	v_lshlrev_b32_e32 v18, 16, v19
	s_delay_alu instid0(VALU_DEP_1) | instskip(NEXT) | instid1(VALU_DEP_1)
	v_mul_f32_e32 v18, v3, v18
	v_bfe_u32 v19, v18, 16, 1
	s_delay_alu instid0(VALU_DEP_1) | instskip(NEXT) | instid1(VALU_DEP_1)
	v_add3_u32 v19, v18, v19, 0x7fff
	v_and_b32_e32 v19, 0xffff0000, v19
	v_cmp_o_f32_e32 vcc_lo, v18, v18
	s_waitcnt vmcnt(0)
	s_delay_alu instid0(VALU_DEP_2) | instskip(NEXT) | instid1(VALU_DEP_1)
	v_dual_cndmask_b32 v18, 0x7fc00000, v19 :: v_dual_lshlrev_b32 v17, 16, v17
	v_mul_f32_e32 v17, v18, v17
	s_delay_alu instid0(VALU_DEP_1) | instskip(NEXT) | instid1(VALU_DEP_1)
	v_bfe_u32 v18, v17, 16, 1
	v_add3_u32 v18, v17, v18, 0x7fff
	s_delay_alu instid0(VALU_DEP_1) | instskip(SKIP_1) | instid1(VALU_DEP_2)
	v_and_b32_e32 v18, 0xffff0000, v18
	v_cmp_o_f32_e32 vcc_lo, v17, v17
	v_cndmask_b32_e64 v17, 0x7fc00000, |v18|, vcc_lo
	v_cmp_le_u32_e32 vcc_lo, s21, v1
	s_delay_alu instid0(VALU_DEP_2) | instskip(SKIP_1) | instid1(VALU_DEP_1)
	v_max_f32_e32 v17, v17, v17
	s_or_b32 s23, vcc_lo, s23
	v_max_f32_e32 v16, v16, v17
	s_and_not1_b32 exec_lo, exec_lo, s23
	s_cbranch_execnz .LBB16_17
; %bb.18:
	s_set_inst_prefetch_distance 0x2
	s_or_b32 exec_lo, exec_lo, s23
	v_dual_mov_b32 v1, s8 :: v_dual_mov_b32 v2, s9
.LBB16_19:
	s_or_b32 exec_lo, exec_lo, s3
	global_load_b32 v17, v[1:2], off
	s_waitcnt vmcnt(0)
	v_cmp_lt_u32_e32 vcc_lo, s24, v17
	v_cndmask_b32_e64 v17, 18, 12, vcc_lo
	s_delay_alu instid0(VALU_DEP_1)
	v_add_co_u32 v1, vcc_lo, v1, v17
	v_add_co_ci_u32_e32 v2, vcc_lo, 0, v2, vcc_lo
	global_load_u16 v1, v[1:2], off
	ds_bpermute_b32 v2, v4, v16
	s_waitcnt lgkmcnt(0)
	v_cmp_lt_f32_e32 vcc_lo, v16, v2
	v_cndmask_b32_e32 v2, v16, v2, vcc_lo
	s_waitcnt vmcnt(0)
	v_sub_nc_u32_e64 v14, v1, v14 clamp
	s_delay_alu instid0(VALU_DEP_1)
	v_cmp_lt_u32_e32 vcc_lo, v5, v14
	v_cmp_lt_u32_e64 s9, v13, v14
	v_cndmask_b32_e32 v2, v16, v2, vcc_lo
	ds_bpermute_b32 v17, v6, v2
	s_waitcnt lgkmcnt(0)
	v_cmp_lt_f32_e64 s3, v2, v17
	s_delay_alu instid0(VALU_DEP_1) | instskip(SKIP_1) | instid1(VALU_DEP_1)
	v_cndmask_b32_e64 v17, v2, v17, s3
	v_cmp_lt_u32_e64 s3, v8, v14
	v_cndmask_b32_e64 v2, v2, v17, s3
	s_or_b32 s3, vcc_lo, s3
	ds_bpermute_b32 v17, v7, v2
	s_waitcnt lgkmcnt(0)
	v_cmp_lt_f32_e64 s7, v2, v17
	s_delay_alu instid0(VALU_DEP_1) | instskip(SKIP_1) | instid1(VALU_DEP_1)
	v_cndmask_b32_e64 v17, v2, v17, s7
	v_cmp_lt_u32_e64 s7, v10, v14
	v_cndmask_b32_e64 v2, v2, v17, s7
	s_or_b32 s3, s7, s3
	ds_bpermute_b32 v17, v9, v2
	s_waitcnt lgkmcnt(0)
	v_cmp_lt_f32_e64 s8, v2, v17
	s_delay_alu instid0(VALU_DEP_1) | instskip(SKIP_1) | instid1(VALU_DEP_1)
	v_cndmask_b32_e64 v17, v2, v17, s8
	v_cmp_lt_u32_e64 s8, v12, v14
	v_cndmask_b32_e64 v2, v2, v17, s8
	s_or_b32 s3, s8, s3
	ds_bpermute_b32 v17, v11, v2
	s_waitcnt lgkmcnt(0)
	v_cmp_lt_f32_e64 s10, v2, v17
	s_delay_alu instid0(VALU_DEP_1) | instskip(SKIP_2) | instid1(VALU_DEP_1)
	s_and_b32 vcc_lo, s9, s10
	v_cndmask_b32_e32 v2, v2, v17, vcc_lo
	s_or_b32 vcc_lo, s9, s3
	v_cndmask_b32_e32 v2, v16, v2, vcc_lo
	s_and_saveexec_b32 s3, s5
	s_cbranch_execz .LBB16_21
; %bb.20:
	v_lshrrev_b32_e32 v14, 3, v0
	s_delay_alu instid0(VALU_DEP_1)
	v_and_b32_e32 v14, 0x7c, v14
	ds_store_b32 v14, v2 offset:384
.LBB16_21:
	s_or_b32 exec_lo, exec_lo, s3
	s_waitcnt lgkmcnt(0)
	s_barrier
	buffer_gl0_inv
	s_and_saveexec_b32 s9, s6
	s_cbranch_execz .LBB16_23
; %bb.22:
	ds_load_b32 v2, v15 offset:384
	s_waitcnt lgkmcnt(0)
	ds_bpermute_b32 v4, v4, v2
	s_waitcnt lgkmcnt(0)
	v_cmp_lt_f32_e32 vcc_lo, v2, v4
	v_dual_cndmask_b32 v4, v2, v4 :: v_dual_add_nc_u32 v1, 31, v1
	s_delay_alu instid0(VALU_DEP_1) | instskip(NEXT) | instid1(VALU_DEP_1)
	v_lshrrev_b32_e32 v1, 5, v1
	v_cmp_lt_u32_e32 vcc_lo, v5, v1
	v_cmp_lt_u32_e64 s7, v13, v1
	s_delay_alu instid0(VALU_DEP_4) | instskip(SKIP_3) | instid1(VALU_DEP_1)
	v_cndmask_b32_e32 v4, v2, v4, vcc_lo
	ds_bpermute_b32 v5, v6, v4
	s_waitcnt lgkmcnt(0)
	v_cmp_lt_f32_e64 s3, v4, v5
	v_cndmask_b32_e64 v5, v4, v5, s3
	v_cmp_lt_u32_e64 s3, v8, v1
	s_delay_alu instid0(VALU_DEP_1) | instskip(SKIP_4) | instid1(VALU_DEP_1)
	v_cndmask_b32_e64 v4, v4, v5, s3
	s_or_b32 s3, vcc_lo, s3
	ds_bpermute_b32 v5, v7, v4
	s_waitcnt lgkmcnt(0)
	v_cmp_lt_f32_e64 s5, v4, v5
	v_cndmask_b32_e64 v5, v4, v5, s5
	v_cmp_lt_u32_e64 s5, v10, v1
	s_delay_alu instid0(VALU_DEP_1) | instskip(SKIP_4) | instid1(VALU_DEP_1)
	v_cndmask_b32_e64 v4, v4, v5, s5
	s_or_b32 s3, s5, s3
	ds_bpermute_b32 v5, v9, v4
	s_waitcnt lgkmcnt(0)
	v_cmp_lt_f32_e64 s6, v4, v5
	v_cndmask_b32_e64 v5, v4, v5, s6
	v_cmp_lt_u32_e64 s6, v12, v1
	s_delay_alu instid0(VALU_DEP_1) | instskip(SKIP_4) | instid1(VALU_DEP_1)
	v_cndmask_b32_e64 v4, v4, v5, s6
	s_or_b32 s3, s6, s3
	ds_bpermute_b32 v5, v11, v4
	s_waitcnt lgkmcnt(0)
	v_cmp_lt_f32_e64 s8, v4, v5
	s_and_b32 vcc_lo, s7, s8
	v_cndmask_b32_e32 v1, v4, v5, vcc_lo
	s_or_b32 vcc_lo, s7, s3
	s_delay_alu instid0(VALU_DEP_1)
	v_cndmask_b32_e32 v2, v2, v1, vcc_lo
.LBB16_23:
	s_or_b32 exec_lo, exec_lo, s9
	s_and_saveexec_b32 s3, s4
	s_cbranch_execz .LBB16_27
; %bb.24:
	s_cmp_eq_u64 s[26:27], 0
	s_cbranch_scc1 .LBB16_26
; %bb.25:
	s_load_b32 s4, s[26:27], 0x0
	v_max_f32_e32 v1, v2, v2
	s_waitcnt lgkmcnt(0)
	v_max_f32_e64 v2, s4, s4
	s_delay_alu instid0(VALU_DEP_1)
	v_min_f32_e32 v2, v1, v2
.LBB16_26:
	s_delay_alu instid0(VALU_DEP_1) | instskip(SKIP_2) | instid1(VALU_DEP_2)
	v_div_scale_f32 v1, null, 0x43600000, 0x43600000, v2
	v_div_scale_f32 v6, vcc_lo, v2, 0x43600000, v2
	s_lshl_b64 s[4:5], s[24:25], 2
	v_rcp_f32_e32 v4, v1
	s_add_u32 s4, s14, s4
	s_addc_u32 s5, s15, s5
	s_waitcnt_depctr 0xfff
	v_fma_f32 v5, -v1, v4, 1.0
	s_delay_alu instid0(VALU_DEP_1) | instskip(NEXT) | instid1(VALU_DEP_1)
	v_fmac_f32_e32 v4, v5, v4
	v_mul_f32_e32 v5, v6, v4
	s_delay_alu instid0(VALU_DEP_1) | instskip(NEXT) | instid1(VALU_DEP_1)
	v_fma_f32 v7, -v1, v5, v6
	v_fmac_f32_e32 v5, v7, v4
	s_delay_alu instid0(VALU_DEP_1) | instskip(NEXT) | instid1(VALU_DEP_1)
	v_fma_f32 v1, -v1, v5, v6
	v_div_fmas_f32 v1, v1, v4, v5
	s_delay_alu instid0(VALU_DEP_1) | instskip(NEXT) | instid1(VALU_DEP_1)
	v_div_fixup_f32 v1, v1, 0x43600000, v2
	v_dual_mov_b32 v2, 0 :: v_dual_max_f32 v1, 0x37124925, v1
	ds_store_b32 v2, v1 offset:524
	global_store_b32 v2, v1, s[4:5]
.LBB16_27:
	s_or_b32 exec_lo, exec_lo, s3
	s_waitcnt lgkmcnt(0)
	s_waitcnt_vscnt null, 0x0
	s_barrier
	buffer_gl0_inv
	s_and_saveexec_b32 s3, s2
	s_cbranch_execz .LBB16_38
; %bb.28:
	v_dual_mov_b32 v2, 0 :: v_dual_mov_b32 v1, v0
	s_load_b32 s7, s[0:1], 0x4c
	s_ashr_i32 s4, s22, 31
	s_ashr_i32 s2, s21, 31
	ds_load_b32 v4, v2 offset:524
	s_mul_i32 s4, s4, s24
	s_mul_hi_u32 s5, s21, s24
	s_mul_i32 s2, s2, s24
	s_add_i32 s29, s11, s4
	s_add_i32 s6, s5, s2
	s_lshl_b64 s[4:5], s[28:29], 1
	s_mul_i32 s8, s21, s24
	s_add_u32 s2, s16, s4
	s_addc_u32 s4, s17, s5
	s_add_u32 s5, s12, s8
	s_addc_u32 s6, s13, s6
	s_mov_b32 s8, 0
	s_mov_b32 s9, 0x43600000
	s_waitcnt lgkmcnt(0)
	s_and_b32 s7, s7, 0xffff
	s_branch .LBB16_31
.LBB16_29:                              ;   in Loop: Header=BB16_31 Depth=1
	s_or_b32 exec_lo, exec_lo, s23
.LBB16_30:                              ;   in Loop: Header=BB16_31 Depth=1
	s_delay_alu instid0(SALU_CYCLE_1) | instskip(SKIP_3) | instid1(VALU_DEP_2)
	s_or_b32 exec_lo, exec_lo, s10
	v_add_co_u32 v5, s10, s5, v1
	v_add_nc_u32_e32 v1, s7, v1
	v_add_co_ci_u32_e64 v6, null, s6, 0, s10
	v_cmp_le_u32_e32 vcc_lo, s21, v1
	global_store_b8 v[5:6], v7, off
	s_or_b32 s8, vcc_lo, s8
	s_delay_alu instid0(SALU_CYCLE_1)
	s_and_not1_b32 exec_lo, exec_lo, s8
	s_cbranch_execz .LBB16_38
.LBB16_31:                              ; =>This Inner Loop Header: Depth=1
	v_lshlrev_b64 v[5:6], 1, v[1:2]
	s_mov_b32 s10, exec_lo
	s_delay_alu instid0(VALU_DEP_1) | instskip(NEXT) | instid1(VALU_DEP_2)
	v_add_co_u32 v7, vcc_lo, s2, v5
	v_add_co_ci_u32_e32 v8, vcc_lo, s4, v6, vcc_lo
	v_add_co_u32 v5, vcc_lo, s18, v5
	v_add_co_ci_u32_e32 v6, vcc_lo, s19, v6, vcc_lo
	global_load_u16 v7, v[7:8], off
	global_load_u16 v5, v[5:6], off
	s_waitcnt vmcnt(1)
	v_lshlrev_b32_e32 v6, 16, v7
	s_delay_alu instid0(VALU_DEP_1) | instskip(NEXT) | instid1(VALU_DEP_1)
	v_mul_f32_e32 v6, v3, v6
	v_bfe_u32 v7, v6, 16, 1
	s_delay_alu instid0(VALU_DEP_1) | instskip(NEXT) | instid1(VALU_DEP_1)
	v_add3_u32 v7, v6, v7, 0x7fff
	v_and_b32_e32 v7, 0xffff0000, v7
	v_cmp_o_f32_e32 vcc_lo, v6, v6
	s_waitcnt vmcnt(0)
	s_delay_alu instid0(VALU_DEP_2) | instskip(NEXT) | instid1(VALU_DEP_1)
	v_dual_cndmask_b32 v6, 0x7fc00000, v7 :: v_dual_lshlrev_b32 v5, 16, v5
	v_mul_f32_e32 v5, v6, v5
	s_delay_alu instid0(VALU_DEP_1) | instskip(NEXT) | instid1(VALU_DEP_1)
	v_bfe_u32 v6, v5, 16, 1
	v_add3_u32 v6, v5, v6, 0x7fff
	s_delay_alu instid0(VALU_DEP_1) | instskip(SKIP_1) | instid1(VALU_DEP_2)
	v_and_b32_e32 v6, 0xffff0000, v6
	v_cmp_o_f32_e32 vcc_lo, v5, v5
	v_cndmask_b32_e32 v5, 0x7fc00000, v6, vcc_lo
	s_delay_alu instid0(VALU_DEP_1) | instskip(SKIP_1) | instid1(VALU_DEP_2)
	v_div_scale_f32 v6, null, v4, v4, v5
	v_div_scale_f32 v9, vcc_lo, v5, v4, v5
	v_rcp_f32_e32 v7, v6
	s_waitcnt_depctr 0xfff
	v_fma_f32 v8, -v6, v7, 1.0
	s_delay_alu instid0(VALU_DEP_1) | instskip(NEXT) | instid1(VALU_DEP_1)
	v_fmac_f32_e32 v7, v8, v7
	v_mul_f32_e32 v8, v9, v7
	s_delay_alu instid0(VALU_DEP_1) | instskip(NEXT) | instid1(VALU_DEP_1)
	v_fma_f32 v10, -v6, v8, v9
	v_fmac_f32_e32 v8, v10, v7
	s_delay_alu instid0(VALU_DEP_1) | instskip(NEXT) | instid1(VALU_DEP_1)
	v_fma_f32 v6, -v6, v8, v9
	v_div_fmas_f32 v6, v6, v7, v8
	v_mov_b32_e32 v7, 0x80
	s_delay_alu instid0(VALU_DEP_2) | instskip(NEXT) | instid1(VALU_DEP_1)
	v_div_fixup_f32 v5, v6, v4, v5
	v_minmax_f32 v5, v5, s9, 0xc3600000
	s_delay_alu instid0(VALU_DEP_1) | instskip(NEXT) | instid1(VALU_DEP_1)
	v_and_b32_e32 v6, 0x7fffffff, v5
	v_cmpx_gt_u32_e32 0x43800000, v6
	s_cbranch_execz .LBB16_30
; %bb.32:                               ;   in Loop: Header=BB16_31 Depth=1
	v_cmp_lt_u32_e32 vcc_lo, 0x3bffffff, v6
	s_mov_b32 s11, 0
                                        ; implicit-def: $vgpr6
	s_and_saveexec_b32 s23, vcc_lo
	s_delay_alu instid0(SALU_CYCLE_1)
	s_xor_b32 s23, exec_lo, s23
	s_cbranch_execnz .LBB16_35
; %bb.33:                               ;   in Loop: Header=BB16_31 Depth=1
	s_or_saveexec_b32 s23, s23
                                        ; implicit-def: $sgpr25
	s_delay_alu instid0(SALU_CYCLE_1)
	s_xor_b32 exec_lo, exec_lo, s23
	s_cbranch_execnz .LBB16_36
.LBB16_34:                              ;   in Loop: Header=BB16_31 Depth=1
	s_or_b32 exec_lo, exec_lo, s23
	v_mov_b32_e32 v7, s25
	s_and_saveexec_b32 s23, s11
	s_cbranch_execz .LBB16_29
	s_branch .LBB16_37
.LBB16_35:                              ;   in Loop: Header=BB16_31 Depth=1
	v_bfe_u32 v6, v5, 20, 1
	s_mov_b32 s11, exec_lo
	s_delay_alu instid0(VALU_DEP_1) | instskip(NEXT) | instid1(VALU_DEP_1)
	v_add3_u32 v6, v5, v6, 0x487ffff
	v_lshrrev_b32_e32 v6, 20, v6
	s_or_saveexec_b32 s23, s23
                                        ; implicit-def: $sgpr25
	s_delay_alu instid0(SALU_CYCLE_1)
	s_xor_b32 exec_lo, exec_lo, s23
	s_cbranch_execz .LBB16_34
.LBB16_36:                              ;   in Loop: Header=BB16_31 Depth=1
	v_add_f32_e64 v6, 0x46000000, |v5|
	s_and_not1_b32 s11, s11, exec_lo
	s_mov_b32 s25, 0
	s_delay_alu instid0(VALU_DEP_1) | instskip(NEXT) | instid1(VALU_DEP_1)
	v_and_b32_e32 v6, 0xff, v6
	v_cmp_ne_u32_e32 vcc_lo, 0, v6
	s_and_b32 s28, vcc_lo, exec_lo
	s_delay_alu instid0(SALU_CYCLE_1)
	s_or_b32 s11, s11, s28
	s_or_b32 exec_lo, exec_lo, s23
	v_mov_b32_e32 v7, s25
	s_and_saveexec_b32 s23, s11
	s_cbranch_execz .LBB16_29
.LBB16_37:                              ;   in Loop: Header=BB16_31 Depth=1
	v_lshrrev_b32_e32 v5, 24, v5
	s_delay_alu instid0(VALU_DEP_1)
	v_and_or_b32 v7, 0x80, v5, v6
	s_branch .LBB16_29
.LBB16_38:
	s_or_b32 exec_lo, exec_lo, s3
	s_branch .LBB16_211
.LBB16_39:
	s_cbranch_execz .LBB16_211
; %bb.40:
	s_load_b32 s3, s[0:1], 0x40
	s_ashr_i32 s2, s22, 31
	s_mul_hi_u32 s4, s22, s24
	s_mul_i32 s2, s2, s24
	v_mov_b32_e32 v9, 0
	s_add_i32 s5, s4, s2
	s_mul_i32 s4, s22, s24
	s_mov_b32 s25, 0
	s_lshl_b64 s[4:5], s[4:5], 1
	s_delay_alu instid0(SALU_CYCLE_1)
	s_add_u32 s9, s16, s4
	s_addc_u32 s10, s17, s5
	s_ashr_i32 s11, s21, 2
	s_add_u32 s0, s0, 64
	v_cmp_gt_u32_e64 s2, s11, v0
	s_addc_u32 s1, s1, 0
	s_delay_alu instid0(VALU_DEP_1)
	s_and_saveexec_b32 s4, s2
	s_cbranch_execz .LBB16_50
; %bb.41:
	s_waitcnt lgkmcnt(0)
	s_cmp_lt_u32 s24, s3
	v_dual_mov_b32 v2, 0 :: v_dual_mov_b32 v1, v0
	s_cselect_b32 s5, 12, 18
	s_delay_alu instid0(SALU_CYCLE_1)
	s_add_u32 s6, s0, s5
	s_addc_u32 s7, s1, 0
	s_mov_b32 s5, s25
	global_load_u16 v6, v2, s[6:7]
                                        ; implicit-def: $sgpr6
	v_mov_b32_e32 v9, v2
	s_waitcnt vmcnt(0)
	v_mul_lo_u32 v7, v6, 3
	v_lshlrev_b32_e32 v8, 1, v6
	v_add_nc_u32_e32 v10, v6, v6
	s_branch .LBB16_45
.LBB16_42:                              ;   in Loop: Header=BB16_45 Depth=1
	s_or_b32 exec_lo, exec_lo, s16
	s_delay_alu instid0(SALU_CYCLE_1)
	s_or_not1_b32 s16, s17, exec_lo
.LBB16_43:                              ;   in Loop: Header=BB16_45 Depth=1
	s_or_b32 exec_lo, exec_lo, s8
	s_delay_alu instid0(SALU_CYCLE_1) | instskip(SKIP_1) | instid1(SALU_CYCLE_1)
	s_and_not1_b32 s6, s6, exec_lo
	s_and_b32 s8, s16, exec_lo
	s_or_b32 s6, s6, s8
.LBB16_44:                              ;   in Loop: Header=BB16_45 Depth=1
	s_or_b32 exec_lo, exec_lo, s7
	s_delay_alu instid0(SALU_CYCLE_1) | instskip(NEXT) | instid1(SALU_CYCLE_1)
	s_and_b32 s7, exec_lo, s6
	s_or_b32 s5, s7, s5
	s_delay_alu instid0(SALU_CYCLE_1)
	s_and_not1_b32 exec_lo, exec_lo, s5
	s_cbranch_execz .LBB16_49
.LBB16_45:                              ; =>This Inner Loop Header: Depth=1
	v_lshlrev_b64 v[3:4], 3, v[1:2]
	s_or_b32 s6, s6, exec_lo
	s_mov_b32 s7, exec_lo
	s_delay_alu instid0(VALU_DEP_1) | instskip(NEXT) | instid1(VALU_DEP_2)
	v_add_co_u32 v3, vcc_lo, s9, v3
	v_add_co_ci_u32_e32 v4, vcc_lo, s10, v4, vcc_lo
	global_load_b64 v[3:4], v[3:4], off
	s_waitcnt vmcnt(0)
	v_lshlrev_b32_e32 v5, 16, v3
	v_and_b32_e32 v11, 0xffff0000, v3
	v_alignbit_b32 v3, v4, v3, 16
	s_delay_alu instid0(VALU_DEP_3) | instskip(NEXT) | instid1(VALU_DEP_2)
	v_dual_fmac_f32 v9, v5, v5 :: v_dual_and_b32 v4, 0xffff0000, v4
	v_and_b32_e32 v3, 0xffff0000, v3
	s_delay_alu instid0(VALU_DEP_2) | instskip(NEXT) | instid1(VALU_DEP_1)
	v_fmac_f32_e32 v9, v11, v11
	v_fmac_f32_e32 v9, v3, v3
	v_add_nc_u32_e32 v3, v1, v6
	s_delay_alu instid0(VALU_DEP_2) | instskip(NEXT) | instid1(VALU_DEP_2)
	v_fmac_f32_e32 v9, v4, v4
	v_cmpx_gt_u32_e64 s11, v3
	s_cbranch_execz .LBB16_44
; %bb.46:                               ;   in Loop: Header=BB16_45 Depth=1
	v_mov_b32_e32 v4, v2
	s_mov_b32 s16, -1
	s_mov_b32 s8, exec_lo
	s_delay_alu instid0(VALU_DEP_1) | instskip(NEXT) | instid1(VALU_DEP_1)
	v_lshlrev_b64 v[4:5], 3, v[3:4]
	v_add_co_u32 v4, vcc_lo, s9, v4
	s_delay_alu instid0(VALU_DEP_2)
	v_add_co_ci_u32_e32 v5, vcc_lo, s10, v5, vcc_lo
	global_load_b64 v[4:5], v[4:5], off
	s_waitcnt vmcnt(0)
	v_lshlrev_b32_e32 v11, 16, v4
	v_and_b32_e32 v12, 0xffff0000, v4
	v_alignbit_b32 v4, v5, v4, 16
	v_and_b32_e32 v5, 0xffff0000, v5
	s_delay_alu instid0(VALU_DEP_2) | instskip(NEXT) | instid1(VALU_DEP_1)
	v_dual_fmac_f32 v9, v11, v11 :: v_dual_and_b32 v4, 0xffff0000, v4
	v_fmac_f32_e32 v9, v12, v12
	s_delay_alu instid0(VALU_DEP_1) | instskip(SKIP_1) | instid1(VALU_DEP_2)
	v_fmac_f32_e32 v9, v4, v4
	v_add_nc_u32_e32 v4, v8, v1
	v_fmac_f32_e32 v9, v5, v5
	s_delay_alu instid0(VALU_DEP_2)
	v_cmpx_gt_u32_e64 s11, v4
	s_cbranch_execz .LBB16_43
; %bb.47:                               ;   in Loop: Header=BB16_45 Depth=1
	v_mov_b32_e32 v5, v2
	v_add_nc_u32_e32 v1, v7, v1
	s_mov_b32 s17, -1
	s_mov_b32 s16, exec_lo
	s_delay_alu instid0(VALU_DEP_2) | instskip(NEXT) | instid1(VALU_DEP_1)
	v_lshlrev_b64 v[4:5], 3, v[4:5]
	v_add_co_u32 v4, vcc_lo, s9, v4
	s_delay_alu instid0(VALU_DEP_2)
	v_add_co_ci_u32_e32 v5, vcc_lo, s10, v5, vcc_lo
	global_load_b64 v[4:5], v[4:5], off
	s_waitcnt vmcnt(0)
	v_and_b32_e32 v12, 0xffff0000, v4
	v_lshlrev_b32_e32 v11, 16, v4
	v_alignbit_b32 v4, v5, v4, 16
	v_and_b32_e32 v5, 0xffff0000, v5
	s_delay_alu instid0(VALU_DEP_2) | instskip(NEXT) | instid1(VALU_DEP_1)
	v_dual_fmac_f32 v9, v11, v11 :: v_dual_and_b32 v4, 0xffff0000, v4
	v_fmac_f32_e32 v9, v12, v12
	s_delay_alu instid0(VALU_DEP_1) | instskip(NEXT) | instid1(VALU_DEP_1)
	v_fmac_f32_e32 v9, v4, v4
	v_fmac_f32_e32 v9, v5, v5
	v_cmpx_gt_u32_e64 s11, v1
	s_xor_b32 s16, exec_lo, s16
	s_cbranch_execz .LBB16_42
; %bb.48:                               ;   in Loop: Header=BB16_45 Depth=1
	v_lshlrev_b64 v[4:5], 3, v[1:2]
	s_delay_alu instid0(VALU_DEP_1) | instskip(NEXT) | instid1(VALU_DEP_2)
	v_add_co_u32 v4, vcc_lo, s9, v4
	v_add_co_ci_u32_e32 v5, vcc_lo, s10, v5, vcc_lo
	global_load_b64 v[4:5], v[4:5], off
	s_waitcnt vmcnt(0)
	v_lshlrev_b32_e32 v1, 16, v4
	v_and_b32_e32 v11, 0xffff0000, v4
	v_alignbit_b32 v4, v5, v4, 16
	s_delay_alu instid0(VALU_DEP_3) | instskip(SKIP_1) | instid1(VALU_DEP_3)
	v_fmac_f32_e32 v9, v1, v1
	v_add3_u32 v1, v10, v6, v3
	v_and_b32_e32 v4, 0xffff0000, v4
	v_and_b32_e32 v3, 0xffff0000, v5
	s_delay_alu instid0(VALU_DEP_4) | instskip(NEXT) | instid1(VALU_DEP_4)
	v_fmac_f32_e32 v9, v11, v11
	v_cmp_le_u32_e32 vcc_lo, s11, v1
	s_delay_alu instid0(VALU_DEP_2) | instskip(SKIP_1) | instid1(VALU_DEP_1)
	v_fmac_f32_e32 v9, v4, v4
	s_or_not1_b32 s17, vcc_lo, exec_lo
	v_fmac_f32_e32 v9, v3, v3
	s_branch .LBB16_42
.LBB16_49:
	s_or_b32 exec_lo, exec_lo, s5
.LBB16_50:
	s_delay_alu instid0(SALU_CYCLE_1)
	s_or_b32 exec_lo, exec_lo, s4
	s_waitcnt lgkmcnt(0)
	s_cmp_lt_u32 s24, s3
	v_dual_mov_b32 v1, 0 :: v_dual_and_b32 v4, 0x3e0, v0
	s_cselect_b32 s3, 12, 18
	v_mbcnt_lo_u32_b32 v6, -1, 0
	s_add_u32 s0, s0, s3
	s_addc_u32 s1, s1, 0
	global_load_u16 v1, v1, s[0:1]
	v_cmp_ne_u32_e32 vcc_lo, 31, v6
	v_add_nc_u32_e32 v8, 1, v6
	v_add_nc_u32_e32 v12, 2, v6
	;; [unrolled: 1-line block ×4, first 2 shown]
	v_add_co_ci_u32_e32 v2, vcc_lo, 0, v6, vcc_lo
	v_cmp_gt_u32_e32 vcc_lo, 30, v6
	v_add_nc_u32_e32 v17, 16, v6
	v_cmp_eq_u32_e64 s6, 0, v6
	s_delay_alu instid0(VALU_DEP_4)
	v_lshlrev_b32_e32 v7, 2, v2
	v_cndmask_b32_e64 v3, 0, 1, vcc_lo
	v_cmp_gt_u32_e32 vcc_lo, 28, v6
	ds_bpermute_b32 v2, v7, v9
	v_lshlrev_b32_e32 v3, 1, v3
	v_cndmask_b32_e64 v5, 0, 1, vcc_lo
	v_cmp_gt_u32_e32 vcc_lo, 24, v6
	s_delay_alu instid0(VALU_DEP_2) | instskip(NEXT) | instid1(VALU_DEP_1)
	v_lshlrev_b32_e32 v5, 2, v5
	v_add_lshl_u32 v11, v5, v6, 2
	v_cndmask_b32_e64 v5, 0, 1, vcc_lo
	v_cmp_gt_u32_e32 vcc_lo, 16, v6
	s_waitcnt lgkmcnt(0)
	s_delay_alu instid0(VALU_DEP_2) | instskip(SKIP_1) | instid1(VALU_DEP_2)
	v_dual_add_f32 v2, v9, v2 :: v_dual_lshlrev_b32 v5, 3, v5
	v_add_lshl_u32 v10, v3, v6, 2
	v_add_lshl_u32 v13, v5, v6, 2
	v_cndmask_b32_e64 v5, 0, 1, vcc_lo
	s_delay_alu instid0(VALU_DEP_1) | instskip(NEXT) | instid1(VALU_DEP_1)
	v_lshlrev_b32_e32 v5, 4, v5
	v_add_lshl_u32 v15, v5, v6, 2
	s_waitcnt vmcnt(0)
	v_sub_nc_u32_e64 v4, v1, v4 clamp
	v_readfirstlane_b32 s16, v1
	s_delay_alu instid0(VALU_DEP_2)
	v_cmp_lt_u32_e64 s0, v8, v4
	v_cmp_lt_u32_e64 s1, v12, v4
	;; [unrolled: 1-line block ×5, first 2 shown]
	v_cndmask_b32_e64 v2, v9, v2, s0
	ds_bpermute_b32 v3, v10, v2
	s_waitcnt lgkmcnt(0)
	v_add_f32_e32 v3, v2, v3
	s_delay_alu instid0(VALU_DEP_1) | instskip(SKIP_3) | instid1(VALU_DEP_1)
	v_cndmask_b32_e64 v2, v2, v3, s1
	ds_bpermute_b32 v3, v11, v2
	s_waitcnt lgkmcnt(0)
	v_add_f32_e32 v3, v2, v3
	v_cndmask_b32_e64 v2, v2, v3, s3
	ds_bpermute_b32 v3, v13, v2
	s_waitcnt lgkmcnt(0)
	v_add_f32_e32 v3, v2, v3
	s_delay_alu instid0(VALU_DEP_1) | instskip(SKIP_3) | instid1(VALU_DEP_1)
	v_cndmask_b32_e64 v2, v2, v3, s5
	ds_bpermute_b32 v3, v15, v2
	s_waitcnt lgkmcnt(0)
	v_add_f32_e32 v3, v2, v3
	v_cndmask_b32_e64 v1, v2, v3, s8
	s_and_saveexec_b32 s4, s6
	s_cbranch_execz .LBB16_52
; %bb.51:
	v_lshrrev_b32_e32 v2, 3, v0
	s_delay_alu instid0(VALU_DEP_1)
	v_and_b32_e32 v2, 0x7c, v2
	ds_store_b32 v2, v1
.LBB16_52:
	s_or_b32 exec_lo, exec_lo, s4
	v_cmp_gt_u32_e64 s7, 32, v0
	s_waitcnt lgkmcnt(0)
	s_waitcnt_vscnt null, 0x0
	s_barrier
	buffer_gl0_inv
	s_and_saveexec_b32 s4, s7
	s_cbranch_execz .LBB16_54
; %bb.53:
	v_lshlrev_b32_e32 v1, 2, v6
	s_add_i32 s17, s16, 31
	s_delay_alu instid0(SALU_CYCLE_1) | instskip(NEXT) | instid1(SALU_CYCLE_1)
	s_lshr_b32 s17, s17, 5
	v_cmp_gt_u32_e32 vcc_lo, s17, v8
	ds_load_b32 v1, v1
	s_waitcnt lgkmcnt(0)
	ds_bpermute_b32 v2, v7, v1
	s_waitcnt lgkmcnt(0)
	v_add_f32_e32 v2, v1, v2
	s_delay_alu instid0(VALU_DEP_1) | instskip(SKIP_4) | instid1(VALU_DEP_1)
	v_cndmask_b32_e32 v1, v1, v2, vcc_lo
	v_cmp_gt_u32_e32 vcc_lo, s17, v12
	ds_bpermute_b32 v2, v10, v1
	s_waitcnt lgkmcnt(0)
	v_add_f32_e32 v2, v1, v2
	v_cndmask_b32_e32 v1, v1, v2, vcc_lo
	v_cmp_gt_u32_e32 vcc_lo, s17, v14
	ds_bpermute_b32 v2, v11, v1
	s_waitcnt lgkmcnt(0)
	v_add_f32_e32 v2, v1, v2
	s_delay_alu instid0(VALU_DEP_1) | instskip(SKIP_4) | instid1(VALU_DEP_1)
	v_cndmask_b32_e32 v1, v1, v2, vcc_lo
	v_cmp_gt_u32_e32 vcc_lo, s17, v16
	ds_bpermute_b32 v2, v13, v1
	s_waitcnt lgkmcnt(0)
	v_add_f32_e32 v2, v1, v2
	v_cndmask_b32_e32 v1, v1, v2, vcc_lo
	v_cmp_gt_u32_e32 vcc_lo, s17, v17
	ds_bpermute_b32 v2, v15, v1
	s_waitcnt lgkmcnt(0)
	v_add_f32_e32 v2, v1, v2
	s_delay_alu instid0(VALU_DEP_1)
	v_cndmask_b32_e32 v1, v1, v2, vcc_lo
.LBB16_54:
	s_or_b32 exec_lo, exec_lo, s4
	v_cmp_eq_u32_e64 s4, 0, v0
	s_delay_alu instid0(VALU_DEP_1)
	s_and_saveexec_b32 s17, s4
	s_cbranch_execz .LBB16_56
; %bb.55:
	v_cvt_f32_i32_e32 v2, s21
	s_delay_alu instid0(VALU_DEP_1) | instskip(SKIP_1) | instid1(VALU_DEP_2)
	v_div_scale_f32 v3, null, v2, v2, v1
	v_div_scale_f32 v9, vcc_lo, v1, v2, v1
	v_rcp_f32_e32 v4, v3
	s_waitcnt_depctr 0xfff
	v_fma_f32 v5, -v3, v4, 1.0
	s_delay_alu instid0(VALU_DEP_1) | instskip(NEXT) | instid1(VALU_DEP_1)
	v_fmac_f32_e32 v4, v5, v4
	v_mul_f32_e32 v5, v9, v4
	s_delay_alu instid0(VALU_DEP_1) | instskip(NEXT) | instid1(VALU_DEP_1)
	v_fma_f32 v18, -v3, v5, v9
	v_fmac_f32_e32 v5, v18, v4
	s_delay_alu instid0(VALU_DEP_1) | instskip(NEXT) | instid1(VALU_DEP_1)
	v_fma_f32 v3, -v3, v5, v9
	v_div_fmas_f32 v3, v3, v4, v5
	s_delay_alu instid0(VALU_DEP_1) | instskip(NEXT) | instid1(VALU_DEP_1)
	v_div_fixup_f32 v1, v3, v2, v1
	v_add_f32_e32 v1, s20, v1
	s_delay_alu instid0(VALU_DEP_1) | instskip(SKIP_1) | instid1(VALU_DEP_2)
	v_mul_f32_e32 v2, 0x4b800000, v1
	v_cmp_gt_f32_e32 vcc_lo, 0x800000, v1
	v_cndmask_b32_e32 v1, v1, v2, vcc_lo
	s_delay_alu instid0(VALU_DEP_1) | instskip(SKIP_2) | instid1(VALU_DEP_1)
	v_rsq_f32_e32 v1, v1
	s_waitcnt_depctr 0xfff
	v_mul_f32_e32 v2, 0x45800000, v1
	v_dual_cndmask_b32 v1, v1, v2 :: v_dual_mov_b32 v2, 0
	ds_store_b32 v2, v1 offset:512
.LBB16_56:
	s_or_b32 exec_lo, exec_lo, s17
	v_mov_b32_e32 v18, 0
	s_waitcnt lgkmcnt(0)
	s_barrier
	buffer_gl0_inv
	ds_load_b32 v9, v18 offset:512
	s_and_saveexec_b32 s17, s2
	s_cbranch_execz .LBB16_66
; %bb.57:
	v_dual_mov_b32 v2, 0 :: v_dual_mov_b32 v1, v0
	v_mov_b32_e32 v18, 0
	s_mul_i32 s20, s16, 3
	s_lshl_b32 s23, s16, 1
	s_mov_b32 s22, 0
	s_add_i32 s28, s16, s16
                                        ; implicit-def: $sgpr29
	s_branch .LBB16_61
.LBB16_58:                              ;   in Loop: Header=BB16_61 Depth=1
	s_or_b32 exec_lo, exec_lo, s33
	s_delay_alu instid0(SALU_CYCLE_1)
	s_or_not1_b32 s33, s34, exec_lo
.LBB16_59:                              ;   in Loop: Header=BB16_61 Depth=1
	s_or_b32 exec_lo, exec_lo, s31
	s_delay_alu instid0(SALU_CYCLE_1) | instskip(SKIP_1) | instid1(SALU_CYCLE_1)
	s_and_not1_b32 s29, s29, exec_lo
	s_and_b32 s31, s33, exec_lo
	s_or_b32 s29, s29, s31
.LBB16_60:                              ;   in Loop: Header=BB16_61 Depth=1
	s_or_b32 exec_lo, exec_lo, s30
	s_delay_alu instid0(SALU_CYCLE_1) | instskip(NEXT) | instid1(SALU_CYCLE_1)
	s_and_b32 s30, exec_lo, s29
	s_or_b32 s22, s30, s22
	s_delay_alu instid0(SALU_CYCLE_1)
	s_and_not1_b32 exec_lo, exec_lo, s22
	s_cbranch_execz .LBB16_65
.LBB16_61:                              ; =>This Inner Loop Header: Depth=1
	v_lshlrev_b64 v[3:4], 3, v[1:2]
	s_or_b32 s29, s29, exec_lo
	s_mov_b32 s30, exec_lo
	s_delay_alu instid0(VALU_DEP_1) | instskip(NEXT) | instid1(VALU_DEP_2)
	v_add_co_u32 v19, vcc_lo, s9, v3
	v_add_co_ci_u32_e32 v20, vcc_lo, s10, v4, vcc_lo
	v_add_co_u32 v3, vcc_lo, s18, v3
	v_add_co_ci_u32_e32 v4, vcc_lo, s19, v4, vcc_lo
	global_load_b64 v[19:20], v[19:20], off
	global_load_b64 v[3:4], v[3:4], off
	s_waitcnt vmcnt(1)
	v_lshlrev_b32_e32 v21, 16, v19
	v_and_b32_e32 v5, 0xffff0000, v19
	s_waitcnt vmcnt(0)
	v_and_b32_e32 v22, 0xffff0000, v3
	v_alignbit_b32 v19, v20, v19, 16
	s_waitcnt lgkmcnt(0)
	v_dual_mul_f32 v21, v9, v21 :: v_dual_and_b32 v20, 0xffff0000, v20
	s_delay_alu instid0(VALU_DEP_1) | instskip(SKIP_1) | instid1(VALU_DEP_3)
	v_dual_mul_f32 v20, v9, v20 :: v_dual_and_b32 v19, 0xffff0000, v19
	v_mul_f32_e32 v5, v9, v5
	v_bfe_u32 v24, v21, 16, 1
	v_cmp_o_f32_e32 vcc_lo, v21, v21
	s_delay_alu instid0(VALU_DEP_4) | instskip(SKIP_3) | instid1(VALU_DEP_3)
	v_mul_f32_e32 v19, v9, v19
	v_bfe_u32 v26, v20, 16, 1
	v_bfe_u32 v25, v5, 16, 1
	v_add3_u32 v24, v21, v24, 0x7fff
	v_add3_u32 v26, v20, v26, 0x7fff
	s_delay_alu instid0(VALU_DEP_3) | instskip(NEXT) | instid1(VALU_DEP_3)
	v_add3_u32 v25, v5, v25, 0x7fff
	v_and_b32_e32 v24, 0xffff0000, v24
	s_delay_alu instid0(VALU_DEP_3) | instskip(NEXT) | instid1(VALU_DEP_3)
	v_and_b32_e32 v26, 0xffff0000, v26
	v_and_b32_e32 v25, 0xffff0000, v25
	s_delay_alu instid0(VALU_DEP_3) | instskip(SKIP_1) | instid1(VALU_DEP_3)
	v_cndmask_b32_e32 v21, 0x7fc00000, v24, vcc_lo
	v_cmp_o_f32_e32 vcc_lo, v5, v5
	v_cndmask_b32_e32 v5, 0x7fc00000, v25, vcc_lo
	v_cmp_o_f32_e32 vcc_lo, v20, v20
	s_delay_alu instid0(VALU_DEP_2)
	v_mul_f32_e32 v5, v5, v22
	v_dual_cndmask_b32 v20, 0x7fc00000, v26 :: v_dual_lshlrev_b32 v23, 16, v3
	v_alignbit_b32 v3, v4, v3, 16
	v_and_b32_e32 v4, 0xffff0000, v4
	v_bfe_u32 v27, v19, 16, 1
	v_cmp_o_f32_e32 vcc_lo, v19, v19
	v_bfe_u32 v22, v5, 16, 1
	s_delay_alu instid0(VALU_DEP_4) | instskip(NEXT) | instid1(VALU_DEP_4)
	v_dual_mul_f32 v4, v20, v4 :: v_dual_and_b32 v3, 0xffff0000, v3
	v_add3_u32 v27, v19, v27, 0x7fff
	v_mul_f32_e32 v21, v21, v23
	s_delay_alu instid0(VALU_DEP_4) | instskip(NEXT) | instid1(VALU_DEP_3)
	v_add3_u32 v22, v5, v22, 0x7fff
	v_and_b32_e32 v24, 0xffff0000, v27
	s_delay_alu instid0(VALU_DEP_3) | instskip(NEXT) | instid1(VALU_DEP_3)
	v_bfe_u32 v20, v21, 16, 1
	v_and_b32_e32 v22, 0xffff0000, v22
	s_delay_alu instid0(VALU_DEP_3) | instskip(NEXT) | instid1(VALU_DEP_3)
	v_cndmask_b32_e32 v19, 0x7fc00000, v24, vcc_lo
	v_add3_u32 v20, v21, v20, 0x7fff
	v_cmp_o_f32_e32 vcc_lo, v21, v21
	s_delay_alu instid0(VALU_DEP_3) | instskip(SKIP_1) | instid1(VALU_DEP_4)
	v_mul_f32_e32 v3, v19, v3
	v_bfe_u32 v19, v4, 16, 1
	v_and_b32_e32 v20, 0xffff0000, v20
	s_delay_alu instid0(VALU_DEP_3) | instskip(NEXT) | instid1(VALU_DEP_3)
	v_bfe_u32 v23, v3, 16, 1
	v_add3_u32 v19, v4, v19, 0x7fff
	s_delay_alu instid0(VALU_DEP_3) | instskip(SKIP_1) | instid1(VALU_DEP_4)
	v_cndmask_b32_e64 v20, 0x7fc00000, |v20|, vcc_lo
	v_cmp_o_f32_e32 vcc_lo, v5, v5
	v_add3_u32 v23, v3, v23, 0x7fff
	s_delay_alu instid0(VALU_DEP_4) | instskip(SKIP_2) | instid1(VALU_DEP_4)
	v_and_b32_e32 v19, 0xffff0000, v19
	v_cndmask_b32_e64 v5, 0x7fc00000, |v22|, vcc_lo
	v_cmp_o_f32_e32 vcc_lo, v4, v4
	v_and_b32_e32 v21, 0xffff0000, v23
	s_delay_alu instid0(VALU_DEP_3) | instskip(SKIP_4) | instid1(VALU_DEP_1)
	v_max3_f32 v5, v18, v20, v5
	v_cndmask_b32_e64 v4, 0x7fc00000, |v19|, vcc_lo
	v_cmp_o_f32_e32 vcc_lo, v3, v3
	v_add_nc_u32_e32 v3, s16, v1
	v_cndmask_b32_e64 v18, 0x7fc00000, |v21|, vcc_lo
	v_max3_f32 v18, v5, v18, v4
	s_delay_alu instid0(VALU_DEP_3)
	v_cmpx_gt_u32_e64 s11, v3
	s_cbranch_execz .LBB16_60
; %bb.62:                               ;   in Loop: Header=BB16_61 Depth=1
	v_mov_b32_e32 v4, v2
	s_mov_b32 s33, -1
	s_mov_b32 s31, exec_lo
	s_delay_alu instid0(VALU_DEP_1) | instskip(NEXT) | instid1(VALU_DEP_1)
	v_lshlrev_b64 v[4:5], 3, v[3:4]
	v_add_co_u32 v19, vcc_lo, s9, v4
	s_delay_alu instid0(VALU_DEP_2)
	v_add_co_ci_u32_e32 v20, vcc_lo, s10, v5, vcc_lo
	v_add_co_u32 v4, vcc_lo, s18, v4
	v_add_co_ci_u32_e32 v5, vcc_lo, s19, v5, vcc_lo
	global_load_b64 v[19:20], v[19:20], off
	global_load_b64 v[4:5], v[4:5], off
	s_waitcnt vmcnt(1)
	v_and_b32_e32 v21, 0xffff0000, v19
	v_lshlrev_b32_e32 v22, 16, v19
	v_alignbit_b32 v19, v20, v19, 16
	s_delay_alu instid0(VALU_DEP_3) | instskip(SKIP_1) | instid1(VALU_DEP_3)
	v_mul_f32_e32 v21, v9, v21
	s_waitcnt vmcnt(0)
	v_dual_mul_f32 v22, v9, v22 :: v_dual_and_b32 v23, 0xffff0000, v4
	s_delay_alu instid0(VALU_DEP_3) | instskip(SKIP_2) | instid1(VALU_DEP_4)
	v_and_b32_e32 v19, 0xffff0000, v19
	v_and_b32_e32 v20, 0xffff0000, v20
	v_bfe_u32 v26, v21, 16, 1
	v_bfe_u32 v25, v22, 16, 1
	s_delay_alu instid0(VALU_DEP_4) | instskip(NEXT) | instid1(VALU_DEP_4)
	v_mul_f32_e32 v19, v9, v19
	v_mul_f32_e32 v20, v9, v20
	s_delay_alu instid0(VALU_DEP_4)
	v_add3_u32 v26, v21, v26, 0x7fff
	v_cmp_o_f32_e32 vcc_lo, v22, v22
	v_add3_u32 v25, v22, v25, 0x7fff
	v_bfe_u32 v28, v19, 16, 1
	v_bfe_u32 v27, v20, 16, 1
	v_and_b32_e32 v26, 0xffff0000, v26
	s_delay_alu instid0(VALU_DEP_4) | instskip(NEXT) | instid1(VALU_DEP_4)
	v_and_b32_e32 v25, 0xffff0000, v25
	v_add3_u32 v28, v19, v28, 0x7fff
	s_delay_alu instid0(VALU_DEP_4) | instskip(NEXT) | instid1(VALU_DEP_3)
	v_add3_u32 v27, v20, v27, 0x7fff
	v_cndmask_b32_e32 v22, 0x7fc00000, v25, vcc_lo
	v_cmp_o_f32_e32 vcc_lo, v21, v21
	v_lshlrev_b32_e32 v24, 16, v4
	s_delay_alu instid0(VALU_DEP_4)
	v_and_b32_e32 v27, 0xffff0000, v27
	v_alignbit_b32 v4, v5, v4, 16
	v_and_b32_e32 v25, 0xffff0000, v28
	v_cndmask_b32_e32 v21, 0x7fc00000, v26, vcc_lo
	v_cmp_o_f32_e32 vcc_lo, v20, v20
	v_dual_mul_f32 v22, v22, v24 :: v_dual_and_b32 v5, 0xffff0000, v5
	s_delay_alu instid0(VALU_DEP_3) | instskip(SKIP_2) | instid1(VALU_DEP_3)
	v_dual_mul_f32 v21, v21, v23 :: v_dual_and_b32 v4, 0xffff0000, v4
	v_cndmask_b32_e32 v20, 0x7fc00000, v27, vcc_lo
	v_cmp_o_f32_e32 vcc_lo, v19, v19
	v_bfe_u32 v23, v21, 16, 1
	s_delay_alu instid0(VALU_DEP_3) | instskip(SKIP_4) | instid1(VALU_DEP_4)
	v_mul_f32_e32 v5, v20, v5
	v_bfe_u32 v20, v22, 16, 1
	v_cndmask_b32_e32 v19, 0x7fc00000, v25, vcc_lo
	v_cmp_o_f32_e32 vcc_lo, v22, v22
	v_add3_u32 v23, v21, v23, 0x7fff
	v_add3_u32 v20, v22, v20, 0x7fff
	s_delay_alu instid0(VALU_DEP_4) | instskip(SKIP_1) | instid1(VALU_DEP_4)
	v_mul_f32_e32 v4, v19, v4
	v_bfe_u32 v19, v5, 16, 1
	v_and_b32_e32 v23, 0xffff0000, v23
	s_delay_alu instid0(VALU_DEP_4) | instskip(NEXT) | instid1(VALU_DEP_4)
	v_and_b32_e32 v20, 0xffff0000, v20
	v_bfe_u32 v24, v4, 16, 1
	s_delay_alu instid0(VALU_DEP_4) | instskip(NEXT) | instid1(VALU_DEP_3)
	v_add3_u32 v19, v5, v19, 0x7fff
	v_cndmask_b32_e64 v20, 0x7fc00000, |v20|, vcc_lo
	v_cmp_o_f32_e32 vcc_lo, v21, v21
	s_delay_alu instid0(VALU_DEP_4) | instskip(NEXT) | instid1(VALU_DEP_4)
	v_add3_u32 v24, v4, v24, 0x7fff
	v_and_b32_e32 v19, 0xffff0000, v19
	v_cndmask_b32_e64 v21, 0x7fc00000, |v23|, vcc_lo
	v_cmp_o_f32_e32 vcc_lo, v5, v5
	s_delay_alu instid0(VALU_DEP_4) | instskip(NEXT) | instid1(VALU_DEP_3)
	v_and_b32_e32 v22, 0xffff0000, v24
	v_max3_f32 v18, v18, v20, v21
	v_cndmask_b32_e64 v5, 0x7fc00000, |v19|, vcc_lo
	v_cmp_o_f32_e32 vcc_lo, v4, v4
	v_add_nc_u32_e32 v4, s23, v1
	v_cndmask_b32_e64 v19, 0x7fc00000, |v22|, vcc_lo
	s_delay_alu instid0(VALU_DEP_1) | instskip(NEXT) | instid1(VALU_DEP_3)
	v_max3_f32 v18, v18, v19, v5
	v_cmpx_gt_u32_e64 s11, v4
	s_cbranch_execz .LBB16_59
; %bb.63:                               ;   in Loop: Header=BB16_61 Depth=1
	v_mov_b32_e32 v5, v2
	v_add_nc_u32_e32 v1, s20, v1
	s_mov_b32 s34, -1
	s_mov_b32 s33, exec_lo
	s_delay_alu instid0(VALU_DEP_2) | instskip(NEXT) | instid1(VALU_DEP_1)
	v_lshlrev_b64 v[4:5], 3, v[4:5]
	v_add_co_u32 v19, vcc_lo, s9, v4
	s_delay_alu instid0(VALU_DEP_2)
	v_add_co_ci_u32_e32 v20, vcc_lo, s10, v5, vcc_lo
	v_add_co_u32 v4, vcc_lo, s18, v4
	v_add_co_ci_u32_e32 v5, vcc_lo, s19, v5, vcc_lo
	global_load_b64 v[19:20], v[19:20], off
	global_load_b64 v[4:5], v[4:5], off
	s_waitcnt vmcnt(1)
	v_lshlrev_b32_e32 v22, 16, v19
	v_and_b32_e32 v21, 0xffff0000, v19
	v_alignbit_b32 v19, v20, v19, 16
	s_waitcnt vmcnt(0)
	s_delay_alu instid0(VALU_DEP_3) | instskip(NEXT) | instid1(VALU_DEP_3)
	v_dual_mul_f32 v22, v9, v22 :: v_dual_and_b32 v23, 0xffff0000, v4
	v_dual_mul_f32 v21, v9, v21 :: v_dual_and_b32 v20, 0xffff0000, v20
	s_delay_alu instid0(VALU_DEP_3) | instskip(NEXT) | instid1(VALU_DEP_3)
	v_and_b32_e32 v19, 0xffff0000, v19
	v_bfe_u32 v25, v22, 16, 1
	s_delay_alu instid0(VALU_DEP_3) | instskip(NEXT) | instid1(VALU_DEP_4)
	v_mul_f32_e32 v20, v9, v20
	v_bfe_u32 v26, v21, 16, 1
	v_cmp_o_f32_e32 vcc_lo, v22, v22
	v_dual_mul_f32 v19, v9, v19 :: v_dual_lshlrev_b32 v24, 16, v4
	v_add3_u32 v25, v22, v25, 0x7fff
	v_bfe_u32 v27, v20, 16, 1
	v_add3_u32 v26, v21, v26, 0x7fff
	v_alignbit_b32 v4, v5, v4, 16
	v_bfe_u32 v28, v19, 16, 1
	v_and_b32_e32 v25, 0xffff0000, v25
	v_add3_u32 v27, v20, v27, 0x7fff
	s_delay_alu instid0(VALU_DEP_3) | instskip(NEXT) | instid1(VALU_DEP_3)
	v_add3_u32 v28, v19, v28, 0x7fff
	v_cndmask_b32_e32 v22, 0x7fc00000, v25, vcc_lo
	v_and_b32_e32 v5, 0xffff0000, v5
	v_cmp_o_f32_e32 vcc_lo, v21, v21
	v_and_b32_e32 v27, 0xffff0000, v27
	v_and_b32_e32 v25, 0xffff0000, v28
	v_mul_f32_e32 v22, v22, v24
	v_and_b32_e32 v26, 0xffff0000, v26
	s_delay_alu instid0(VALU_DEP_1) | instskip(SKIP_1) | instid1(VALU_DEP_2)
	v_cndmask_b32_e32 v21, 0x7fc00000, v26, vcc_lo
	v_cmp_o_f32_e32 vcc_lo, v20, v20
	v_dual_mul_f32 v21, v21, v23 :: v_dual_and_b32 v4, 0xffff0000, v4
	v_cndmask_b32_e32 v20, 0x7fc00000, v27, vcc_lo
	v_cmp_o_f32_e32 vcc_lo, v19, v19
	s_delay_alu instid0(VALU_DEP_3) | instskip(NEXT) | instid1(VALU_DEP_3)
	v_bfe_u32 v23, v21, 16, 1
	v_mul_f32_e32 v5, v20, v5
	v_bfe_u32 v20, v22, 16, 1
	v_cndmask_b32_e32 v19, 0x7fc00000, v25, vcc_lo
	v_cmp_o_f32_e32 vcc_lo, v22, v22
	v_add3_u32 v23, v21, v23, 0x7fff
	s_delay_alu instid0(VALU_DEP_4) | instskip(NEXT) | instid1(VALU_DEP_4)
	v_add3_u32 v20, v22, v20, 0x7fff
	v_mul_f32_e32 v4, v19, v4
	v_bfe_u32 v19, v5, 16, 1
	s_delay_alu instid0(VALU_DEP_4) | instskip(NEXT) | instid1(VALU_DEP_4)
	v_and_b32_e32 v23, 0xffff0000, v23
	v_and_b32_e32 v20, 0xffff0000, v20
	s_delay_alu instid0(VALU_DEP_4) | instskip(NEXT) | instid1(VALU_DEP_4)
	v_bfe_u32 v24, v4, 16, 1
	v_add3_u32 v19, v5, v19, 0x7fff
	s_delay_alu instid0(VALU_DEP_3) | instskip(SKIP_1) | instid1(VALU_DEP_4)
	v_cndmask_b32_e64 v20, 0x7fc00000, |v20|, vcc_lo
	v_cmp_o_f32_e32 vcc_lo, v21, v21
	v_add3_u32 v24, v4, v24, 0x7fff
	s_delay_alu instid0(VALU_DEP_4) | instskip(SKIP_2) | instid1(VALU_DEP_4)
	v_and_b32_e32 v19, 0xffff0000, v19
	v_cndmask_b32_e64 v21, 0x7fc00000, |v23|, vcc_lo
	v_cmp_o_f32_e32 vcc_lo, v5, v5
	v_and_b32_e32 v22, 0xffff0000, v24
	s_delay_alu instid0(VALU_DEP_3) | instskip(SKIP_2) | instid1(VALU_DEP_4)
	v_max3_f32 v18, v18, v20, v21
	v_cndmask_b32_e64 v5, 0x7fc00000, |v19|, vcc_lo
	v_cmp_o_f32_e32 vcc_lo, v4, v4
	v_cndmask_b32_e64 v4, 0x7fc00000, |v22|, vcc_lo
	s_delay_alu instid0(VALU_DEP_1)
	v_max3_f32 v18, v18, v4, v5
	v_cmpx_gt_u32_e64 s11, v1
	s_xor_b32 s33, exec_lo, s33
	s_cbranch_execz .LBB16_58
; %bb.64:                               ;   in Loop: Header=BB16_61 Depth=1
	v_lshlrev_b64 v[4:5], 3, v[1:2]
	s_delay_alu instid0(VALU_DEP_1) | instskip(NEXT) | instid1(VALU_DEP_2)
	v_add_co_u32 v19, vcc_lo, s9, v4
	v_add_co_ci_u32_e32 v20, vcc_lo, s10, v5, vcc_lo
	v_add_co_u32 v4, vcc_lo, s18, v4
	v_add_co_ci_u32_e32 v5, vcc_lo, s19, v5, vcc_lo
	global_load_b64 v[19:20], v[19:20], off
	global_load_b64 v[4:5], v[4:5], off
	s_waitcnt vmcnt(1)
	v_lshlrev_b32_e32 v21, 16, v19
	v_and_b32_e32 v1, 0xffff0000, v19
	s_waitcnt vmcnt(0)
	v_and_b32_e32 v22, 0xffff0000, v4
	v_alignbit_b32 v19, v20, v19, 16
	v_dual_mul_f32 v21, v9, v21 :: v_dual_and_b32 v20, 0xffff0000, v20
	v_lshlrev_b32_e32 v23, 16, v4
	v_alignbit_b32 v4, v5, v4, 16
	s_delay_alu instid0(VALU_DEP_3) | instskip(SKIP_3) | instid1(VALU_DEP_4)
	v_dual_mul_f32 v20, v9, v20 :: v_dual_and_b32 v19, 0xffff0000, v19
	v_mul_f32_e32 v1, v9, v1
	v_bfe_u32 v24, v21, 16, 1
	v_cmp_o_f32_e32 vcc_lo, v21, v21
	v_dual_mul_f32 v19, v9, v19 :: v_dual_and_b32 v4, 0xffff0000, v4
	s_delay_alu instid0(VALU_DEP_4) | instskip(NEXT) | instid1(VALU_DEP_4)
	v_bfe_u32 v25, v1, 16, 1
	v_add3_u32 v24, v21, v24, 0x7fff
	v_bfe_u32 v26, v20, 16, 1
	s_delay_alu instid0(VALU_DEP_4) | instskip(NEXT) | instid1(VALU_DEP_4)
	v_bfe_u32 v27, v19, 16, 1
	v_add3_u32 v25, v1, v25, 0x7fff
	s_delay_alu instid0(VALU_DEP_4) | instskip(NEXT) | instid1(VALU_DEP_4)
	v_and_b32_e32 v24, 0xffff0000, v24
	v_add3_u32 v26, v20, v26, 0x7fff
	s_delay_alu instid0(VALU_DEP_4) | instskip(NEXT) | instid1(VALU_DEP_4)
	v_add3_u32 v27, v19, v27, 0x7fff
	v_and_b32_e32 v25, 0xffff0000, v25
	s_delay_alu instid0(VALU_DEP_4) | instskip(SKIP_1) | instid1(VALU_DEP_2)
	v_cndmask_b32_e32 v21, 0x7fc00000, v24, vcc_lo
	v_cmp_o_f32_e32 vcc_lo, v1, v1
	v_dual_mul_f32 v21, v21, v23 :: v_dual_and_b32 v26, 0xffff0000, v26
	s_delay_alu instid0(VALU_DEP_4) | instskip(SKIP_1) | instid1(VALU_DEP_2)
	v_cndmask_b32_e32 v1, 0x7fc00000, v25, vcc_lo
	v_cmp_o_f32_e32 vcc_lo, v20, v20
	v_dual_mul_f32 v1, v1, v22 :: v_dual_and_b32 v24, 0xffff0000, v27
	s_delay_alu instid0(VALU_DEP_4) | instskip(SKIP_2) | instid1(VALU_DEP_4)
	v_cndmask_b32_e32 v20, 0x7fc00000, v26, vcc_lo
	v_cmp_o_f32_e32 vcc_lo, v19, v19
	v_bfe_u32 v22, v21, 16, 1
	v_cndmask_b32_e32 v19, 0x7fc00000, v24, vcc_lo
	v_and_b32_e32 v5, 0xffff0000, v5
	v_cmp_o_f32_e32 vcc_lo, v21, v21
	s_delay_alu instid0(VALU_DEP_2) | instskip(SKIP_2) | instid1(VALU_DEP_3)
	v_dual_mul_f32 v4, v19, v4 :: v_dual_mul_f32 v5, v20, v5
	v_bfe_u32 v20, v1, 16, 1
	v_add3_u32 v19, v21, v22, 0x7fff
	v_bfe_u32 v23, v4, 16, 1
	s_delay_alu instid0(VALU_DEP_4) | instskip(NEXT) | instid1(VALU_DEP_4)
	v_bfe_u32 v22, v5, 16, 1
	v_add3_u32 v20, v1, v20, 0x7fff
	s_delay_alu instid0(VALU_DEP_4) | instskip(NEXT) | instid1(VALU_DEP_4)
	v_and_b32_e32 v19, 0xffff0000, v19
	v_add3_u32 v23, v4, v23, 0x7fff
	s_delay_alu instid0(VALU_DEP_4) | instskip(NEXT) | instid1(VALU_DEP_4)
	v_add3_u32 v22, v5, v22, 0x7fff
	v_and_b32_e32 v20, 0xffff0000, v20
	s_delay_alu instid0(VALU_DEP_4)
	v_cndmask_b32_e64 v19, 0x7fc00000, |v19|, vcc_lo
	v_cmp_o_f32_e32 vcc_lo, v1, v1
	v_and_b32_e32 v21, 0xffff0000, v23
	v_add3_u32 v1, s28, s16, v3
	v_and_b32_e32 v3, 0xffff0000, v22
	v_cndmask_b32_e64 v20, 0x7fc00000, |v20|, vcc_lo
	v_cmp_o_f32_e32 vcc_lo, v4, v4
	s_delay_alu instid0(VALU_DEP_2) | instskip(SKIP_4) | instid1(VALU_DEP_2)
	v_max3_f32 v18, v18, v19, v20
	v_cndmask_b32_e64 v4, 0x7fc00000, |v21|, vcc_lo
	v_cmp_o_f32_e32 vcc_lo, v5, v5
	v_cndmask_b32_e64 v3, 0x7fc00000, |v3|, vcc_lo
	v_cmp_le_u32_e32 vcc_lo, s11, v1
	v_max3_f32 v18, v18, v4, v3
	s_or_not1_b32 s34, vcc_lo, exec_lo
	s_branch .LBB16_58
.LBB16_65:
	s_or_b32 exec_lo, exec_lo, s22
.LBB16_66:
	s_delay_alu instid0(SALU_CYCLE_1) | instskip(SKIP_4) | instid1(VALU_DEP_1)
	s_or_b32 exec_lo, exec_lo, s17
	ds_bpermute_b32 v1, v7, v18
	s_waitcnt lgkmcnt(0)
	v_cmp_lt_f32_e32 vcc_lo, v18, v1
	v_cndmask_b32_e32 v1, v18, v1, vcc_lo
	v_cndmask_b32_e64 v1, v18, v1, s0
	s_or_b32 s0, s0, s1
	s_delay_alu instid0(SALU_CYCLE_1) | instskip(NEXT) | instid1(SALU_CYCLE_1)
	s_or_b32 s0, s3, s0
	s_or_b32 s0, s5, s0
	ds_bpermute_b32 v2, v10, v1
	s_waitcnt lgkmcnt(0)
	v_cmp_lt_f32_e32 vcc_lo, v1, v2
	v_cndmask_b32_e32 v2, v1, v2, vcc_lo
	s_delay_alu instid0(VALU_DEP_1) | instskip(SKIP_4) | instid1(VALU_DEP_1)
	v_cndmask_b32_e64 v1, v1, v2, s1
	ds_bpermute_b32 v2, v11, v1
	s_waitcnt lgkmcnt(0)
	v_cmp_lt_f32_e32 vcc_lo, v1, v2
	v_cndmask_b32_e32 v2, v1, v2, vcc_lo
	v_cndmask_b32_e64 v1, v1, v2, s3
	ds_bpermute_b32 v2, v13, v1
	s_waitcnt lgkmcnt(0)
	v_cmp_lt_f32_e32 vcc_lo, v1, v2
	v_cndmask_b32_e32 v2, v1, v2, vcc_lo
	s_delay_alu instid0(VALU_DEP_1)
	v_cndmask_b32_e64 v1, v1, v2, s5
	ds_bpermute_b32 v2, v15, v1
	s_waitcnt lgkmcnt(0)
	v_cmp_lt_f32_e32 vcc_lo, v1, v2
	s_and_b32 vcc_lo, s8, vcc_lo
	v_cndmask_b32_e32 v1, v1, v2, vcc_lo
	s_or_b32 vcc_lo, s8, s0
	s_delay_alu instid0(VALU_DEP_1)
	v_cndmask_b32_e32 v1, v18, v1, vcc_lo
	s_and_saveexec_b32 s0, s6
	s_cbranch_execz .LBB16_68
; %bb.67:
	v_lshrrev_b32_e32 v2, 3, v0
	s_delay_alu instid0(VALU_DEP_1)
	v_and_b32_e32 v2, 0x7c, v2
	ds_store_b32 v2, v1 offset:128
.LBB16_68:
	s_or_b32 exec_lo, exec_lo, s0
	s_waitcnt lgkmcnt(0)
	s_barrier
	buffer_gl0_inv
	s_and_saveexec_b32 s8, s7
	s_cbranch_execz .LBB16_70
; %bb.69:
	v_lshlrev_b32_e32 v1, 2, v6
	s_add_i32 s0, s16, 31
	s_delay_alu instid0(SALU_CYCLE_1)
	s_lshr_b32 s5, s0, 5
	ds_load_b32 v1, v1 offset:128
	s_waitcnt lgkmcnt(0)
	ds_bpermute_b32 v2, v7, v1
	s_waitcnt lgkmcnt(0)
	v_cmp_lt_f32_e32 vcc_lo, v1, v2
	v_cndmask_b32_e32 v2, v1, v2, vcc_lo
	v_cmp_gt_u32_e32 vcc_lo, s5, v8
	s_delay_alu instid0(VALU_DEP_2) | instskip(SKIP_3) | instid1(VALU_DEP_1)
	v_cndmask_b32_e32 v2, v1, v2, vcc_lo
	ds_bpermute_b32 v3, v10, v2
	s_waitcnt lgkmcnt(0)
	v_cmp_lt_f32_e64 s0, v2, v3
	v_cndmask_b32_e64 v3, v2, v3, s0
	v_cmp_gt_u32_e64 s0, s5, v12
	s_delay_alu instid0(VALU_DEP_1) | instskip(SKIP_4) | instid1(VALU_DEP_1)
	v_cndmask_b32_e64 v2, v2, v3, s0
	s_or_b32 s0, vcc_lo, s0
	ds_bpermute_b32 v3, v11, v2
	s_waitcnt lgkmcnt(0)
	v_cmp_lt_f32_e64 s1, v2, v3
	v_cndmask_b32_e64 v3, v2, v3, s1
	v_cmp_gt_u32_e64 s1, s5, v14
	s_delay_alu instid0(VALU_DEP_1) | instskip(SKIP_4) | instid1(VALU_DEP_1)
	v_cndmask_b32_e64 v2, v2, v3, s1
	s_or_b32 s0, s1, s0
	ds_bpermute_b32 v3, v13, v2
	s_waitcnt lgkmcnt(0)
	v_cmp_lt_f32_e64 s3, v2, v3
	v_cndmask_b32_e64 v3, v2, v3, s3
	v_cmp_gt_u32_e64 s3, s5, v16
	v_cmp_gt_u32_e64 s5, s5, v17
	s_delay_alu instid0(VALU_DEP_2) | instskip(SKIP_4) | instid1(VALU_DEP_1)
	v_cndmask_b32_e64 v2, v2, v3, s3
	s_or_b32 s0, s3, s0
	ds_bpermute_b32 v3, v15, v2
	s_waitcnt lgkmcnt(0)
	v_cmp_lt_f32_e64 s6, v2, v3
	s_and_b32 vcc_lo, s5, s6
	v_cndmask_b32_e32 v2, v2, v3, vcc_lo
	s_or_b32 vcc_lo, s5, s0
	s_delay_alu instid0(VALU_DEP_1)
	v_cndmask_b32_e32 v1, v1, v2, vcc_lo
.LBB16_70:
	s_or_b32 exec_lo, exec_lo, s8
	s_and_saveexec_b32 s0, s4
	s_cbranch_execz .LBB16_74
; %bb.71:
	s_cmp_eq_u64 s[26:27], 0
	s_cbranch_scc1 .LBB16_73
; %bb.72:
	s_load_b32 s1, s[26:27], 0x0
	v_max_f32_e32 v1, v1, v1
	s_waitcnt lgkmcnt(0)
	v_max_f32_e64 v2, s1, s1
	s_delay_alu instid0(VALU_DEP_1)
	v_min_f32_e32 v1, v1, v2
.LBB16_73:
	s_delay_alu instid0(VALU_DEP_1) | instskip(SKIP_2) | instid1(VALU_DEP_2)
	v_div_scale_f32 v2, null, 0x43600000, 0x43600000, v1
	v_div_scale_f32 v5, vcc_lo, v1, 0x43600000, v1
	s_lshl_b64 s[4:5], s[24:25], 2
	v_rcp_f32_e32 v3, v2
	s_add_u32 s4, s14, s4
	s_addc_u32 s5, s15, s5
	s_waitcnt_depctr 0xfff
	v_fma_f32 v4, -v2, v3, 1.0
	s_delay_alu instid0(VALU_DEP_1) | instskip(NEXT) | instid1(VALU_DEP_1)
	v_fmac_f32_e32 v3, v4, v3
	v_mul_f32_e32 v4, v5, v3
	s_delay_alu instid0(VALU_DEP_1) | instskip(NEXT) | instid1(VALU_DEP_1)
	v_fma_f32 v6, -v2, v4, v5
	v_fmac_f32_e32 v4, v6, v3
	s_delay_alu instid0(VALU_DEP_1) | instskip(NEXT) | instid1(VALU_DEP_1)
	v_fma_f32 v2, -v2, v4, v5
	v_div_fmas_f32 v2, v2, v3, v4
	s_delay_alu instid0(VALU_DEP_1) | instskip(NEXT) | instid1(VALU_DEP_1)
	v_div_fixup_f32 v1, v2, 0x43600000, v1
	v_dual_mov_b32 v2, 0 :: v_dual_max_f32 v1, 0x37124925, v1
	ds_store_b32 v2, v1 offset:516
	global_store_b32 v2, v1, s[4:5]
.LBB16_74:
	s_or_b32 exec_lo, exec_lo, s0
	s_waitcnt lgkmcnt(0)
	s_waitcnt_vscnt null, 0x0
	s_barrier
	buffer_gl0_inv
	s_and_saveexec_b32 s0, s2
	s_cbranch_execz .LBB16_211
; %bb.75:
	v_mov_b32_e32 v1, 0
	s_ashr_i32 s0, s21, 31
	s_mul_hi_u32 s1, s21, s24
	s_mul_i32 s0, s0, s24
	s_mul_i32 s2, s21, s24
	ds_load_b32 v10, v1 offset:516
	s_add_i32 s1, s1, s0
	s_add_u32 s0, s12, s2
	s_addc_u32 s1, s13, s1
	s_mul_i32 s2, s16, 3
	s_lshl_b32 s3, s16, 1
	s_mov_b32 s4, 0
	s_mov_b32 s5, 0x43600000
	s_branch .LBB16_81
.LBB16_76:                              ;   in Loop: Header=BB16_81 Depth=1
	s_or_b32 exec_lo, exec_lo, s14
.LBB16_77:                              ;   in Loop: Header=BB16_81 Depth=1
	s_delay_alu instid0(SALU_CYCLE_1)
	s_or_b32 exec_lo, exec_lo, s12
	v_lshlrev_b32_e32 v6, 16, v5
	v_lshlrev_b64 v[4:5], 2, v[0:1]
	v_lshlrev_b32_e32 v8, 8, v8
	s_add_i32 s12, s16, s16
	v_and_b32_e32 v7, 0xff, v7
	v_add3_u32 v0, s12, s16, v2
	v_perm_b32 v6, v3, v6, 0x4020c0c
	v_and_b32_e32 v8, 0xff00, v8
	v_add_co_u32 v2, vcc_lo, s0, v4
	v_add_co_ci_u32_e32 v3, vcc_lo, s1, v5, vcc_lo
	v_cmp_le_u32_e32 vcc_lo, s11, v0
	s_delay_alu instid0(VALU_DEP_4)
	v_or3_b32 v4, v6, v8, v7
	s_or_not1_b32 s12, vcc_lo, exec_lo
	global_store_b32 v[2:3], v4, off
.LBB16_78:                              ;   in Loop: Header=BB16_81 Depth=1
	s_or_b32 exec_lo, exec_lo, s8
	s_delay_alu instid0(SALU_CYCLE_1)
	s_or_not1_b32 s8, s12, exec_lo
.LBB16_79:                              ;   in Loop: Header=BB16_81 Depth=1
	s_or_b32 exec_lo, exec_lo, s7
	s_delay_alu instid0(SALU_CYCLE_1)
	s_or_not1_b32 s7, s8, exec_lo
.LBB16_80:                              ;   in Loop: Header=BB16_81 Depth=1
	s_or_b32 exec_lo, exec_lo, s6
	s_delay_alu instid0(SALU_CYCLE_1) | instskip(NEXT) | instid1(SALU_CYCLE_1)
	s_and_b32 s6, exec_lo, s7
	s_or_b32 s4, s6, s4
	s_delay_alu instid0(SALU_CYCLE_1)
	s_and_not1_b32 exec_lo, exec_lo, s4
	s_cbranch_execz .LBB16_211
.LBB16_81:                              ; =>This Inner Loop Header: Depth=1
	v_lshlrev_b64 v[2:3], 3, v[0:1]
	s_mov_b32 s6, exec_lo
	s_delay_alu instid0(VALU_DEP_1) | instskip(NEXT) | instid1(VALU_DEP_2)
	v_add_co_u32 v4, vcc_lo, s9, v2
	v_add_co_ci_u32_e32 v5, vcc_lo, s10, v3, vcc_lo
	v_add_co_u32 v2, vcc_lo, s18, v2
	v_add_co_ci_u32_e32 v3, vcc_lo, s19, v3, vcc_lo
	global_load_b64 v[4:5], v[4:5], off
	global_load_b64 v[2:3], v[2:3], off
	s_waitcnt vmcnt(1)
	v_lshlrev_b32_e32 v6, 16, v4
	s_waitcnt vmcnt(0)
	v_lshlrev_b32_e32 v8, 16, v2
	s_delay_alu instid0(VALU_DEP_2) | instskip(NEXT) | instid1(VALU_DEP_1)
	v_mul_f32_e32 v6, v9, v6
	v_bfe_u32 v7, v6, 16, 1
	s_delay_alu instid0(VALU_DEP_1) | instskip(NEXT) | instid1(VALU_DEP_1)
	v_add3_u32 v7, v6, v7, 0x7fff
	v_and_b32_e32 v7, 0xffff0000, v7
	v_cmp_o_f32_e32 vcc_lo, v6, v6
	s_delay_alu instid0(VALU_DEP_2) | instskip(NEXT) | instid1(VALU_DEP_1)
	v_cndmask_b32_e32 v6, 0x7fc00000, v7, vcc_lo
	v_mul_f32_e32 v6, v6, v8
	s_delay_alu instid0(VALU_DEP_1) | instskip(NEXT) | instid1(VALU_DEP_1)
	v_bfe_u32 v7, v6, 16, 1
	v_add3_u32 v7, v6, v7, 0x7fff
	s_delay_alu instid0(VALU_DEP_1) | instskip(SKIP_1) | instid1(VALU_DEP_2)
	v_and_b32_e32 v7, 0xffff0000, v7
	v_cmp_o_f32_e32 vcc_lo, v6, v6
	v_cndmask_b32_e32 v6, 0x7fc00000, v7, vcc_lo
	s_waitcnt lgkmcnt(0)
	s_delay_alu instid0(VALU_DEP_1) | instskip(SKIP_1) | instid1(VALU_DEP_2)
	v_div_scale_f32 v7, null, v10, v10, v6
	v_div_scale_f32 v12, vcc_lo, v6, v10, v6
	v_rcp_f32_e32 v8, v7
	s_waitcnt_depctr 0xfff
	v_fma_f32 v11, -v7, v8, 1.0
	s_delay_alu instid0(VALU_DEP_1) | instskip(NEXT) | instid1(VALU_DEP_1)
	v_fmac_f32_e32 v8, v11, v8
	v_mul_f32_e32 v11, v12, v8
	s_delay_alu instid0(VALU_DEP_1) | instskip(NEXT) | instid1(VALU_DEP_1)
	v_fma_f32 v13, -v7, v11, v12
	v_fmac_f32_e32 v11, v13, v8
	s_delay_alu instid0(VALU_DEP_1) | instskip(NEXT) | instid1(VALU_DEP_1)
	v_fma_f32 v7, -v7, v11, v12
	v_div_fmas_f32 v7, v7, v8, v11
	s_delay_alu instid0(VALU_DEP_1) | instskip(SKIP_1) | instid1(VALU_DEP_2)
	v_div_fixup_f32 v6, v7, v10, v6
	v_mov_b32_e32 v7, 0x80
	v_minmax_f32 v8, v6, s5, 0xc3600000
	v_mov_b32_e32 v6, 0x80
	s_delay_alu instid0(VALU_DEP_2) | instskip(NEXT) | instid1(VALU_DEP_1)
	v_and_b32_e32 v11, 0x7fffffff, v8
	v_cmpx_gt_u32_e32 0x43800000, v11
	s_cbranch_execz .LBB16_87
; %bb.82:                               ;   in Loop: Header=BB16_81 Depth=1
	v_cmp_lt_u32_e32 vcc_lo, 0x3bffffff, v11
	s_mov_b32 s7, 0
                                        ; implicit-def: $vgpr11
	s_and_saveexec_b32 s8, vcc_lo
	s_delay_alu instid0(SALU_CYCLE_1)
	s_xor_b32 s8, exec_lo, s8
	s_cbranch_execnz .LBB16_178
; %bb.83:                               ;   in Loop: Header=BB16_81 Depth=1
	s_or_saveexec_b32 s8, s8
                                        ; implicit-def: $sgpr12
	s_delay_alu instid0(SALU_CYCLE_1)
	s_xor_b32 exec_lo, exec_lo, s8
	s_cbranch_execnz .LBB16_179
.LBB16_84:                              ;   in Loop: Header=BB16_81 Depth=1
	s_or_b32 exec_lo, exec_lo, s8
	v_mov_b32_e32 v7, s12
	s_and_saveexec_b32 s8, s7
.LBB16_85:                              ;   in Loop: Header=BB16_81 Depth=1
	v_lshrrev_b32_e32 v7, 24, v8
	s_delay_alu instid0(VALU_DEP_1)
	v_and_or_b32 v7, 0x80, v7, v11
.LBB16_86:                              ;   in Loop: Header=BB16_81 Depth=1
	s_or_b32 exec_lo, exec_lo, s8
.LBB16_87:                              ;   in Loop: Header=BB16_81 Depth=1
	s_delay_alu instid0(SALU_CYCLE_1) | instskip(SKIP_3) | instid1(VALU_DEP_2)
	s_or_b32 exec_lo, exec_lo, s6
	v_and_b32_e32 v8, 0xffff0000, v4
	v_and_b32_e32 v12, 0xffff0000, v2
	s_mov_b32 s6, exec_lo
	v_mul_f32_e32 v8, v9, v8
	s_delay_alu instid0(VALU_DEP_1) | instskip(NEXT) | instid1(VALU_DEP_1)
	v_bfe_u32 v11, v8, 16, 1
	v_add3_u32 v11, v8, v11, 0x7fff
	s_delay_alu instid0(VALU_DEP_1) | instskip(SKIP_1) | instid1(VALU_DEP_2)
	v_and_b32_e32 v11, 0xffff0000, v11
	v_cmp_o_f32_e32 vcc_lo, v8, v8
	v_cndmask_b32_e32 v8, 0x7fc00000, v11, vcc_lo
	s_delay_alu instid0(VALU_DEP_1) | instskip(NEXT) | instid1(VALU_DEP_1)
	v_mul_f32_e32 v8, v8, v12
	v_bfe_u32 v11, v8, 16, 1
	s_delay_alu instid0(VALU_DEP_1) | instskip(NEXT) | instid1(VALU_DEP_1)
	v_add3_u32 v11, v8, v11, 0x7fff
	v_and_b32_e32 v11, 0xffff0000, v11
	v_cmp_o_f32_e32 vcc_lo, v8, v8
	s_delay_alu instid0(VALU_DEP_2) | instskip(NEXT) | instid1(VALU_DEP_1)
	v_cndmask_b32_e32 v8, 0x7fc00000, v11, vcc_lo
	v_div_scale_f32 v11, null, v10, v10, v8
	s_delay_alu instid0(VALU_DEP_1) | instskip(SKIP_2) | instid1(VALU_DEP_1)
	v_rcp_f32_e32 v12, v11
	s_waitcnt_depctr 0xfff
	v_fma_f32 v13, -v11, v12, 1.0
	v_fmac_f32_e32 v12, v13, v12
	v_div_scale_f32 v13, vcc_lo, v8, v10, v8
	s_delay_alu instid0(VALU_DEP_1) | instskip(NEXT) | instid1(VALU_DEP_1)
	v_mul_f32_e32 v14, v13, v12
	v_fma_f32 v15, -v11, v14, v13
	s_delay_alu instid0(VALU_DEP_1) | instskip(NEXT) | instid1(VALU_DEP_1)
	v_fmac_f32_e32 v14, v15, v12
	v_fma_f32 v11, -v11, v14, v13
	s_delay_alu instid0(VALU_DEP_1) | instskip(NEXT) | instid1(VALU_DEP_1)
	v_div_fmas_f32 v11, v11, v12, v14
	v_div_fixup_f32 v8, v11, v10, v8
	s_delay_alu instid0(VALU_DEP_1) | instskip(NEXT) | instid1(VALU_DEP_1)
	v_minmax_f32 v8, v8, s5, 0xc3600000
	v_and_b32_e32 v11, 0x7fffffff, v8
	s_delay_alu instid0(VALU_DEP_1)
	v_cmpx_gt_u32_e32 0x43800000, v11
	s_cbranch_execz .LBB16_93
; %bb.88:                               ;   in Loop: Header=BB16_81 Depth=1
	v_cmp_lt_u32_e32 vcc_lo, 0x3bffffff, v11
	s_mov_b32 s7, 0
                                        ; implicit-def: $vgpr11
	s_and_saveexec_b32 s8, vcc_lo
	s_delay_alu instid0(SALU_CYCLE_1)
	s_xor_b32 s8, exec_lo, s8
	s_cbranch_execnz .LBB16_180
; %bb.89:                               ;   in Loop: Header=BB16_81 Depth=1
	s_or_saveexec_b32 s8, s8
                                        ; implicit-def: $sgpr12
	s_delay_alu instid0(SALU_CYCLE_1)
	s_xor_b32 exec_lo, exec_lo, s8
	s_cbranch_execnz .LBB16_181
.LBB16_90:                              ;   in Loop: Header=BB16_81 Depth=1
	s_or_b32 exec_lo, exec_lo, s8
	v_mov_b32_e32 v6, s12
	s_and_saveexec_b32 s8, s7
.LBB16_91:                              ;   in Loop: Header=BB16_81 Depth=1
	v_lshrrev_b32_e32 v6, 24, v8
	s_delay_alu instid0(VALU_DEP_1)
	v_and_or_b32 v6, 0x80, v6, v11
.LBB16_92:                              ;   in Loop: Header=BB16_81 Depth=1
	s_or_b32 exec_lo, exec_lo, s8
.LBB16_93:                              ;   in Loop: Header=BB16_81 Depth=1
	s_delay_alu instid0(SALU_CYCLE_1) | instskip(SKIP_3) | instid1(VALU_DEP_2)
	s_or_b32 exec_lo, exec_lo, s6
	v_alignbit_b32 v4, v5, v4, 16
	v_alignbit_b32 v2, v3, v2, 16
	s_mov_b32 s6, exec_lo
	v_and_b32_e32 v4, 0xffff0000, v4
	s_delay_alu instid0(VALU_DEP_2) | instskip(NEXT) | instid1(VALU_DEP_2)
	v_and_b32_e32 v2, 0xffff0000, v2
	v_mul_f32_e32 v4, v9, v4
	s_delay_alu instid0(VALU_DEP_1) | instskip(SKIP_1) | instid1(VALU_DEP_2)
	v_bfe_u32 v8, v4, 16, 1
	v_cmp_o_f32_e32 vcc_lo, v4, v4
	v_add3_u32 v8, v4, v8, 0x7fff
	s_delay_alu instid0(VALU_DEP_1) | instskip(NEXT) | instid1(VALU_DEP_1)
	v_and_b32_e32 v8, 0xffff0000, v8
	v_cndmask_b32_e32 v4, 0x7fc00000, v8, vcc_lo
	s_delay_alu instid0(VALU_DEP_1) | instskip(NEXT) | instid1(VALU_DEP_1)
	v_mul_f32_e32 v2, v4, v2
	v_bfe_u32 v4, v2, 16, 1
	v_cmp_o_f32_e32 vcc_lo, v2, v2
	s_delay_alu instid0(VALU_DEP_2) | instskip(NEXT) | instid1(VALU_DEP_1)
	v_add3_u32 v4, v2, v4, 0x7fff
	v_and_b32_e32 v4, 0xffff0000, v4
	s_delay_alu instid0(VALU_DEP_1) | instskip(NEXT) | instid1(VALU_DEP_1)
	v_cndmask_b32_e32 v2, 0x7fc00000, v4, vcc_lo
	v_div_scale_f32 v4, null, v10, v10, v2
	v_div_scale_f32 v12, vcc_lo, v2, v10, v2
	s_delay_alu instid0(VALU_DEP_2) | instskip(SKIP_2) | instid1(VALU_DEP_1)
	v_rcp_f32_e32 v8, v4
	s_waitcnt_depctr 0xfff
	v_fma_f32 v11, -v4, v8, 1.0
	v_fmac_f32_e32 v8, v11, v8
	s_delay_alu instid0(VALU_DEP_1) | instskip(NEXT) | instid1(VALU_DEP_1)
	v_mul_f32_e32 v11, v12, v8
	v_fma_f32 v13, -v4, v11, v12
	s_delay_alu instid0(VALU_DEP_1) | instskip(NEXT) | instid1(VALU_DEP_1)
	v_fmac_f32_e32 v11, v13, v8
	v_fma_f32 v4, -v4, v11, v12
	s_delay_alu instid0(VALU_DEP_1) | instskip(NEXT) | instid1(VALU_DEP_1)
	v_div_fmas_f32 v4, v4, v8, v11
	v_div_fixup_f32 v2, v4, v10, v2
	v_mov_b32_e32 v4, 0x80
	s_delay_alu instid0(VALU_DEP_2) | instskip(SKIP_1) | instid1(VALU_DEP_2)
	v_minmax_f32 v8, v2, s5, 0xc3600000
	v_mov_b32_e32 v2, 0x80
	v_and_b32_e32 v11, 0x7fffffff, v8
	s_delay_alu instid0(VALU_DEP_1)
	v_cmpx_gt_u32_e32 0x43800000, v11
	s_cbranch_execz .LBB16_99
; %bb.94:                               ;   in Loop: Header=BB16_81 Depth=1
	v_cmp_lt_u32_e32 vcc_lo, 0x3bffffff, v11
	s_mov_b32 s7, 0
                                        ; implicit-def: $vgpr11
	s_and_saveexec_b32 s8, vcc_lo
	s_delay_alu instid0(SALU_CYCLE_1)
	s_xor_b32 s8, exec_lo, s8
	s_cbranch_execnz .LBB16_182
; %bb.95:                               ;   in Loop: Header=BB16_81 Depth=1
	s_or_saveexec_b32 s8, s8
                                        ; implicit-def: $sgpr12
	s_delay_alu instid0(SALU_CYCLE_1)
	s_xor_b32 exec_lo, exec_lo, s8
	s_cbranch_execnz .LBB16_183
.LBB16_96:                              ;   in Loop: Header=BB16_81 Depth=1
	s_or_b32 exec_lo, exec_lo, s8
	v_mov_b32_e32 v4, s12
	s_and_saveexec_b32 s8, s7
.LBB16_97:                              ;   in Loop: Header=BB16_81 Depth=1
	v_lshrrev_b32_e32 v4, 24, v8
	s_delay_alu instid0(VALU_DEP_1)
	v_and_or_b32 v4, 0x80, v4, v11
.LBB16_98:                              ;   in Loop: Header=BB16_81 Depth=1
	s_or_b32 exec_lo, exec_lo, s8
.LBB16_99:                              ;   in Loop: Header=BB16_81 Depth=1
	s_delay_alu instid0(SALU_CYCLE_1) | instskip(SKIP_3) | instid1(VALU_DEP_2)
	s_or_b32 exec_lo, exec_lo, s6
	v_and_b32_e32 v5, 0xffff0000, v5
	v_and_b32_e32 v3, 0xffff0000, v3
	s_mov_b32 s6, exec_lo
	v_mul_f32_e32 v5, v9, v5
	s_delay_alu instid0(VALU_DEP_1) | instskip(NEXT) | instid1(VALU_DEP_1)
	v_bfe_u32 v8, v5, 16, 1
	v_add3_u32 v8, v5, v8, 0x7fff
	s_delay_alu instid0(VALU_DEP_1) | instskip(SKIP_1) | instid1(VALU_DEP_2)
	v_and_b32_e32 v8, 0xffff0000, v8
	v_cmp_o_f32_e32 vcc_lo, v5, v5
	v_cndmask_b32_e32 v5, 0x7fc00000, v8, vcc_lo
	s_delay_alu instid0(VALU_DEP_1) | instskip(NEXT) | instid1(VALU_DEP_1)
	v_mul_f32_e32 v3, v5, v3
	v_bfe_u32 v5, v3, 16, 1
	v_cmp_o_f32_e32 vcc_lo, v3, v3
	s_delay_alu instid0(VALU_DEP_2) | instskip(NEXT) | instid1(VALU_DEP_1)
	v_add3_u32 v5, v3, v5, 0x7fff
	v_and_b32_e32 v5, 0xffff0000, v5
	s_delay_alu instid0(VALU_DEP_1) | instskip(NEXT) | instid1(VALU_DEP_1)
	v_cndmask_b32_e32 v3, 0x7fc00000, v5, vcc_lo
	v_div_scale_f32 v5, null, v10, v10, v3
	s_delay_alu instid0(VALU_DEP_1) | instskip(SKIP_2) | instid1(VALU_DEP_1)
	v_rcp_f32_e32 v8, v5
	s_waitcnt_depctr 0xfff
	v_fma_f32 v11, -v5, v8, 1.0
	v_fmac_f32_e32 v8, v11, v8
	v_div_scale_f32 v11, vcc_lo, v3, v10, v3
	s_delay_alu instid0(VALU_DEP_1) | instskip(NEXT) | instid1(VALU_DEP_1)
	v_mul_f32_e32 v12, v11, v8
	v_fma_f32 v13, -v5, v12, v11
	s_delay_alu instid0(VALU_DEP_1) | instskip(NEXT) | instid1(VALU_DEP_1)
	v_fmac_f32_e32 v12, v13, v8
	v_fma_f32 v5, -v5, v12, v11
	s_delay_alu instid0(VALU_DEP_1) | instskip(NEXT) | instid1(VALU_DEP_1)
	v_div_fmas_f32 v5, v5, v8, v12
	v_div_fixup_f32 v3, v5, v10, v3
	s_delay_alu instid0(VALU_DEP_1) | instskip(NEXT) | instid1(VALU_DEP_1)
	v_minmax_f32 v3, v3, s5, 0xc3600000
	v_and_b32_e32 v5, 0x7fffffff, v3
	s_delay_alu instid0(VALU_DEP_1)
	v_cmpx_gt_u32_e32 0x43800000, v5
	s_cbranch_execz .LBB16_105
; %bb.100:                              ;   in Loop: Header=BB16_81 Depth=1
	v_cmp_lt_u32_e32 vcc_lo, 0x3bffffff, v5
	s_mov_b32 s7, 0
                                        ; implicit-def: $vgpr5
	s_and_saveexec_b32 s8, vcc_lo
	s_delay_alu instid0(SALU_CYCLE_1)
	s_xor_b32 s8, exec_lo, s8
	s_cbranch_execnz .LBB16_184
; %bb.101:                              ;   in Loop: Header=BB16_81 Depth=1
	s_or_saveexec_b32 s8, s8
                                        ; implicit-def: $sgpr12
	s_delay_alu instid0(SALU_CYCLE_1)
	s_xor_b32 exec_lo, exec_lo, s8
	s_cbranch_execnz .LBB16_185
.LBB16_102:                             ;   in Loop: Header=BB16_81 Depth=1
	s_or_b32 exec_lo, exec_lo, s8
	v_mov_b32_e32 v2, s12
	s_and_saveexec_b32 s8, s7
.LBB16_103:                             ;   in Loop: Header=BB16_81 Depth=1
	v_lshrrev_b32_e32 v2, 24, v3
	s_delay_alu instid0(VALU_DEP_1)
	v_and_or_b32 v2, 0x80, v2, v5
.LBB16_104:                             ;   in Loop: Header=BB16_81 Depth=1
	s_or_b32 exec_lo, exec_lo, s8
.LBB16_105:                             ;   in Loop: Header=BB16_81 Depth=1
	s_delay_alu instid0(SALU_CYCLE_1)
	s_or_b32 exec_lo, exec_lo, s6
	v_lshlrev_b32_e32 v5, 16, v4
	v_lshlrev_b32_e32 v6, 8, v6
	v_lshlrev_b64 v[3:4], 2, v[0:1]
	v_and_b32_e32 v7, 0xff, v7
	s_mov_b32 s7, -1
	v_perm_b32 v5, v2, v5, 0x4020c0c
	v_and_b32_e32 v6, 0xff00, v6
	v_add_nc_u32_e32 v2, s16, v0
	v_add_co_u32 v3, vcc_lo, s0, v3
	v_add_co_ci_u32_e32 v4, vcc_lo, s1, v4, vcc_lo
	s_delay_alu instid0(VALU_DEP_4)
	v_or3_b32 v5, v5, v6, v7
	s_mov_b32 s6, exec_lo
	global_store_b32 v[3:4], v5, off
	v_cmpx_gt_u32_e64 s11, v2
	s_cbranch_execz .LBB16_80
; %bb.106:                              ;   in Loop: Header=BB16_81 Depth=1
	v_mov_b32_e32 v3, v1
	s_mov_b32 s7, exec_lo
	s_delay_alu instid0(VALU_DEP_1) | instskip(NEXT) | instid1(VALU_DEP_1)
	v_lshlrev_b64 v[4:5], 3, v[2:3]
	v_add_co_u32 v6, vcc_lo, s9, v4
	s_delay_alu instid0(VALU_DEP_2)
	v_add_co_ci_u32_e32 v7, vcc_lo, s10, v5, vcc_lo
	v_add_co_u32 v4, vcc_lo, s18, v4
	v_add_co_ci_u32_e32 v5, vcc_lo, s19, v5, vcc_lo
	global_load_b64 v[6:7], v[6:7], off
	global_load_b64 v[4:5], v[4:5], off
	s_waitcnt vmcnt(1)
	v_lshlrev_b32_e32 v8, 16, v6
	s_waitcnt vmcnt(0)
	v_lshlrev_b32_e32 v12, 16, v4
	s_delay_alu instid0(VALU_DEP_2) | instskip(NEXT) | instid1(VALU_DEP_1)
	v_mul_f32_e32 v8, v9, v8
	v_bfe_u32 v11, v8, 16, 1
	s_delay_alu instid0(VALU_DEP_1) | instskip(NEXT) | instid1(VALU_DEP_1)
	v_add3_u32 v11, v8, v11, 0x7fff
	v_and_b32_e32 v11, 0xffff0000, v11
	v_cmp_o_f32_e32 vcc_lo, v8, v8
	s_delay_alu instid0(VALU_DEP_2) | instskip(NEXT) | instid1(VALU_DEP_1)
	v_cndmask_b32_e32 v8, 0x7fc00000, v11, vcc_lo
	v_mul_f32_e32 v8, v8, v12
	s_delay_alu instid0(VALU_DEP_1) | instskip(NEXT) | instid1(VALU_DEP_1)
	v_bfe_u32 v11, v8, 16, 1
	v_add3_u32 v11, v8, v11, 0x7fff
	s_delay_alu instid0(VALU_DEP_1) | instskip(SKIP_1) | instid1(VALU_DEP_2)
	v_and_b32_e32 v11, 0xffff0000, v11
	v_cmp_o_f32_e32 vcc_lo, v8, v8
	v_cndmask_b32_e32 v8, 0x7fc00000, v11, vcc_lo
	s_delay_alu instid0(VALU_DEP_1) | instskip(SKIP_1) | instid1(VALU_DEP_2)
	v_div_scale_f32 v11, null, v10, v10, v8
	v_div_scale_f32 v14, vcc_lo, v8, v10, v8
	v_rcp_f32_e32 v12, v11
	s_waitcnt_depctr 0xfff
	v_fma_f32 v13, -v11, v12, 1.0
	s_delay_alu instid0(VALU_DEP_1) | instskip(NEXT) | instid1(VALU_DEP_1)
	v_fmac_f32_e32 v12, v13, v12
	v_mul_f32_e32 v13, v14, v12
	s_delay_alu instid0(VALU_DEP_1) | instskip(NEXT) | instid1(VALU_DEP_1)
	v_fma_f32 v15, -v11, v13, v14
	v_fmac_f32_e32 v13, v15, v12
	s_delay_alu instid0(VALU_DEP_1) | instskip(NEXT) | instid1(VALU_DEP_1)
	v_fma_f32 v11, -v11, v13, v14
	v_div_fmas_f32 v11, v11, v12, v13
	s_delay_alu instid0(VALU_DEP_1) | instskip(SKIP_1) | instid1(VALU_DEP_2)
	v_div_fixup_f32 v8, v11, v10, v8
	v_mov_b32_e32 v11, 0x80
	v_minmax_f32 v12, v8, s5, 0xc3600000
	v_mov_b32_e32 v8, 0x80
	s_delay_alu instid0(VALU_DEP_2) | instskip(NEXT) | instid1(VALU_DEP_1)
	v_and_b32_e32 v13, 0x7fffffff, v12
	v_cmpx_gt_u32_e32 0x43800000, v13
	s_cbranch_execz .LBB16_112
; %bb.107:                              ;   in Loop: Header=BB16_81 Depth=1
	v_cmp_lt_u32_e32 vcc_lo, 0x3bffffff, v13
	s_mov_b32 s8, 0
                                        ; implicit-def: $vgpr13
	s_and_saveexec_b32 s12, vcc_lo
	s_delay_alu instid0(SALU_CYCLE_1)
	s_xor_b32 s12, exec_lo, s12
	s_cbranch_execnz .LBB16_186
; %bb.108:                              ;   in Loop: Header=BB16_81 Depth=1
	s_or_saveexec_b32 s12, s12
                                        ; implicit-def: $sgpr13
	s_delay_alu instid0(SALU_CYCLE_1)
	s_xor_b32 exec_lo, exec_lo, s12
	s_cbranch_execnz .LBB16_187
.LBB16_109:                             ;   in Loop: Header=BB16_81 Depth=1
	s_or_b32 exec_lo, exec_lo, s12
	v_mov_b32_e32 v8, s13
	s_and_saveexec_b32 s12, s8
.LBB16_110:                             ;   in Loop: Header=BB16_81 Depth=1
	v_lshrrev_b32_e32 v8, 24, v12
	s_delay_alu instid0(VALU_DEP_1)
	v_and_or_b32 v8, 0x80, v8, v13
.LBB16_111:                             ;   in Loop: Header=BB16_81 Depth=1
	s_or_b32 exec_lo, exec_lo, s12
.LBB16_112:                             ;   in Loop: Header=BB16_81 Depth=1
	s_delay_alu instid0(SALU_CYCLE_1) | instskip(SKIP_3) | instid1(VALU_DEP_2)
	s_or_b32 exec_lo, exec_lo, s7
	v_and_b32_e32 v12, 0xffff0000, v6
	v_and_b32_e32 v14, 0xffff0000, v4
	s_mov_b32 s7, exec_lo
	v_mul_f32_e32 v12, v9, v12
	s_delay_alu instid0(VALU_DEP_1) | instskip(NEXT) | instid1(VALU_DEP_1)
	v_bfe_u32 v13, v12, 16, 1
	v_add3_u32 v13, v12, v13, 0x7fff
	s_delay_alu instid0(VALU_DEP_1) | instskip(SKIP_1) | instid1(VALU_DEP_2)
	v_and_b32_e32 v13, 0xffff0000, v13
	v_cmp_o_f32_e32 vcc_lo, v12, v12
	v_cndmask_b32_e32 v12, 0x7fc00000, v13, vcc_lo
	s_delay_alu instid0(VALU_DEP_1) | instskip(NEXT) | instid1(VALU_DEP_1)
	v_mul_f32_e32 v12, v12, v14
	v_bfe_u32 v13, v12, 16, 1
	s_delay_alu instid0(VALU_DEP_1) | instskip(NEXT) | instid1(VALU_DEP_1)
	v_add3_u32 v13, v12, v13, 0x7fff
	v_and_b32_e32 v13, 0xffff0000, v13
	v_cmp_o_f32_e32 vcc_lo, v12, v12
	s_delay_alu instid0(VALU_DEP_2) | instskip(NEXT) | instid1(VALU_DEP_1)
	v_cndmask_b32_e32 v12, 0x7fc00000, v13, vcc_lo
	v_div_scale_f32 v13, null, v10, v10, v12
	s_delay_alu instid0(VALU_DEP_1) | instskip(SKIP_2) | instid1(VALU_DEP_1)
	v_rcp_f32_e32 v14, v13
	s_waitcnt_depctr 0xfff
	v_fma_f32 v15, -v13, v14, 1.0
	v_fmac_f32_e32 v14, v15, v14
	v_div_scale_f32 v15, vcc_lo, v12, v10, v12
	s_delay_alu instid0(VALU_DEP_1) | instskip(NEXT) | instid1(VALU_DEP_1)
	v_mul_f32_e32 v16, v15, v14
	v_fma_f32 v17, -v13, v16, v15
	s_delay_alu instid0(VALU_DEP_1) | instskip(NEXT) | instid1(VALU_DEP_1)
	v_fmac_f32_e32 v16, v17, v14
	v_fma_f32 v13, -v13, v16, v15
	s_delay_alu instid0(VALU_DEP_1) | instskip(NEXT) | instid1(VALU_DEP_1)
	v_div_fmas_f32 v13, v13, v14, v16
	v_div_fixup_f32 v12, v13, v10, v12
	s_delay_alu instid0(VALU_DEP_1) | instskip(NEXT) | instid1(VALU_DEP_1)
	v_minmax_f32 v12, v12, s5, 0xc3600000
	v_and_b32_e32 v13, 0x7fffffff, v12
	s_delay_alu instid0(VALU_DEP_1)
	v_cmpx_gt_u32_e32 0x43800000, v13
	s_cbranch_execz .LBB16_118
; %bb.113:                              ;   in Loop: Header=BB16_81 Depth=1
	v_cmp_lt_u32_e32 vcc_lo, 0x3bffffff, v13
	s_mov_b32 s8, 0
                                        ; implicit-def: $vgpr13
	s_and_saveexec_b32 s12, vcc_lo
	s_delay_alu instid0(SALU_CYCLE_1)
	s_xor_b32 s12, exec_lo, s12
	s_cbranch_execnz .LBB16_188
; %bb.114:                              ;   in Loop: Header=BB16_81 Depth=1
	s_or_saveexec_b32 s12, s12
                                        ; implicit-def: $sgpr13
	s_delay_alu instid0(SALU_CYCLE_1)
	s_xor_b32 exec_lo, exec_lo, s12
	s_cbranch_execnz .LBB16_189
.LBB16_115:                             ;   in Loop: Header=BB16_81 Depth=1
	s_or_b32 exec_lo, exec_lo, s12
	v_mov_b32_e32 v11, s13
	s_and_saveexec_b32 s12, s8
.LBB16_116:                             ;   in Loop: Header=BB16_81 Depth=1
	v_lshrrev_b32_e32 v11, 24, v12
	s_delay_alu instid0(VALU_DEP_1)
	v_and_or_b32 v11, 0x80, v11, v13
.LBB16_117:                             ;   in Loop: Header=BB16_81 Depth=1
	s_or_b32 exec_lo, exec_lo, s12
.LBB16_118:                             ;   in Loop: Header=BB16_81 Depth=1
	s_delay_alu instid0(SALU_CYCLE_1) | instskip(SKIP_3) | instid1(VALU_DEP_2)
	s_or_b32 exec_lo, exec_lo, s7
	v_alignbit_b32 v6, v7, v6, 16
	v_alignbit_b32 v4, v5, v4, 16
	s_mov_b32 s7, exec_lo
	v_and_b32_e32 v6, 0xffff0000, v6
	s_delay_alu instid0(VALU_DEP_2) | instskip(NEXT) | instid1(VALU_DEP_2)
	v_and_b32_e32 v4, 0xffff0000, v4
	v_mul_f32_e32 v6, v9, v6
	s_delay_alu instid0(VALU_DEP_1) | instskip(SKIP_1) | instid1(VALU_DEP_2)
	v_bfe_u32 v12, v6, 16, 1
	v_cmp_o_f32_e32 vcc_lo, v6, v6
	v_add3_u32 v12, v6, v12, 0x7fff
	s_delay_alu instid0(VALU_DEP_1) | instskip(NEXT) | instid1(VALU_DEP_1)
	v_and_b32_e32 v12, 0xffff0000, v12
	v_cndmask_b32_e32 v6, 0x7fc00000, v12, vcc_lo
	s_delay_alu instid0(VALU_DEP_1) | instskip(NEXT) | instid1(VALU_DEP_1)
	v_mul_f32_e32 v4, v6, v4
	v_bfe_u32 v6, v4, 16, 1
	v_cmp_o_f32_e32 vcc_lo, v4, v4
	s_delay_alu instid0(VALU_DEP_2) | instskip(NEXT) | instid1(VALU_DEP_1)
	v_add3_u32 v6, v4, v6, 0x7fff
	v_and_b32_e32 v6, 0xffff0000, v6
	s_delay_alu instid0(VALU_DEP_1) | instskip(NEXT) | instid1(VALU_DEP_1)
	v_cndmask_b32_e32 v4, 0x7fc00000, v6, vcc_lo
	v_div_scale_f32 v6, null, v10, v10, v4
	v_div_scale_f32 v14, vcc_lo, v4, v10, v4
	s_delay_alu instid0(VALU_DEP_2) | instskip(SKIP_2) | instid1(VALU_DEP_1)
	v_rcp_f32_e32 v12, v6
	s_waitcnt_depctr 0xfff
	v_fma_f32 v13, -v6, v12, 1.0
	v_fmac_f32_e32 v12, v13, v12
	s_delay_alu instid0(VALU_DEP_1) | instskip(NEXT) | instid1(VALU_DEP_1)
	v_mul_f32_e32 v13, v14, v12
	v_fma_f32 v15, -v6, v13, v14
	s_delay_alu instid0(VALU_DEP_1) | instskip(NEXT) | instid1(VALU_DEP_1)
	v_fmac_f32_e32 v13, v15, v12
	v_fma_f32 v6, -v6, v13, v14
	s_delay_alu instid0(VALU_DEP_1) | instskip(NEXT) | instid1(VALU_DEP_1)
	v_div_fmas_f32 v6, v6, v12, v13
	v_div_fixup_f32 v4, v6, v10, v4
	v_mov_b32_e32 v6, 0x80
	s_delay_alu instid0(VALU_DEP_2) | instskip(SKIP_1) | instid1(VALU_DEP_2)
	v_minmax_f32 v12, v4, s5, 0xc3600000
	v_mov_b32_e32 v4, 0x80
	v_and_b32_e32 v13, 0x7fffffff, v12
	s_delay_alu instid0(VALU_DEP_1)
	v_cmpx_gt_u32_e32 0x43800000, v13
	s_cbranch_execz .LBB16_124
; %bb.119:                              ;   in Loop: Header=BB16_81 Depth=1
	v_cmp_lt_u32_e32 vcc_lo, 0x3bffffff, v13
	s_mov_b32 s8, 0
                                        ; implicit-def: $vgpr13
	s_and_saveexec_b32 s12, vcc_lo
	s_delay_alu instid0(SALU_CYCLE_1)
	s_xor_b32 s12, exec_lo, s12
	s_cbranch_execnz .LBB16_190
; %bb.120:                              ;   in Loop: Header=BB16_81 Depth=1
	s_or_saveexec_b32 s12, s12
                                        ; implicit-def: $sgpr13
	s_delay_alu instid0(SALU_CYCLE_1)
	s_xor_b32 exec_lo, exec_lo, s12
	s_cbranch_execnz .LBB16_191
.LBB16_121:                             ;   in Loop: Header=BB16_81 Depth=1
	s_or_b32 exec_lo, exec_lo, s12
	v_mov_b32_e32 v6, s13
	s_and_saveexec_b32 s12, s8
.LBB16_122:                             ;   in Loop: Header=BB16_81 Depth=1
	v_lshrrev_b32_e32 v6, 24, v12
	s_delay_alu instid0(VALU_DEP_1)
	v_and_or_b32 v6, 0x80, v6, v13
.LBB16_123:                             ;   in Loop: Header=BB16_81 Depth=1
	s_or_b32 exec_lo, exec_lo, s12
.LBB16_124:                             ;   in Loop: Header=BB16_81 Depth=1
	s_delay_alu instid0(SALU_CYCLE_1) | instskip(SKIP_3) | instid1(VALU_DEP_2)
	s_or_b32 exec_lo, exec_lo, s7
	v_and_b32_e32 v7, 0xffff0000, v7
	v_and_b32_e32 v5, 0xffff0000, v5
	s_mov_b32 s7, exec_lo
	v_mul_f32_e32 v7, v9, v7
	s_delay_alu instid0(VALU_DEP_1) | instskip(NEXT) | instid1(VALU_DEP_1)
	v_bfe_u32 v12, v7, 16, 1
	v_add3_u32 v12, v7, v12, 0x7fff
	s_delay_alu instid0(VALU_DEP_1) | instskip(SKIP_1) | instid1(VALU_DEP_2)
	v_and_b32_e32 v12, 0xffff0000, v12
	v_cmp_o_f32_e32 vcc_lo, v7, v7
	v_cndmask_b32_e32 v7, 0x7fc00000, v12, vcc_lo
	s_delay_alu instid0(VALU_DEP_1) | instskip(NEXT) | instid1(VALU_DEP_1)
	v_mul_f32_e32 v5, v7, v5
	v_bfe_u32 v7, v5, 16, 1
	v_cmp_o_f32_e32 vcc_lo, v5, v5
	s_delay_alu instid0(VALU_DEP_2) | instskip(NEXT) | instid1(VALU_DEP_1)
	v_add3_u32 v7, v5, v7, 0x7fff
	v_and_b32_e32 v7, 0xffff0000, v7
	s_delay_alu instid0(VALU_DEP_1) | instskip(NEXT) | instid1(VALU_DEP_1)
	v_cndmask_b32_e32 v5, 0x7fc00000, v7, vcc_lo
	v_div_scale_f32 v7, null, v10, v10, v5
	s_delay_alu instid0(VALU_DEP_1) | instskip(SKIP_2) | instid1(VALU_DEP_1)
	v_rcp_f32_e32 v12, v7
	s_waitcnt_depctr 0xfff
	v_fma_f32 v13, -v7, v12, 1.0
	v_fmac_f32_e32 v12, v13, v12
	v_div_scale_f32 v13, vcc_lo, v5, v10, v5
	s_delay_alu instid0(VALU_DEP_1) | instskip(NEXT) | instid1(VALU_DEP_1)
	v_mul_f32_e32 v14, v13, v12
	v_fma_f32 v15, -v7, v14, v13
	s_delay_alu instid0(VALU_DEP_1) | instskip(NEXT) | instid1(VALU_DEP_1)
	v_fmac_f32_e32 v14, v15, v12
	v_fma_f32 v7, -v7, v14, v13
	s_delay_alu instid0(VALU_DEP_1) | instskip(NEXT) | instid1(VALU_DEP_1)
	v_div_fmas_f32 v7, v7, v12, v14
	v_div_fixup_f32 v5, v7, v10, v5
	s_delay_alu instid0(VALU_DEP_1) | instskip(NEXT) | instid1(VALU_DEP_1)
	v_minmax_f32 v5, v5, s5, 0xc3600000
	v_and_b32_e32 v7, 0x7fffffff, v5
	s_delay_alu instid0(VALU_DEP_1)
	v_cmpx_gt_u32_e32 0x43800000, v7
	s_cbranch_execz .LBB16_130
; %bb.125:                              ;   in Loop: Header=BB16_81 Depth=1
	v_cmp_lt_u32_e32 vcc_lo, 0x3bffffff, v7
	s_mov_b32 s8, 0
                                        ; implicit-def: $vgpr7
	s_and_saveexec_b32 s12, vcc_lo
	s_delay_alu instid0(SALU_CYCLE_1)
	s_xor_b32 s12, exec_lo, s12
	s_cbranch_execnz .LBB16_192
; %bb.126:                              ;   in Loop: Header=BB16_81 Depth=1
	s_or_saveexec_b32 s12, s12
                                        ; implicit-def: $sgpr13
	s_delay_alu instid0(SALU_CYCLE_1)
	s_xor_b32 exec_lo, exec_lo, s12
	s_cbranch_execnz .LBB16_193
.LBB16_127:                             ;   in Loop: Header=BB16_81 Depth=1
	s_or_b32 exec_lo, exec_lo, s12
	v_mov_b32_e32 v4, s13
	s_and_saveexec_b32 s12, s8
.LBB16_128:                             ;   in Loop: Header=BB16_81 Depth=1
	v_lshrrev_b32_e32 v4, 24, v5
	s_delay_alu instid0(VALU_DEP_1)
	v_and_or_b32 v4, 0x80, v4, v7
.LBB16_129:                             ;   in Loop: Header=BB16_81 Depth=1
	s_or_b32 exec_lo, exec_lo, s12
.LBB16_130:                             ;   in Loop: Header=BB16_81 Depth=1
	s_delay_alu instid0(SALU_CYCLE_1)
	s_or_b32 exec_lo, exec_lo, s7
	v_lshlrev_b32_e32 v7, 16, v6
	v_lshlrev_b32_e32 v11, 8, v11
	v_lshlrev_b64 v[5:6], 2, v[2:3]
	v_and_b32_e32 v8, 0xff, v8
	v_add_nc_u32_e32 v3, s3, v0
	v_perm_b32 v7, v4, v7, 0x4020c0c
	v_and_b32_e32 v11, 0xff00, v11
	s_mov_b32 s8, -1
	v_add_co_u32 v4, vcc_lo, s0, v5
	v_add_co_ci_u32_e32 v5, vcc_lo, s1, v6, vcc_lo
	s_delay_alu instid0(VALU_DEP_3)
	v_or3_b32 v6, v7, v11, v8
	s_mov_b32 s7, exec_lo
	global_store_b32 v[4:5], v6, off
	v_cmpx_gt_u32_e64 s11, v3
	s_cbranch_execz .LBB16_79
; %bb.131:                              ;   in Loop: Header=BB16_81 Depth=1
	v_mov_b32_e32 v4, v1
	s_mov_b32 s8, exec_lo
	s_delay_alu instid0(VALU_DEP_1) | instskip(NEXT) | instid1(VALU_DEP_1)
	v_lshlrev_b64 v[5:6], 3, v[3:4]
	v_add_co_u32 v7, vcc_lo, s9, v5
	s_delay_alu instid0(VALU_DEP_2)
	v_add_co_ci_u32_e32 v8, vcc_lo, s10, v6, vcc_lo
	v_add_co_u32 v5, vcc_lo, s18, v5
	v_add_co_ci_u32_e32 v6, vcc_lo, s19, v6, vcc_lo
	global_load_b64 v[7:8], v[7:8], off
	global_load_b64 v[5:6], v[5:6], off
	s_waitcnt vmcnt(1)
	v_lshlrev_b32_e32 v11, 16, v7
	s_waitcnt vmcnt(0)
	v_lshlrev_b32_e32 v13, 16, v5
	s_delay_alu instid0(VALU_DEP_2) | instskip(NEXT) | instid1(VALU_DEP_1)
	v_mul_f32_e32 v11, v9, v11
	v_bfe_u32 v12, v11, 16, 1
	s_delay_alu instid0(VALU_DEP_1) | instskip(NEXT) | instid1(VALU_DEP_1)
	v_add3_u32 v12, v11, v12, 0x7fff
	v_and_b32_e32 v12, 0xffff0000, v12
	v_cmp_o_f32_e32 vcc_lo, v11, v11
	s_delay_alu instid0(VALU_DEP_2) | instskip(NEXT) | instid1(VALU_DEP_1)
	v_cndmask_b32_e32 v11, 0x7fc00000, v12, vcc_lo
	v_mul_f32_e32 v11, v11, v13
	s_delay_alu instid0(VALU_DEP_1) | instskip(NEXT) | instid1(VALU_DEP_1)
	v_bfe_u32 v12, v11, 16, 1
	v_add3_u32 v12, v11, v12, 0x7fff
	s_delay_alu instid0(VALU_DEP_1) | instskip(SKIP_1) | instid1(VALU_DEP_2)
	v_and_b32_e32 v12, 0xffff0000, v12
	v_cmp_o_f32_e32 vcc_lo, v11, v11
	v_cndmask_b32_e32 v11, 0x7fc00000, v12, vcc_lo
	s_delay_alu instid0(VALU_DEP_1) | instskip(SKIP_1) | instid1(VALU_DEP_2)
	v_div_scale_f32 v12, null, v10, v10, v11
	v_div_scale_f32 v15, vcc_lo, v11, v10, v11
	v_rcp_f32_e32 v13, v12
	s_waitcnt_depctr 0xfff
	v_fma_f32 v14, -v12, v13, 1.0
	s_delay_alu instid0(VALU_DEP_1) | instskip(NEXT) | instid1(VALU_DEP_1)
	v_fmac_f32_e32 v13, v14, v13
	v_mul_f32_e32 v14, v15, v13
	s_delay_alu instid0(VALU_DEP_1) | instskip(NEXT) | instid1(VALU_DEP_1)
	v_fma_f32 v16, -v12, v14, v15
	v_fmac_f32_e32 v14, v16, v13
	s_delay_alu instid0(VALU_DEP_1) | instskip(NEXT) | instid1(VALU_DEP_1)
	v_fma_f32 v12, -v12, v14, v15
	v_div_fmas_f32 v12, v12, v13, v14
	s_delay_alu instid0(VALU_DEP_1) | instskip(SKIP_1) | instid1(VALU_DEP_2)
	v_div_fixup_f32 v11, v12, v10, v11
	v_mov_b32_e32 v12, 0x80
	v_minmax_f32 v13, v11, s5, 0xc3600000
	v_mov_b32_e32 v11, 0x80
	s_delay_alu instid0(VALU_DEP_2) | instskip(NEXT) | instid1(VALU_DEP_1)
	v_and_b32_e32 v14, 0x7fffffff, v13
	v_cmpx_gt_u32_e32 0x43800000, v14
	s_cbranch_execz .LBB16_137
; %bb.132:                              ;   in Loop: Header=BB16_81 Depth=1
	v_cmp_lt_u32_e32 vcc_lo, 0x3bffffff, v14
	s_mov_b32 s12, 0
                                        ; implicit-def: $vgpr14
	s_and_saveexec_b32 s13, vcc_lo
	s_delay_alu instid0(SALU_CYCLE_1)
	s_xor_b32 s13, exec_lo, s13
	s_cbranch_execnz .LBB16_194
; %bb.133:                              ;   in Loop: Header=BB16_81 Depth=1
	s_or_saveexec_b32 s13, s13
                                        ; implicit-def: $sgpr14
	s_delay_alu instid0(SALU_CYCLE_1)
	s_xor_b32 exec_lo, exec_lo, s13
	s_cbranch_execnz .LBB16_195
.LBB16_134:                             ;   in Loop: Header=BB16_81 Depth=1
	s_or_b32 exec_lo, exec_lo, s13
	v_mov_b32_e32 v11, s14
	s_and_saveexec_b32 s13, s12
.LBB16_135:                             ;   in Loop: Header=BB16_81 Depth=1
	v_lshrrev_b32_e32 v11, 24, v13
	s_delay_alu instid0(VALU_DEP_1)
	v_and_or_b32 v11, 0x80, v11, v14
.LBB16_136:                             ;   in Loop: Header=BB16_81 Depth=1
	s_or_b32 exec_lo, exec_lo, s13
.LBB16_137:                             ;   in Loop: Header=BB16_81 Depth=1
	s_delay_alu instid0(SALU_CYCLE_1) | instskip(SKIP_3) | instid1(VALU_DEP_2)
	s_or_b32 exec_lo, exec_lo, s8
	v_and_b32_e32 v13, 0xffff0000, v7
	v_and_b32_e32 v15, 0xffff0000, v5
	s_mov_b32 s8, exec_lo
	v_mul_f32_e32 v13, v9, v13
	s_delay_alu instid0(VALU_DEP_1) | instskip(NEXT) | instid1(VALU_DEP_1)
	v_bfe_u32 v14, v13, 16, 1
	v_add3_u32 v14, v13, v14, 0x7fff
	s_delay_alu instid0(VALU_DEP_1) | instskip(SKIP_1) | instid1(VALU_DEP_2)
	v_and_b32_e32 v14, 0xffff0000, v14
	v_cmp_o_f32_e32 vcc_lo, v13, v13
	v_cndmask_b32_e32 v13, 0x7fc00000, v14, vcc_lo
	s_delay_alu instid0(VALU_DEP_1) | instskip(NEXT) | instid1(VALU_DEP_1)
	v_mul_f32_e32 v13, v13, v15
	v_bfe_u32 v14, v13, 16, 1
	s_delay_alu instid0(VALU_DEP_1) | instskip(NEXT) | instid1(VALU_DEP_1)
	v_add3_u32 v14, v13, v14, 0x7fff
	v_and_b32_e32 v14, 0xffff0000, v14
	v_cmp_o_f32_e32 vcc_lo, v13, v13
	s_delay_alu instid0(VALU_DEP_2) | instskip(NEXT) | instid1(VALU_DEP_1)
	v_cndmask_b32_e32 v13, 0x7fc00000, v14, vcc_lo
	v_div_scale_f32 v14, null, v10, v10, v13
	s_delay_alu instid0(VALU_DEP_1) | instskip(SKIP_2) | instid1(VALU_DEP_1)
	v_rcp_f32_e32 v15, v14
	s_waitcnt_depctr 0xfff
	v_fma_f32 v16, -v14, v15, 1.0
	v_fmac_f32_e32 v15, v16, v15
	v_div_scale_f32 v16, vcc_lo, v13, v10, v13
	s_delay_alu instid0(VALU_DEP_1) | instskip(NEXT) | instid1(VALU_DEP_1)
	v_mul_f32_e32 v17, v16, v15
	v_fma_f32 v18, -v14, v17, v16
	s_delay_alu instid0(VALU_DEP_1) | instskip(NEXT) | instid1(VALU_DEP_1)
	v_fmac_f32_e32 v17, v18, v15
	v_fma_f32 v14, -v14, v17, v16
	s_delay_alu instid0(VALU_DEP_1) | instskip(NEXT) | instid1(VALU_DEP_1)
	v_div_fmas_f32 v14, v14, v15, v17
	v_div_fixup_f32 v13, v14, v10, v13
	s_delay_alu instid0(VALU_DEP_1) | instskip(NEXT) | instid1(VALU_DEP_1)
	v_minmax_f32 v13, v13, s5, 0xc3600000
	v_and_b32_e32 v14, 0x7fffffff, v13
	s_delay_alu instid0(VALU_DEP_1)
	v_cmpx_gt_u32_e32 0x43800000, v14
	s_cbranch_execz .LBB16_143
; %bb.138:                              ;   in Loop: Header=BB16_81 Depth=1
	v_cmp_lt_u32_e32 vcc_lo, 0x3bffffff, v14
	s_mov_b32 s12, 0
                                        ; implicit-def: $vgpr14
	s_and_saveexec_b32 s13, vcc_lo
	s_delay_alu instid0(SALU_CYCLE_1)
	s_xor_b32 s13, exec_lo, s13
	s_cbranch_execnz .LBB16_196
; %bb.139:                              ;   in Loop: Header=BB16_81 Depth=1
	s_or_saveexec_b32 s13, s13
                                        ; implicit-def: $sgpr14
	s_delay_alu instid0(SALU_CYCLE_1)
	s_xor_b32 exec_lo, exec_lo, s13
	s_cbranch_execnz .LBB16_197
.LBB16_140:                             ;   in Loop: Header=BB16_81 Depth=1
	s_or_b32 exec_lo, exec_lo, s13
	v_mov_b32_e32 v12, s14
	s_and_saveexec_b32 s13, s12
.LBB16_141:                             ;   in Loop: Header=BB16_81 Depth=1
	v_lshrrev_b32_e32 v12, 24, v13
	s_delay_alu instid0(VALU_DEP_1)
	v_and_or_b32 v12, 0x80, v12, v14
.LBB16_142:                             ;   in Loop: Header=BB16_81 Depth=1
	s_or_b32 exec_lo, exec_lo, s13
.LBB16_143:                             ;   in Loop: Header=BB16_81 Depth=1
	s_delay_alu instid0(SALU_CYCLE_1) | instskip(SKIP_3) | instid1(VALU_DEP_2)
	s_or_b32 exec_lo, exec_lo, s8
	v_alignbit_b32 v7, v8, v7, 16
	v_alignbit_b32 v5, v6, v5, 16
	s_mov_b32 s8, exec_lo
	v_and_b32_e32 v7, 0xffff0000, v7
	s_delay_alu instid0(VALU_DEP_2) | instskip(NEXT) | instid1(VALU_DEP_2)
	v_and_b32_e32 v5, 0xffff0000, v5
	v_mul_f32_e32 v7, v9, v7
	s_delay_alu instid0(VALU_DEP_1) | instskip(SKIP_1) | instid1(VALU_DEP_2)
	v_bfe_u32 v13, v7, 16, 1
	v_cmp_o_f32_e32 vcc_lo, v7, v7
	v_add3_u32 v13, v7, v13, 0x7fff
	s_delay_alu instid0(VALU_DEP_1) | instskip(NEXT) | instid1(VALU_DEP_1)
	v_and_b32_e32 v13, 0xffff0000, v13
	v_cndmask_b32_e32 v7, 0x7fc00000, v13, vcc_lo
	s_delay_alu instid0(VALU_DEP_1) | instskip(NEXT) | instid1(VALU_DEP_1)
	v_mul_f32_e32 v5, v7, v5
	v_bfe_u32 v7, v5, 16, 1
	v_cmp_o_f32_e32 vcc_lo, v5, v5
	s_delay_alu instid0(VALU_DEP_2) | instskip(NEXT) | instid1(VALU_DEP_1)
	v_add3_u32 v7, v5, v7, 0x7fff
	v_and_b32_e32 v7, 0xffff0000, v7
	s_delay_alu instid0(VALU_DEP_1) | instskip(NEXT) | instid1(VALU_DEP_1)
	v_cndmask_b32_e32 v5, 0x7fc00000, v7, vcc_lo
	v_div_scale_f32 v7, null, v10, v10, v5
	v_div_scale_f32 v15, vcc_lo, v5, v10, v5
	s_delay_alu instid0(VALU_DEP_2) | instskip(SKIP_2) | instid1(VALU_DEP_1)
	v_rcp_f32_e32 v13, v7
	s_waitcnt_depctr 0xfff
	v_fma_f32 v14, -v7, v13, 1.0
	v_fmac_f32_e32 v13, v14, v13
	s_delay_alu instid0(VALU_DEP_1) | instskip(NEXT) | instid1(VALU_DEP_1)
	v_mul_f32_e32 v14, v15, v13
	v_fma_f32 v16, -v7, v14, v15
	s_delay_alu instid0(VALU_DEP_1) | instskip(NEXT) | instid1(VALU_DEP_1)
	v_fmac_f32_e32 v14, v16, v13
	v_fma_f32 v7, -v7, v14, v15
	s_delay_alu instid0(VALU_DEP_1) | instskip(NEXT) | instid1(VALU_DEP_1)
	v_div_fmas_f32 v7, v7, v13, v14
	v_div_fixup_f32 v5, v7, v10, v5
	v_mov_b32_e32 v7, 0x80
	s_delay_alu instid0(VALU_DEP_2) | instskip(SKIP_1) | instid1(VALU_DEP_2)
	v_minmax_f32 v13, v5, s5, 0xc3600000
	v_mov_b32_e32 v5, 0x80
	v_and_b32_e32 v14, 0x7fffffff, v13
	s_delay_alu instid0(VALU_DEP_1)
	v_cmpx_gt_u32_e32 0x43800000, v14
	s_cbranch_execz .LBB16_149
; %bb.144:                              ;   in Loop: Header=BB16_81 Depth=1
	v_cmp_lt_u32_e32 vcc_lo, 0x3bffffff, v14
	s_mov_b32 s12, 0
                                        ; implicit-def: $vgpr14
	s_and_saveexec_b32 s13, vcc_lo
	s_delay_alu instid0(SALU_CYCLE_1)
	s_xor_b32 s13, exec_lo, s13
	s_cbranch_execnz .LBB16_198
; %bb.145:                              ;   in Loop: Header=BB16_81 Depth=1
	s_or_saveexec_b32 s13, s13
                                        ; implicit-def: $sgpr14
	s_delay_alu instid0(SALU_CYCLE_1)
	s_xor_b32 exec_lo, exec_lo, s13
	s_cbranch_execnz .LBB16_199
.LBB16_146:                             ;   in Loop: Header=BB16_81 Depth=1
	s_or_b32 exec_lo, exec_lo, s13
	v_mov_b32_e32 v7, s14
	s_and_saveexec_b32 s13, s12
.LBB16_147:                             ;   in Loop: Header=BB16_81 Depth=1
	v_lshrrev_b32_e32 v7, 24, v13
	s_delay_alu instid0(VALU_DEP_1)
	v_and_or_b32 v7, 0x80, v7, v14
.LBB16_148:                             ;   in Loop: Header=BB16_81 Depth=1
	s_or_b32 exec_lo, exec_lo, s13
.LBB16_149:                             ;   in Loop: Header=BB16_81 Depth=1
	s_delay_alu instid0(SALU_CYCLE_1) | instskip(SKIP_3) | instid1(VALU_DEP_2)
	s_or_b32 exec_lo, exec_lo, s8
	v_and_b32_e32 v8, 0xffff0000, v8
	v_and_b32_e32 v6, 0xffff0000, v6
	s_mov_b32 s8, exec_lo
	v_mul_f32_e32 v8, v9, v8
	s_delay_alu instid0(VALU_DEP_1) | instskip(NEXT) | instid1(VALU_DEP_1)
	v_bfe_u32 v13, v8, 16, 1
	v_add3_u32 v13, v8, v13, 0x7fff
	s_delay_alu instid0(VALU_DEP_1) | instskip(SKIP_1) | instid1(VALU_DEP_2)
	v_and_b32_e32 v13, 0xffff0000, v13
	v_cmp_o_f32_e32 vcc_lo, v8, v8
	v_cndmask_b32_e32 v8, 0x7fc00000, v13, vcc_lo
	s_delay_alu instid0(VALU_DEP_1) | instskip(NEXT) | instid1(VALU_DEP_1)
	v_mul_f32_e32 v6, v8, v6
	v_bfe_u32 v8, v6, 16, 1
	v_cmp_o_f32_e32 vcc_lo, v6, v6
	s_delay_alu instid0(VALU_DEP_2) | instskip(NEXT) | instid1(VALU_DEP_1)
	v_add3_u32 v8, v6, v8, 0x7fff
	v_and_b32_e32 v8, 0xffff0000, v8
	s_delay_alu instid0(VALU_DEP_1) | instskip(NEXT) | instid1(VALU_DEP_1)
	v_cndmask_b32_e32 v6, 0x7fc00000, v8, vcc_lo
	v_div_scale_f32 v8, null, v10, v10, v6
	s_delay_alu instid0(VALU_DEP_1) | instskip(SKIP_2) | instid1(VALU_DEP_1)
	v_rcp_f32_e32 v13, v8
	s_waitcnt_depctr 0xfff
	v_fma_f32 v14, -v8, v13, 1.0
	v_fmac_f32_e32 v13, v14, v13
	v_div_scale_f32 v14, vcc_lo, v6, v10, v6
	s_delay_alu instid0(VALU_DEP_1) | instskip(NEXT) | instid1(VALU_DEP_1)
	v_mul_f32_e32 v15, v14, v13
	v_fma_f32 v16, -v8, v15, v14
	s_delay_alu instid0(VALU_DEP_1) | instskip(NEXT) | instid1(VALU_DEP_1)
	v_fmac_f32_e32 v15, v16, v13
	v_fma_f32 v8, -v8, v15, v14
	s_delay_alu instid0(VALU_DEP_1) | instskip(NEXT) | instid1(VALU_DEP_1)
	v_div_fmas_f32 v8, v8, v13, v15
	v_div_fixup_f32 v6, v8, v10, v6
	s_delay_alu instid0(VALU_DEP_1) | instskip(NEXT) | instid1(VALU_DEP_1)
	v_minmax_f32 v6, v6, s5, 0xc3600000
	v_and_b32_e32 v8, 0x7fffffff, v6
	s_delay_alu instid0(VALU_DEP_1)
	v_cmpx_gt_u32_e32 0x43800000, v8
	s_cbranch_execz .LBB16_155
; %bb.150:                              ;   in Loop: Header=BB16_81 Depth=1
	v_cmp_lt_u32_e32 vcc_lo, 0x3bffffff, v8
	s_mov_b32 s12, 0
                                        ; implicit-def: $vgpr8
	s_and_saveexec_b32 s13, vcc_lo
	s_delay_alu instid0(SALU_CYCLE_1)
	s_xor_b32 s13, exec_lo, s13
	s_cbranch_execnz .LBB16_200
; %bb.151:                              ;   in Loop: Header=BB16_81 Depth=1
	s_or_saveexec_b32 s13, s13
                                        ; implicit-def: $sgpr14
	s_delay_alu instid0(SALU_CYCLE_1)
	s_xor_b32 exec_lo, exec_lo, s13
	s_cbranch_execnz .LBB16_201
.LBB16_152:                             ;   in Loop: Header=BB16_81 Depth=1
	s_or_b32 exec_lo, exec_lo, s13
	v_mov_b32_e32 v5, s14
	s_and_saveexec_b32 s13, s12
.LBB16_153:                             ;   in Loop: Header=BB16_81 Depth=1
	v_lshrrev_b32_e32 v5, 24, v6
	s_delay_alu instid0(VALU_DEP_1)
	v_and_or_b32 v5, 0x80, v5, v8
.LBB16_154:                             ;   in Loop: Header=BB16_81 Depth=1
	s_or_b32 exec_lo, exec_lo, s13
.LBB16_155:                             ;   in Loop: Header=BB16_81 Depth=1
	s_delay_alu instid0(SALU_CYCLE_1)
	s_or_b32 exec_lo, exec_lo, s8
	v_lshlrev_b32_e32 v6, 16, v7
	v_lshlrev_b32_e32 v7, 8, v12
	v_lshlrev_b64 v[3:4], 2, v[3:4]
	v_and_b32_e32 v8, 0xff, v11
	v_add_nc_u32_e32 v0, s2, v0
	v_perm_b32 v5, v5, v6, 0x4020c0c
	v_and_b32_e32 v6, 0xff00, v7
	s_mov_b32 s12, -1
	v_add_co_u32 v3, vcc_lo, s0, v3
	v_add_co_ci_u32_e32 v4, vcc_lo, s1, v4, vcc_lo
	s_delay_alu instid0(VALU_DEP_3)
	v_or3_b32 v5, v5, v6, v8
	s_mov_b32 s8, exec_lo
	global_store_b32 v[3:4], v5, off
	v_cmpx_gt_u32_e64 s11, v0
	s_cbranch_execz .LBB16_78
; %bb.156:                              ;   in Loop: Header=BB16_81 Depth=1
	v_lshlrev_b64 v[3:4], 3, v[0:1]
	s_mov_b32 s12, exec_lo
	s_delay_alu instid0(VALU_DEP_1) | instskip(NEXT) | instid1(VALU_DEP_2)
	v_add_co_u32 v5, vcc_lo, s9, v3
	v_add_co_ci_u32_e32 v6, vcc_lo, s10, v4, vcc_lo
	v_add_co_u32 v3, vcc_lo, s18, v3
	v_add_co_ci_u32_e32 v4, vcc_lo, s19, v4, vcc_lo
	global_load_b64 v[5:6], v[5:6], off
	global_load_b64 v[3:4], v[3:4], off
	s_waitcnt vmcnt(1)
	v_lshlrev_b32_e32 v7, 16, v5
	s_waitcnt vmcnt(0)
	v_lshlrev_b32_e32 v11, 16, v3
	s_delay_alu instid0(VALU_DEP_2) | instskip(NEXT) | instid1(VALU_DEP_1)
	v_mul_f32_e32 v7, v9, v7
	v_bfe_u32 v8, v7, 16, 1
	s_delay_alu instid0(VALU_DEP_1) | instskip(NEXT) | instid1(VALU_DEP_1)
	v_add3_u32 v8, v7, v8, 0x7fff
	v_and_b32_e32 v8, 0xffff0000, v8
	v_cmp_o_f32_e32 vcc_lo, v7, v7
	s_delay_alu instid0(VALU_DEP_2) | instskip(NEXT) | instid1(VALU_DEP_1)
	v_cndmask_b32_e32 v7, 0x7fc00000, v8, vcc_lo
	v_mul_f32_e32 v7, v7, v11
	s_delay_alu instid0(VALU_DEP_1) | instskip(NEXT) | instid1(VALU_DEP_1)
	v_bfe_u32 v8, v7, 16, 1
	v_add3_u32 v8, v7, v8, 0x7fff
	s_delay_alu instid0(VALU_DEP_1) | instskip(SKIP_1) | instid1(VALU_DEP_2)
	v_and_b32_e32 v8, 0xffff0000, v8
	v_cmp_o_f32_e32 vcc_lo, v7, v7
	v_cndmask_b32_e32 v7, 0x7fc00000, v8, vcc_lo
	s_delay_alu instid0(VALU_DEP_1) | instskip(SKIP_1) | instid1(VALU_DEP_2)
	v_div_scale_f32 v8, null, v10, v10, v7
	v_div_scale_f32 v13, vcc_lo, v7, v10, v7
	v_rcp_f32_e32 v11, v8
	s_waitcnt_depctr 0xfff
	v_fma_f32 v12, -v8, v11, 1.0
	s_delay_alu instid0(VALU_DEP_1) | instskip(NEXT) | instid1(VALU_DEP_1)
	v_fmac_f32_e32 v11, v12, v11
	v_mul_f32_e32 v12, v13, v11
	s_delay_alu instid0(VALU_DEP_1) | instskip(NEXT) | instid1(VALU_DEP_1)
	v_fma_f32 v14, -v8, v12, v13
	v_fmac_f32_e32 v12, v14, v11
	s_delay_alu instid0(VALU_DEP_1) | instskip(NEXT) | instid1(VALU_DEP_1)
	v_fma_f32 v8, -v8, v12, v13
	v_div_fmas_f32 v8, v8, v11, v12
	s_delay_alu instid0(VALU_DEP_1) | instskip(SKIP_1) | instid1(VALU_DEP_2)
	v_div_fixup_f32 v7, v8, v10, v7
	v_mov_b32_e32 v8, 0x80
	v_minmax_f32 v11, v7, s5, 0xc3600000
	v_mov_b32_e32 v7, 0x80
	s_delay_alu instid0(VALU_DEP_2) | instskip(NEXT) | instid1(VALU_DEP_1)
	v_and_b32_e32 v12, 0x7fffffff, v11
	v_cmpx_gt_u32_e32 0x43800000, v12
	s_cbranch_execz .LBB16_162
; %bb.157:                              ;   in Loop: Header=BB16_81 Depth=1
	v_cmp_lt_u32_e32 vcc_lo, 0x3bffffff, v12
	s_mov_b32 s13, 0
                                        ; implicit-def: $vgpr12
	s_and_saveexec_b32 s14, vcc_lo
	s_delay_alu instid0(SALU_CYCLE_1)
	s_xor_b32 s14, exec_lo, s14
	s_cbranch_execnz .LBB16_202
; %bb.158:                              ;   in Loop: Header=BB16_81 Depth=1
	s_or_saveexec_b32 s14, s14
                                        ; implicit-def: $sgpr15
	s_delay_alu instid0(SALU_CYCLE_1)
	s_xor_b32 exec_lo, exec_lo, s14
	s_cbranch_execnz .LBB16_203
.LBB16_159:                             ;   in Loop: Header=BB16_81 Depth=1
	s_or_b32 exec_lo, exec_lo, s14
	v_mov_b32_e32 v7, s15
	s_and_saveexec_b32 s14, s13
.LBB16_160:                             ;   in Loop: Header=BB16_81 Depth=1
	v_lshrrev_b32_e32 v7, 24, v11
	s_delay_alu instid0(VALU_DEP_1)
	v_and_or_b32 v7, 0x80, v7, v12
.LBB16_161:                             ;   in Loop: Header=BB16_81 Depth=1
	s_or_b32 exec_lo, exec_lo, s14
.LBB16_162:                             ;   in Loop: Header=BB16_81 Depth=1
	s_delay_alu instid0(SALU_CYCLE_1) | instskip(SKIP_3) | instid1(VALU_DEP_2)
	s_or_b32 exec_lo, exec_lo, s12
	v_and_b32_e32 v11, 0xffff0000, v5
	v_and_b32_e32 v13, 0xffff0000, v3
	s_mov_b32 s12, exec_lo
	v_mul_f32_e32 v11, v9, v11
	s_delay_alu instid0(VALU_DEP_1) | instskip(NEXT) | instid1(VALU_DEP_1)
	v_bfe_u32 v12, v11, 16, 1
	v_add3_u32 v12, v11, v12, 0x7fff
	s_delay_alu instid0(VALU_DEP_1) | instskip(SKIP_1) | instid1(VALU_DEP_2)
	v_and_b32_e32 v12, 0xffff0000, v12
	v_cmp_o_f32_e32 vcc_lo, v11, v11
	v_cndmask_b32_e32 v11, 0x7fc00000, v12, vcc_lo
	s_delay_alu instid0(VALU_DEP_1) | instskip(NEXT) | instid1(VALU_DEP_1)
	v_mul_f32_e32 v11, v11, v13
	v_bfe_u32 v12, v11, 16, 1
	s_delay_alu instid0(VALU_DEP_1) | instskip(NEXT) | instid1(VALU_DEP_1)
	v_add3_u32 v12, v11, v12, 0x7fff
	v_and_b32_e32 v12, 0xffff0000, v12
	v_cmp_o_f32_e32 vcc_lo, v11, v11
	s_delay_alu instid0(VALU_DEP_2) | instskip(NEXT) | instid1(VALU_DEP_1)
	v_cndmask_b32_e32 v11, 0x7fc00000, v12, vcc_lo
	v_div_scale_f32 v12, null, v10, v10, v11
	s_delay_alu instid0(VALU_DEP_1) | instskip(SKIP_2) | instid1(VALU_DEP_1)
	v_rcp_f32_e32 v13, v12
	s_waitcnt_depctr 0xfff
	v_fma_f32 v14, -v12, v13, 1.0
	v_fmac_f32_e32 v13, v14, v13
	v_div_scale_f32 v14, vcc_lo, v11, v10, v11
	s_delay_alu instid0(VALU_DEP_1) | instskip(NEXT) | instid1(VALU_DEP_1)
	v_mul_f32_e32 v15, v14, v13
	v_fma_f32 v16, -v12, v15, v14
	s_delay_alu instid0(VALU_DEP_1) | instskip(NEXT) | instid1(VALU_DEP_1)
	v_fmac_f32_e32 v15, v16, v13
	v_fma_f32 v12, -v12, v15, v14
	s_delay_alu instid0(VALU_DEP_1) | instskip(NEXT) | instid1(VALU_DEP_1)
	v_div_fmas_f32 v12, v12, v13, v15
	v_div_fixup_f32 v11, v12, v10, v11
	s_delay_alu instid0(VALU_DEP_1) | instskip(NEXT) | instid1(VALU_DEP_1)
	v_minmax_f32 v11, v11, s5, 0xc3600000
	v_and_b32_e32 v12, 0x7fffffff, v11
	s_delay_alu instid0(VALU_DEP_1)
	v_cmpx_gt_u32_e32 0x43800000, v12
	s_cbranch_execz .LBB16_168
; %bb.163:                              ;   in Loop: Header=BB16_81 Depth=1
	v_cmp_lt_u32_e32 vcc_lo, 0x3bffffff, v12
	s_mov_b32 s13, 0
                                        ; implicit-def: $vgpr12
	s_and_saveexec_b32 s14, vcc_lo
	s_delay_alu instid0(SALU_CYCLE_1)
	s_xor_b32 s14, exec_lo, s14
	s_cbranch_execnz .LBB16_204
; %bb.164:                              ;   in Loop: Header=BB16_81 Depth=1
	s_or_saveexec_b32 s14, s14
                                        ; implicit-def: $sgpr15
	s_delay_alu instid0(SALU_CYCLE_1)
	s_xor_b32 exec_lo, exec_lo, s14
	s_cbranch_execnz .LBB16_205
.LBB16_165:                             ;   in Loop: Header=BB16_81 Depth=1
	s_or_b32 exec_lo, exec_lo, s14
	v_mov_b32_e32 v8, s15
	s_and_saveexec_b32 s14, s13
.LBB16_166:                             ;   in Loop: Header=BB16_81 Depth=1
	v_lshrrev_b32_e32 v8, 24, v11
	s_delay_alu instid0(VALU_DEP_1)
	v_and_or_b32 v8, 0x80, v8, v12
.LBB16_167:                             ;   in Loop: Header=BB16_81 Depth=1
	s_or_b32 exec_lo, exec_lo, s14
.LBB16_168:                             ;   in Loop: Header=BB16_81 Depth=1
	s_delay_alu instid0(SALU_CYCLE_1) | instskip(SKIP_3) | instid1(VALU_DEP_2)
	s_or_b32 exec_lo, exec_lo, s12
	v_alignbit_b32 v5, v6, v5, 16
	v_alignbit_b32 v3, v4, v3, 16
	s_mov_b32 s12, exec_lo
	v_and_b32_e32 v5, 0xffff0000, v5
	s_delay_alu instid0(VALU_DEP_2) | instskip(NEXT) | instid1(VALU_DEP_2)
	v_and_b32_e32 v3, 0xffff0000, v3
	v_mul_f32_e32 v5, v9, v5
	s_delay_alu instid0(VALU_DEP_1) | instskip(SKIP_1) | instid1(VALU_DEP_2)
	v_bfe_u32 v11, v5, 16, 1
	v_cmp_o_f32_e32 vcc_lo, v5, v5
	v_add3_u32 v11, v5, v11, 0x7fff
	s_delay_alu instid0(VALU_DEP_1) | instskip(NEXT) | instid1(VALU_DEP_1)
	v_and_b32_e32 v11, 0xffff0000, v11
	v_cndmask_b32_e32 v5, 0x7fc00000, v11, vcc_lo
	s_delay_alu instid0(VALU_DEP_1) | instskip(NEXT) | instid1(VALU_DEP_1)
	v_mul_f32_e32 v3, v5, v3
	v_bfe_u32 v5, v3, 16, 1
	v_cmp_o_f32_e32 vcc_lo, v3, v3
	s_delay_alu instid0(VALU_DEP_2) | instskip(NEXT) | instid1(VALU_DEP_1)
	v_add3_u32 v5, v3, v5, 0x7fff
	v_and_b32_e32 v5, 0xffff0000, v5
	s_delay_alu instid0(VALU_DEP_1) | instskip(NEXT) | instid1(VALU_DEP_1)
	v_cndmask_b32_e32 v3, 0x7fc00000, v5, vcc_lo
	v_div_scale_f32 v5, null, v10, v10, v3
	v_div_scale_f32 v13, vcc_lo, v3, v10, v3
	s_delay_alu instid0(VALU_DEP_2) | instskip(SKIP_2) | instid1(VALU_DEP_1)
	v_rcp_f32_e32 v11, v5
	s_waitcnt_depctr 0xfff
	v_fma_f32 v12, -v5, v11, 1.0
	v_fmac_f32_e32 v11, v12, v11
	s_delay_alu instid0(VALU_DEP_1) | instskip(NEXT) | instid1(VALU_DEP_1)
	v_mul_f32_e32 v12, v13, v11
	v_fma_f32 v14, -v5, v12, v13
	s_delay_alu instid0(VALU_DEP_1) | instskip(NEXT) | instid1(VALU_DEP_1)
	v_fmac_f32_e32 v12, v14, v11
	v_fma_f32 v5, -v5, v12, v13
	s_delay_alu instid0(VALU_DEP_1) | instskip(NEXT) | instid1(VALU_DEP_1)
	v_div_fmas_f32 v5, v5, v11, v12
	v_div_fixup_f32 v3, v5, v10, v3
	v_mov_b32_e32 v5, 0x80
	s_delay_alu instid0(VALU_DEP_2) | instskip(SKIP_1) | instid1(VALU_DEP_2)
	v_minmax_f32 v11, v3, s5, 0xc3600000
	v_mov_b32_e32 v3, 0x80
	v_and_b32_e32 v12, 0x7fffffff, v11
	s_delay_alu instid0(VALU_DEP_1)
	v_cmpx_gt_u32_e32 0x43800000, v12
	s_cbranch_execz .LBB16_174
; %bb.169:                              ;   in Loop: Header=BB16_81 Depth=1
	v_cmp_lt_u32_e32 vcc_lo, 0x3bffffff, v12
	s_mov_b32 s13, 0
                                        ; implicit-def: $vgpr12
	s_and_saveexec_b32 s14, vcc_lo
	s_delay_alu instid0(SALU_CYCLE_1)
	s_xor_b32 s14, exec_lo, s14
	s_cbranch_execnz .LBB16_206
; %bb.170:                              ;   in Loop: Header=BB16_81 Depth=1
	s_or_saveexec_b32 s14, s14
                                        ; implicit-def: $sgpr15
	s_delay_alu instid0(SALU_CYCLE_1)
	s_xor_b32 exec_lo, exec_lo, s14
	s_cbranch_execnz .LBB16_207
.LBB16_171:                             ;   in Loop: Header=BB16_81 Depth=1
	s_or_b32 exec_lo, exec_lo, s14
	v_mov_b32_e32 v5, s15
	s_and_saveexec_b32 s14, s13
.LBB16_172:                             ;   in Loop: Header=BB16_81 Depth=1
	v_lshrrev_b32_e32 v5, 24, v11
	s_delay_alu instid0(VALU_DEP_1)
	v_and_or_b32 v5, 0x80, v5, v12
.LBB16_173:                             ;   in Loop: Header=BB16_81 Depth=1
	s_or_b32 exec_lo, exec_lo, s14
.LBB16_174:                             ;   in Loop: Header=BB16_81 Depth=1
	s_delay_alu instid0(SALU_CYCLE_1) | instskip(SKIP_3) | instid1(VALU_DEP_2)
	s_or_b32 exec_lo, exec_lo, s12
	v_and_b32_e32 v6, 0xffff0000, v6
	v_and_b32_e32 v4, 0xffff0000, v4
	s_mov_b32 s12, exec_lo
	v_mul_f32_e32 v6, v9, v6
	s_delay_alu instid0(VALU_DEP_1) | instskip(NEXT) | instid1(VALU_DEP_1)
	v_bfe_u32 v11, v6, 16, 1
	v_add3_u32 v11, v6, v11, 0x7fff
	s_delay_alu instid0(VALU_DEP_1) | instskip(SKIP_1) | instid1(VALU_DEP_2)
	v_and_b32_e32 v11, 0xffff0000, v11
	v_cmp_o_f32_e32 vcc_lo, v6, v6
	v_cndmask_b32_e32 v6, 0x7fc00000, v11, vcc_lo
	s_delay_alu instid0(VALU_DEP_1) | instskip(NEXT) | instid1(VALU_DEP_1)
	v_mul_f32_e32 v4, v6, v4
	v_bfe_u32 v6, v4, 16, 1
	v_cmp_o_f32_e32 vcc_lo, v4, v4
	s_delay_alu instid0(VALU_DEP_2) | instskip(NEXT) | instid1(VALU_DEP_1)
	v_add3_u32 v6, v4, v6, 0x7fff
	v_and_b32_e32 v6, 0xffff0000, v6
	s_delay_alu instid0(VALU_DEP_1) | instskip(NEXT) | instid1(VALU_DEP_1)
	v_cndmask_b32_e32 v4, 0x7fc00000, v6, vcc_lo
	v_div_scale_f32 v6, null, v10, v10, v4
	s_delay_alu instid0(VALU_DEP_1) | instskip(SKIP_2) | instid1(VALU_DEP_1)
	v_rcp_f32_e32 v11, v6
	s_waitcnt_depctr 0xfff
	v_fma_f32 v12, -v6, v11, 1.0
	v_fmac_f32_e32 v11, v12, v11
	v_div_scale_f32 v12, vcc_lo, v4, v10, v4
	s_delay_alu instid0(VALU_DEP_1) | instskip(NEXT) | instid1(VALU_DEP_1)
	v_mul_f32_e32 v13, v12, v11
	v_fma_f32 v14, -v6, v13, v12
	s_delay_alu instid0(VALU_DEP_1) | instskip(NEXT) | instid1(VALU_DEP_1)
	v_fmac_f32_e32 v13, v14, v11
	v_fma_f32 v6, -v6, v13, v12
	s_delay_alu instid0(VALU_DEP_1) | instskip(NEXT) | instid1(VALU_DEP_1)
	v_div_fmas_f32 v6, v6, v11, v13
	v_div_fixup_f32 v4, v6, v10, v4
	s_delay_alu instid0(VALU_DEP_1) | instskip(NEXT) | instid1(VALU_DEP_1)
	v_minmax_f32 v4, v4, s5, 0xc3600000
	v_and_b32_e32 v6, 0x7fffffff, v4
	s_delay_alu instid0(VALU_DEP_1)
	v_cmpx_gt_u32_e32 0x43800000, v6
	s_cbranch_execz .LBB16_77
; %bb.175:                              ;   in Loop: Header=BB16_81 Depth=1
	v_cmp_lt_u32_e32 vcc_lo, 0x3bffffff, v6
	s_mov_b32 s13, 0
                                        ; implicit-def: $vgpr6
	s_and_saveexec_b32 s14, vcc_lo
	s_delay_alu instid0(SALU_CYCLE_1)
	s_xor_b32 s14, exec_lo, s14
	s_cbranch_execnz .LBB16_208
; %bb.176:                              ;   in Loop: Header=BB16_81 Depth=1
	s_or_saveexec_b32 s14, s14
                                        ; implicit-def: $sgpr15
	s_delay_alu instid0(SALU_CYCLE_1)
	s_xor_b32 exec_lo, exec_lo, s14
	s_cbranch_execnz .LBB16_209
.LBB16_177:                             ;   in Loop: Header=BB16_81 Depth=1
	s_or_b32 exec_lo, exec_lo, s14
	v_mov_b32_e32 v3, s15
	s_and_saveexec_b32 s14, s13
	s_cbranch_execz .LBB16_76
	s_branch .LBB16_210
.LBB16_178:                             ;   in Loop: Header=BB16_81 Depth=1
	v_bfe_u32 v7, v8, 20, 1
	s_mov_b32 s7, exec_lo
	s_delay_alu instid0(VALU_DEP_1) | instskip(NEXT) | instid1(VALU_DEP_1)
	v_add3_u32 v7, v8, v7, 0x487ffff
	v_lshrrev_b32_e32 v11, 20, v7
	s_or_saveexec_b32 s8, s8
                                        ; implicit-def: $sgpr12
	s_delay_alu instid0(SALU_CYCLE_1)
	s_xor_b32 exec_lo, exec_lo, s8
	s_cbranch_execz .LBB16_84
.LBB16_179:                             ;   in Loop: Header=BB16_81 Depth=1
	v_add_f32_e64 v7, 0x46000000, |v8|
	s_and_not1_b32 s7, s7, exec_lo
	s_mov_b32 s12, 0
	s_delay_alu instid0(VALU_DEP_1) | instskip(NEXT) | instid1(VALU_DEP_1)
	v_and_b32_e32 v11, 0xff, v7
	v_cmp_ne_u32_e32 vcc_lo, 0, v11
	s_and_b32 s13, vcc_lo, exec_lo
	s_delay_alu instid0(SALU_CYCLE_1)
	s_or_b32 s7, s7, s13
	s_or_b32 exec_lo, exec_lo, s8
	v_mov_b32_e32 v7, s12
	s_and_saveexec_b32 s8, s7
	s_cbranch_execnz .LBB16_85
	s_branch .LBB16_86
.LBB16_180:                             ;   in Loop: Header=BB16_81 Depth=1
	v_bfe_u32 v6, v8, 20, 1
	s_mov_b32 s7, exec_lo
	s_delay_alu instid0(VALU_DEP_1) | instskip(NEXT) | instid1(VALU_DEP_1)
	v_add3_u32 v6, v8, v6, 0x487ffff
	v_lshrrev_b32_e32 v11, 20, v6
	s_or_saveexec_b32 s8, s8
                                        ; implicit-def: $sgpr12
	s_delay_alu instid0(SALU_CYCLE_1)
	s_xor_b32 exec_lo, exec_lo, s8
	s_cbranch_execz .LBB16_90
.LBB16_181:                             ;   in Loop: Header=BB16_81 Depth=1
	v_add_f32_e64 v6, 0x46000000, |v8|
	s_and_not1_b32 s7, s7, exec_lo
	s_mov_b32 s12, 0
	s_delay_alu instid0(VALU_DEP_1) | instskip(NEXT) | instid1(VALU_DEP_1)
	v_and_b32_e32 v11, 0xff, v6
	v_cmp_ne_u32_e32 vcc_lo, 0, v11
	s_and_b32 s13, vcc_lo, exec_lo
	s_delay_alu instid0(SALU_CYCLE_1)
	s_or_b32 s7, s7, s13
	s_or_b32 exec_lo, exec_lo, s8
	v_mov_b32_e32 v6, s12
	s_and_saveexec_b32 s8, s7
	s_cbranch_execnz .LBB16_91
	s_branch .LBB16_92
.LBB16_182:                             ;   in Loop: Header=BB16_81 Depth=1
	v_bfe_u32 v4, v8, 20, 1
	s_mov_b32 s7, exec_lo
	s_delay_alu instid0(VALU_DEP_1) | instskip(NEXT) | instid1(VALU_DEP_1)
	v_add3_u32 v4, v8, v4, 0x487ffff
	v_lshrrev_b32_e32 v11, 20, v4
	s_or_saveexec_b32 s8, s8
                                        ; implicit-def: $sgpr12
	s_delay_alu instid0(SALU_CYCLE_1)
	s_xor_b32 exec_lo, exec_lo, s8
	s_cbranch_execz .LBB16_96
.LBB16_183:                             ;   in Loop: Header=BB16_81 Depth=1
	v_add_f32_e64 v4, 0x46000000, |v8|
	s_and_not1_b32 s7, s7, exec_lo
	s_mov_b32 s12, 0
	s_delay_alu instid0(VALU_DEP_1) | instskip(NEXT) | instid1(VALU_DEP_1)
	v_and_b32_e32 v11, 0xff, v4
	v_cmp_ne_u32_e32 vcc_lo, 0, v11
	s_and_b32 s13, vcc_lo, exec_lo
	s_delay_alu instid0(SALU_CYCLE_1)
	s_or_b32 s7, s7, s13
	s_or_b32 exec_lo, exec_lo, s8
	v_mov_b32_e32 v4, s12
	s_and_saveexec_b32 s8, s7
	s_cbranch_execnz .LBB16_97
	s_branch .LBB16_98
.LBB16_184:                             ;   in Loop: Header=BB16_81 Depth=1
	v_bfe_u32 v2, v3, 20, 1
	s_mov_b32 s7, exec_lo
	s_delay_alu instid0(VALU_DEP_1) | instskip(NEXT) | instid1(VALU_DEP_1)
	v_add3_u32 v2, v3, v2, 0x487ffff
	v_lshrrev_b32_e32 v5, 20, v2
	s_or_saveexec_b32 s8, s8
                                        ; implicit-def: $sgpr12
	s_delay_alu instid0(SALU_CYCLE_1)
	s_xor_b32 exec_lo, exec_lo, s8
	s_cbranch_execz .LBB16_102
.LBB16_185:                             ;   in Loop: Header=BB16_81 Depth=1
	v_add_f32_e64 v2, 0x46000000, |v3|
	s_and_not1_b32 s7, s7, exec_lo
	s_mov_b32 s12, 0
	s_delay_alu instid0(VALU_DEP_1) | instskip(NEXT) | instid1(VALU_DEP_1)
	v_and_b32_e32 v5, 0xff, v2
	v_cmp_ne_u32_e32 vcc_lo, 0, v5
	s_and_b32 s13, vcc_lo, exec_lo
	s_delay_alu instid0(SALU_CYCLE_1)
	s_or_b32 s7, s7, s13
	s_or_b32 exec_lo, exec_lo, s8
	v_mov_b32_e32 v2, s12
	s_and_saveexec_b32 s8, s7
	s_cbranch_execnz .LBB16_103
	s_branch .LBB16_104
.LBB16_186:                             ;   in Loop: Header=BB16_81 Depth=1
	v_bfe_u32 v8, v12, 20, 1
	s_mov_b32 s8, exec_lo
	s_delay_alu instid0(VALU_DEP_1) | instskip(NEXT) | instid1(VALU_DEP_1)
	v_add3_u32 v8, v12, v8, 0x487ffff
	v_lshrrev_b32_e32 v13, 20, v8
	s_or_saveexec_b32 s12, s12
                                        ; implicit-def: $sgpr13
	s_delay_alu instid0(SALU_CYCLE_1)
	s_xor_b32 exec_lo, exec_lo, s12
	s_cbranch_execz .LBB16_109
.LBB16_187:                             ;   in Loop: Header=BB16_81 Depth=1
	v_add_f32_e64 v8, 0x46000000, |v12|
	s_and_not1_b32 s8, s8, exec_lo
	s_mov_b32 s13, 0
	s_delay_alu instid0(VALU_DEP_1) | instskip(NEXT) | instid1(VALU_DEP_1)
	v_and_b32_e32 v13, 0xff, v8
	v_cmp_ne_u32_e32 vcc_lo, 0, v13
	s_and_b32 s14, vcc_lo, exec_lo
	s_delay_alu instid0(SALU_CYCLE_1)
	s_or_b32 s8, s8, s14
	s_or_b32 exec_lo, exec_lo, s12
	v_mov_b32_e32 v8, s13
	s_and_saveexec_b32 s12, s8
	s_cbranch_execnz .LBB16_110
	s_branch .LBB16_111
.LBB16_188:                             ;   in Loop: Header=BB16_81 Depth=1
	v_bfe_u32 v11, v12, 20, 1
	s_mov_b32 s8, exec_lo
	s_delay_alu instid0(VALU_DEP_1) | instskip(NEXT) | instid1(VALU_DEP_1)
	v_add3_u32 v11, v12, v11, 0x487ffff
	v_lshrrev_b32_e32 v13, 20, v11
	s_or_saveexec_b32 s12, s12
                                        ; implicit-def: $sgpr13
	s_delay_alu instid0(SALU_CYCLE_1)
	s_xor_b32 exec_lo, exec_lo, s12
	s_cbranch_execz .LBB16_115
.LBB16_189:                             ;   in Loop: Header=BB16_81 Depth=1
	v_add_f32_e64 v11, 0x46000000, |v12|
	s_and_not1_b32 s8, s8, exec_lo
	s_mov_b32 s13, 0
	s_delay_alu instid0(VALU_DEP_1) | instskip(NEXT) | instid1(VALU_DEP_1)
	v_and_b32_e32 v13, 0xff, v11
	v_cmp_ne_u32_e32 vcc_lo, 0, v13
	s_and_b32 s14, vcc_lo, exec_lo
	s_delay_alu instid0(SALU_CYCLE_1)
	s_or_b32 s8, s8, s14
	s_or_b32 exec_lo, exec_lo, s12
	v_mov_b32_e32 v11, s13
	s_and_saveexec_b32 s12, s8
	s_cbranch_execnz .LBB16_116
	s_branch .LBB16_117
.LBB16_190:                             ;   in Loop: Header=BB16_81 Depth=1
	v_bfe_u32 v6, v12, 20, 1
	s_mov_b32 s8, exec_lo
	s_delay_alu instid0(VALU_DEP_1) | instskip(NEXT) | instid1(VALU_DEP_1)
	v_add3_u32 v6, v12, v6, 0x487ffff
	v_lshrrev_b32_e32 v13, 20, v6
	s_or_saveexec_b32 s12, s12
                                        ; implicit-def: $sgpr13
	s_delay_alu instid0(SALU_CYCLE_1)
	s_xor_b32 exec_lo, exec_lo, s12
	s_cbranch_execz .LBB16_121
.LBB16_191:                             ;   in Loop: Header=BB16_81 Depth=1
	v_add_f32_e64 v6, 0x46000000, |v12|
	s_and_not1_b32 s8, s8, exec_lo
	s_mov_b32 s13, 0
	s_delay_alu instid0(VALU_DEP_1) | instskip(NEXT) | instid1(VALU_DEP_1)
	v_and_b32_e32 v13, 0xff, v6
	v_cmp_ne_u32_e32 vcc_lo, 0, v13
	s_and_b32 s14, vcc_lo, exec_lo
	s_delay_alu instid0(SALU_CYCLE_1)
	s_or_b32 s8, s8, s14
	s_or_b32 exec_lo, exec_lo, s12
	v_mov_b32_e32 v6, s13
	s_and_saveexec_b32 s12, s8
	s_cbranch_execnz .LBB16_122
	s_branch .LBB16_123
.LBB16_192:                             ;   in Loop: Header=BB16_81 Depth=1
	v_bfe_u32 v4, v5, 20, 1
	s_mov_b32 s8, exec_lo
	s_delay_alu instid0(VALU_DEP_1) | instskip(NEXT) | instid1(VALU_DEP_1)
	v_add3_u32 v4, v5, v4, 0x487ffff
	v_lshrrev_b32_e32 v7, 20, v4
	s_or_saveexec_b32 s12, s12
                                        ; implicit-def: $sgpr13
	s_delay_alu instid0(SALU_CYCLE_1)
	s_xor_b32 exec_lo, exec_lo, s12
	s_cbranch_execz .LBB16_127
.LBB16_193:                             ;   in Loop: Header=BB16_81 Depth=1
	v_add_f32_e64 v4, 0x46000000, |v5|
	s_and_not1_b32 s8, s8, exec_lo
	s_mov_b32 s13, 0
	s_delay_alu instid0(VALU_DEP_1) | instskip(NEXT) | instid1(VALU_DEP_1)
	v_and_b32_e32 v7, 0xff, v4
	v_cmp_ne_u32_e32 vcc_lo, 0, v7
	s_and_b32 s14, vcc_lo, exec_lo
	s_delay_alu instid0(SALU_CYCLE_1)
	s_or_b32 s8, s8, s14
	s_or_b32 exec_lo, exec_lo, s12
	v_mov_b32_e32 v4, s13
	s_and_saveexec_b32 s12, s8
	s_cbranch_execnz .LBB16_128
	s_branch .LBB16_129
.LBB16_194:                             ;   in Loop: Header=BB16_81 Depth=1
	v_bfe_u32 v11, v13, 20, 1
	s_mov_b32 s12, exec_lo
	s_delay_alu instid0(VALU_DEP_1) | instskip(NEXT) | instid1(VALU_DEP_1)
	v_add3_u32 v11, v13, v11, 0x487ffff
	v_lshrrev_b32_e32 v14, 20, v11
	s_or_saveexec_b32 s13, s13
                                        ; implicit-def: $sgpr14
	s_delay_alu instid0(SALU_CYCLE_1)
	s_xor_b32 exec_lo, exec_lo, s13
	s_cbranch_execz .LBB16_134
.LBB16_195:                             ;   in Loop: Header=BB16_81 Depth=1
	v_add_f32_e64 v11, 0x46000000, |v13|
	s_and_not1_b32 s12, s12, exec_lo
	s_mov_b32 s14, 0
	s_delay_alu instid0(VALU_DEP_1) | instskip(NEXT) | instid1(VALU_DEP_1)
	v_and_b32_e32 v14, 0xff, v11
	v_cmp_ne_u32_e32 vcc_lo, 0, v14
	s_and_b32 s15, vcc_lo, exec_lo
	s_delay_alu instid0(SALU_CYCLE_1)
	s_or_b32 s12, s12, s15
	s_or_b32 exec_lo, exec_lo, s13
	v_mov_b32_e32 v11, s14
	s_and_saveexec_b32 s13, s12
	s_cbranch_execnz .LBB16_135
	s_branch .LBB16_136
.LBB16_196:                             ;   in Loop: Header=BB16_81 Depth=1
	v_bfe_u32 v12, v13, 20, 1
	s_mov_b32 s12, exec_lo
	s_delay_alu instid0(VALU_DEP_1) | instskip(NEXT) | instid1(VALU_DEP_1)
	v_add3_u32 v12, v13, v12, 0x487ffff
	v_lshrrev_b32_e32 v14, 20, v12
	s_or_saveexec_b32 s13, s13
                                        ; implicit-def: $sgpr14
	s_delay_alu instid0(SALU_CYCLE_1)
	s_xor_b32 exec_lo, exec_lo, s13
	s_cbranch_execz .LBB16_140
.LBB16_197:                             ;   in Loop: Header=BB16_81 Depth=1
	v_add_f32_e64 v12, 0x46000000, |v13|
	s_and_not1_b32 s12, s12, exec_lo
	s_mov_b32 s14, 0
	s_delay_alu instid0(VALU_DEP_1) | instskip(NEXT) | instid1(VALU_DEP_1)
	v_and_b32_e32 v14, 0xff, v12
	v_cmp_ne_u32_e32 vcc_lo, 0, v14
	s_and_b32 s15, vcc_lo, exec_lo
	s_delay_alu instid0(SALU_CYCLE_1)
	s_or_b32 s12, s12, s15
	s_or_b32 exec_lo, exec_lo, s13
	v_mov_b32_e32 v12, s14
	s_and_saveexec_b32 s13, s12
	s_cbranch_execnz .LBB16_141
	s_branch .LBB16_142
.LBB16_198:                             ;   in Loop: Header=BB16_81 Depth=1
	v_bfe_u32 v7, v13, 20, 1
	s_mov_b32 s12, exec_lo
	s_delay_alu instid0(VALU_DEP_1) | instskip(NEXT) | instid1(VALU_DEP_1)
	v_add3_u32 v7, v13, v7, 0x487ffff
	v_lshrrev_b32_e32 v14, 20, v7
	s_or_saveexec_b32 s13, s13
                                        ; implicit-def: $sgpr14
	s_delay_alu instid0(SALU_CYCLE_1)
	s_xor_b32 exec_lo, exec_lo, s13
	s_cbranch_execz .LBB16_146
.LBB16_199:                             ;   in Loop: Header=BB16_81 Depth=1
	v_add_f32_e64 v7, 0x46000000, |v13|
	s_and_not1_b32 s12, s12, exec_lo
	s_mov_b32 s14, 0
	s_delay_alu instid0(VALU_DEP_1) | instskip(NEXT) | instid1(VALU_DEP_1)
	v_and_b32_e32 v14, 0xff, v7
	v_cmp_ne_u32_e32 vcc_lo, 0, v14
	s_and_b32 s15, vcc_lo, exec_lo
	s_delay_alu instid0(SALU_CYCLE_1)
	s_or_b32 s12, s12, s15
	s_or_b32 exec_lo, exec_lo, s13
	v_mov_b32_e32 v7, s14
	s_and_saveexec_b32 s13, s12
	s_cbranch_execnz .LBB16_147
	s_branch .LBB16_148
.LBB16_200:                             ;   in Loop: Header=BB16_81 Depth=1
	v_bfe_u32 v5, v6, 20, 1
	s_mov_b32 s12, exec_lo
	s_delay_alu instid0(VALU_DEP_1) | instskip(NEXT) | instid1(VALU_DEP_1)
	v_add3_u32 v5, v6, v5, 0x487ffff
	v_lshrrev_b32_e32 v8, 20, v5
	s_or_saveexec_b32 s13, s13
                                        ; implicit-def: $sgpr14
	s_delay_alu instid0(SALU_CYCLE_1)
	s_xor_b32 exec_lo, exec_lo, s13
	s_cbranch_execz .LBB16_152
.LBB16_201:                             ;   in Loop: Header=BB16_81 Depth=1
	v_add_f32_e64 v5, 0x46000000, |v6|
	s_and_not1_b32 s12, s12, exec_lo
	s_mov_b32 s14, 0
	s_delay_alu instid0(VALU_DEP_1) | instskip(NEXT) | instid1(VALU_DEP_1)
	v_and_b32_e32 v8, 0xff, v5
	v_cmp_ne_u32_e32 vcc_lo, 0, v8
	s_and_b32 s15, vcc_lo, exec_lo
	s_delay_alu instid0(SALU_CYCLE_1)
	s_or_b32 s12, s12, s15
	s_or_b32 exec_lo, exec_lo, s13
	v_mov_b32_e32 v5, s14
	s_and_saveexec_b32 s13, s12
	s_cbranch_execnz .LBB16_153
	s_branch .LBB16_154
.LBB16_202:                             ;   in Loop: Header=BB16_81 Depth=1
	v_bfe_u32 v7, v11, 20, 1
	s_mov_b32 s13, exec_lo
	s_delay_alu instid0(VALU_DEP_1) | instskip(NEXT) | instid1(VALU_DEP_1)
	v_add3_u32 v7, v11, v7, 0x487ffff
	v_lshrrev_b32_e32 v12, 20, v7
	s_or_saveexec_b32 s14, s14
                                        ; implicit-def: $sgpr15
	s_delay_alu instid0(SALU_CYCLE_1)
	s_xor_b32 exec_lo, exec_lo, s14
	s_cbranch_execz .LBB16_159
.LBB16_203:                             ;   in Loop: Header=BB16_81 Depth=1
	v_add_f32_e64 v7, 0x46000000, |v11|
	s_and_not1_b32 s13, s13, exec_lo
	s_mov_b32 s15, 0
	s_delay_alu instid0(VALU_DEP_1) | instskip(NEXT) | instid1(VALU_DEP_1)
	v_and_b32_e32 v12, 0xff, v7
	v_cmp_ne_u32_e32 vcc_lo, 0, v12
	s_and_b32 s17, vcc_lo, exec_lo
	s_delay_alu instid0(SALU_CYCLE_1)
	s_or_b32 s13, s13, s17
	s_or_b32 exec_lo, exec_lo, s14
	v_mov_b32_e32 v7, s15
	s_and_saveexec_b32 s14, s13
	s_cbranch_execnz .LBB16_160
	s_branch .LBB16_161
.LBB16_204:                             ;   in Loop: Header=BB16_81 Depth=1
	v_bfe_u32 v8, v11, 20, 1
	s_mov_b32 s13, exec_lo
	s_delay_alu instid0(VALU_DEP_1) | instskip(NEXT) | instid1(VALU_DEP_1)
	v_add3_u32 v8, v11, v8, 0x487ffff
	v_lshrrev_b32_e32 v12, 20, v8
	s_or_saveexec_b32 s14, s14
                                        ; implicit-def: $sgpr15
	s_delay_alu instid0(SALU_CYCLE_1)
	s_xor_b32 exec_lo, exec_lo, s14
	s_cbranch_execz .LBB16_165
.LBB16_205:                             ;   in Loop: Header=BB16_81 Depth=1
	v_add_f32_e64 v8, 0x46000000, |v11|
	s_and_not1_b32 s13, s13, exec_lo
	s_mov_b32 s15, 0
	s_delay_alu instid0(VALU_DEP_1) | instskip(NEXT) | instid1(VALU_DEP_1)
	v_and_b32_e32 v12, 0xff, v8
	v_cmp_ne_u32_e32 vcc_lo, 0, v12
	s_and_b32 s17, vcc_lo, exec_lo
	s_delay_alu instid0(SALU_CYCLE_1)
	s_or_b32 s13, s13, s17
	s_or_b32 exec_lo, exec_lo, s14
	v_mov_b32_e32 v8, s15
	s_and_saveexec_b32 s14, s13
	s_cbranch_execnz .LBB16_166
	s_branch .LBB16_167
.LBB16_206:                             ;   in Loop: Header=BB16_81 Depth=1
	v_bfe_u32 v5, v11, 20, 1
	s_mov_b32 s13, exec_lo
	s_delay_alu instid0(VALU_DEP_1) | instskip(NEXT) | instid1(VALU_DEP_1)
	v_add3_u32 v5, v11, v5, 0x487ffff
	v_lshrrev_b32_e32 v12, 20, v5
	s_or_saveexec_b32 s14, s14
                                        ; implicit-def: $sgpr15
	s_delay_alu instid0(SALU_CYCLE_1)
	s_xor_b32 exec_lo, exec_lo, s14
	s_cbranch_execz .LBB16_171
.LBB16_207:                             ;   in Loop: Header=BB16_81 Depth=1
	v_add_f32_e64 v5, 0x46000000, |v11|
	s_and_not1_b32 s13, s13, exec_lo
	s_mov_b32 s15, 0
	s_delay_alu instid0(VALU_DEP_1) | instskip(NEXT) | instid1(VALU_DEP_1)
	v_and_b32_e32 v12, 0xff, v5
	v_cmp_ne_u32_e32 vcc_lo, 0, v12
	s_and_b32 s17, vcc_lo, exec_lo
	s_delay_alu instid0(SALU_CYCLE_1)
	s_or_b32 s13, s13, s17
	s_or_b32 exec_lo, exec_lo, s14
	v_mov_b32_e32 v5, s15
	s_and_saveexec_b32 s14, s13
	s_cbranch_execnz .LBB16_172
	s_branch .LBB16_173
.LBB16_208:                             ;   in Loop: Header=BB16_81 Depth=1
	v_bfe_u32 v3, v4, 20, 1
	s_mov_b32 s13, exec_lo
	s_delay_alu instid0(VALU_DEP_1) | instskip(NEXT) | instid1(VALU_DEP_1)
	v_add3_u32 v3, v4, v3, 0x487ffff
	v_lshrrev_b32_e32 v6, 20, v3
	s_or_saveexec_b32 s14, s14
                                        ; implicit-def: $sgpr15
	s_delay_alu instid0(SALU_CYCLE_1)
	s_xor_b32 exec_lo, exec_lo, s14
	s_cbranch_execz .LBB16_177
.LBB16_209:                             ;   in Loop: Header=BB16_81 Depth=1
	v_add_f32_e64 v3, 0x46000000, |v4|
	s_and_not1_b32 s13, s13, exec_lo
	s_mov_b32 s15, 0
	s_delay_alu instid0(VALU_DEP_1) | instskip(NEXT) | instid1(VALU_DEP_1)
	v_and_b32_e32 v6, 0xff, v3
	v_cmp_ne_u32_e32 vcc_lo, 0, v6
	s_and_b32 s17, vcc_lo, exec_lo
	s_delay_alu instid0(SALU_CYCLE_1)
	s_or_b32 s13, s13, s17
	s_or_b32 exec_lo, exec_lo, s14
	v_mov_b32_e32 v3, s15
	s_and_saveexec_b32 s14, s13
	s_cbranch_execz .LBB16_76
.LBB16_210:                             ;   in Loop: Header=BB16_81 Depth=1
	v_lshrrev_b32_e32 v3, 24, v4
	s_delay_alu instid0(VALU_DEP_1)
	v_and_or_b32 v3, 0x80, v3, v6
	s_branch .LBB16_76
.LBB16_211:
	s_nop 0
	s_sendmsg sendmsg(MSG_DEALLOC_VGPRS)
	s_endpgm
	.section	.rodata,"a",@progbits
	.p2align	6, 0x0
	.amdhsa_kernel _ZN4vllm39rms_norm_dynamic_per_token_quant_kernelIN3c108BFloat16ENS1_15Float8_e4m3fnuzELb0EEEvPT0_PfPKT_S9_PKffiiPS7_
		.amdhsa_group_segment_fixed_size 528
		.amdhsa_private_segment_fixed_size 0
		.amdhsa_kernarg_size 320
		.amdhsa_user_sgpr_count 15
		.amdhsa_user_sgpr_dispatch_ptr 0
		.amdhsa_user_sgpr_queue_ptr 0
		.amdhsa_user_sgpr_kernarg_segment_ptr 1
		.amdhsa_user_sgpr_dispatch_id 0
		.amdhsa_user_sgpr_private_segment_size 0
		.amdhsa_wavefront_size32 1
		.amdhsa_uses_dynamic_stack 0
		.amdhsa_enable_private_segment 0
		.amdhsa_system_sgpr_workgroup_id_x 1
		.amdhsa_system_sgpr_workgroup_id_y 0
		.amdhsa_system_sgpr_workgroup_id_z 0
		.amdhsa_system_sgpr_workgroup_info 0
		.amdhsa_system_vgpr_workitem_id 0
		.amdhsa_next_free_vgpr 29
		.amdhsa_next_free_sgpr 35
		.amdhsa_reserve_vcc 1
		.amdhsa_float_round_mode_32 0
		.amdhsa_float_round_mode_16_64 0
		.amdhsa_float_denorm_mode_32 3
		.amdhsa_float_denorm_mode_16_64 3
		.amdhsa_dx10_clamp 1
		.amdhsa_ieee_mode 1
		.amdhsa_fp16_overflow 0
		.amdhsa_workgroup_processor_mode 1
		.amdhsa_memory_ordered 1
		.amdhsa_forward_progress 0
		.amdhsa_shared_vgpr_count 0
		.amdhsa_exception_fp_ieee_invalid_op 0
		.amdhsa_exception_fp_denorm_src 0
		.amdhsa_exception_fp_ieee_div_zero 0
		.amdhsa_exception_fp_ieee_overflow 0
		.amdhsa_exception_fp_ieee_underflow 0
		.amdhsa_exception_fp_ieee_inexact 0
		.amdhsa_exception_int_div_zero 0
	.end_amdhsa_kernel
	.section	.text._ZN4vllm39rms_norm_dynamic_per_token_quant_kernelIN3c108BFloat16ENS1_15Float8_e4m3fnuzELb0EEEvPT0_PfPKT_S9_PKffiiPS7_,"axG",@progbits,_ZN4vllm39rms_norm_dynamic_per_token_quant_kernelIN3c108BFloat16ENS1_15Float8_e4m3fnuzELb0EEEvPT0_PfPKT_S9_PKffiiPS7_,comdat
.Lfunc_end16:
	.size	_ZN4vllm39rms_norm_dynamic_per_token_quant_kernelIN3c108BFloat16ENS1_15Float8_e4m3fnuzELb0EEEvPT0_PfPKT_S9_PKffiiPS7_, .Lfunc_end16-_ZN4vllm39rms_norm_dynamic_per_token_quant_kernelIN3c108BFloat16ENS1_15Float8_e4m3fnuzELb0EEEvPT0_PfPKT_S9_PKffiiPS7_
                                        ; -- End function
	.section	.AMDGPU.csdata,"",@progbits
; Kernel info:
; codeLenInByte = 16256
; NumSgprs: 37
; NumVgprs: 29
; ScratchSize: 0
; MemoryBound: 0
; FloatMode: 240
; IeeeMode: 1
; LDSByteSize: 528 bytes/workgroup (compile time only)
; SGPRBlocks: 4
; VGPRBlocks: 3
; NumSGPRsForWavesPerEU: 37
; NumVGPRsForWavesPerEU: 29
; Occupancy: 16
; WaveLimiterHint : 0
; COMPUTE_PGM_RSRC2:SCRATCH_EN: 0
; COMPUTE_PGM_RSRC2:USER_SGPR: 15
; COMPUTE_PGM_RSRC2:TRAP_HANDLER: 0
; COMPUTE_PGM_RSRC2:TGID_X_EN: 1
; COMPUTE_PGM_RSRC2:TGID_Y_EN: 0
; COMPUTE_PGM_RSRC2:TGID_Z_EN: 0
; COMPUTE_PGM_RSRC2:TIDIG_COMP_CNT: 0
	.section	.text._ZN4vllm39rms_norm_dynamic_per_token_quant_kernelIN3c108BFloat16EaLb0EEEvPT0_PfPKT_S8_PKffiiPS6_,"axG",@progbits,_ZN4vllm39rms_norm_dynamic_per_token_quant_kernelIN3c108BFloat16EaLb0EEEvPT0_PfPKT_S8_PKffiiPS6_,comdat
	.protected	_ZN4vllm39rms_norm_dynamic_per_token_quant_kernelIN3c108BFloat16EaLb0EEEvPT0_PfPKT_S8_PKffiiPS6_ ; -- Begin function _ZN4vllm39rms_norm_dynamic_per_token_quant_kernelIN3c108BFloat16EaLb0EEEvPT0_PfPKT_S8_PKffiiPS6_
	.globl	_ZN4vllm39rms_norm_dynamic_per_token_quant_kernelIN3c108BFloat16EaLb0EEEvPT0_PfPKT_S8_PKffiiPS6_
	.p2align	8
	.type	_ZN4vllm39rms_norm_dynamic_per_token_quant_kernelIN3c108BFloat16EaLb0EEEvPT0_PfPKT_S8_PKffiiPS6_,@function
_ZN4vllm39rms_norm_dynamic_per_token_quant_kernelIN3c108BFloat16EaLb0EEEvPT0_PfPKT_S8_PKffiiPS6_: ; @_ZN4vllm39rms_norm_dynamic_per_token_quant_kernelIN3c108BFloat16EaLb0EEEvPT0_PfPKT_S8_PKffiiPS6_
; %bb.0:
	s_mov_b32 s24, s15
	s_clause 0x2
	s_load_b128 s[20:23], s[0:1], 0x28
	s_load_b64 s[26:27], s[0:1], 0x20
	s_load_b256 s[12:19], s[0:1], 0x0
	s_waitcnt lgkmcnt(0)
	s_or_b32 s2, s22, s21
	s_delay_alu instid0(SALU_CYCLE_1) | instskip(NEXT) | instid1(SALU_CYCLE_1)
	s_and_b32 s2, s2, 3
	s_cmp_lg_u32 s2, 0
	s_cbranch_scc0 .LBB17_31
; %bb.1:
	v_cmp_gt_u32_e64 s2, s21, v0
	v_cmp_le_u32_e64 s3, s21, v0
                                        ; implicit-def: $sgpr7
                                        ; implicit-def: $sgpr4_sgpr5
	s_delay_alu instid0(VALU_DEP_1) | instskip(NEXT) | instid1(SALU_CYCLE_1)
	s_and_saveexec_b32 s6, s3
	s_xor_b32 s6, exec_lo, s6
; %bb.2:
	s_add_u32 s4, s0, 64
	s_addc_u32 s5, s1, 0
	s_mov_b32 s7, 0
; %bb.3:
	s_or_saveexec_b32 s6, s6
	v_dual_mov_b32 v1, s4 :: v_dual_mov_b32 v4, s24
	v_dual_mov_b32 v3, s7 :: v_dual_mov_b32 v2, s5
	s_xor_b32 exec_lo, exec_lo, s6
	s_cbranch_execz .LBB17_7
; %bb.4:
	s_load_b32 s9, s[0:1], 0x4c
	s_ashr_i32 s5, s22, 31
	s_mul_hi_u32 s7, s22, s24
	s_mul_i32 s5, s5, s24
	s_mul_i32 s4, s22, s24
	s_add_i32 s5, s7, s5
	v_dual_mov_b32 v2, 0 :: v_dual_mov_b32 v3, 0
	s_lshl_b64 s[4:5], s[4:5], 1
	v_mov_b32_e32 v1, v0
	s_add_u32 s7, s16, s4
	s_addc_u32 s8, s17, s5
	s_add_u32 s4, s0, 64
	s_addc_u32 s5, s1, 0
	s_waitcnt lgkmcnt(0)
	s_and_b32 s10, s9, 0xffff
	s_mov_b32 s9, 0
.LBB17_5:                               ; =>This Inner Loop Header: Depth=1
	v_lshlrev_b64 v[4:5], 1, v[1:2]
	v_add_nc_u32_e32 v1, s10, v1
	s_delay_alu instid0(VALU_DEP_2) | instskip(NEXT) | instid1(VALU_DEP_3)
	v_add_co_u32 v4, vcc_lo, s7, v4
	v_add_co_ci_u32_e32 v5, vcc_lo, s8, v5, vcc_lo
	s_delay_alu instid0(VALU_DEP_3) | instskip(SKIP_4) | instid1(VALU_DEP_1)
	v_cmp_le_u32_e32 vcc_lo, s21, v1
	global_load_u16 v4, v[4:5], off
	s_or_b32 s9, vcc_lo, s9
	s_waitcnt vmcnt(0)
	v_lshlrev_b32_e32 v4, 16, v4
	v_fmac_f32_e32 v3, v4, v4
	s_and_not1_b32 exec_lo, exec_lo, s9
	s_cbranch_execnz .LBB17_5
; %bb.6:
	s_or_b32 exec_lo, exec_lo, s9
	v_dual_mov_b32 v1, s4 :: v_dual_mov_b32 v2, s5
	v_mov_b32_e32 v4, s24
.LBB17_7:
	s_or_b32 exec_lo, exec_lo, s6
	global_load_b32 v5, v[1:2], off
	v_and_b32_e32 v14, 0x3e0, v0
	s_waitcnt vmcnt(0)
	v_cmp_lt_u32_e32 vcc_lo, v4, v5
	v_cndmask_b32_e64 v4, 18, 12, vcc_lo
	s_delay_alu instid0(VALU_DEP_1) | instskip(SKIP_3) | instid1(VALU_DEP_1)
	v_add_co_u32 v1, vcc_lo, v1, v4
	v_add_co_ci_u32_e32 v2, vcc_lo, 0, v2, vcc_lo
	global_load_u16 v1, v[1:2], off
	v_mbcnt_lo_u32_b32 v2, -1, 0
	v_cmp_ne_u32_e32 vcc_lo, 31, v2
	v_add_nc_u32_e32 v5, 1, v2
	v_cmp_eq_u32_e64 s5, 0, v2
	v_add_co_ci_u32_e32 v4, vcc_lo, 0, v2, vcc_lo
	v_cmp_gt_u32_e32 vcc_lo, 30, v2
	s_delay_alu instid0(VALU_DEP_2) | instskip(SKIP_4) | instid1(VALU_DEP_1)
	v_lshlrev_b32_e32 v4, 2, v4
	v_cndmask_b32_e64 v7, 0, 1, vcc_lo
	ds_bpermute_b32 v6, v4, v3
	s_waitcnt lgkmcnt(0)
	v_dual_add_f32 v8, v3, v6 :: v_dual_lshlrev_b32 v7, 1, v7
	v_add_lshl_u32 v6, v7, v2, 2
	s_waitcnt vmcnt(0)
	v_sub_nc_u32_e64 v15, v1, v14 clamp
	s_delay_alu instid0(VALU_DEP_1) | instskip(SKIP_3) | instid1(VALU_DEP_1)
	v_cmp_lt_u32_e32 vcc_lo, v5, v15
	v_cndmask_b32_e32 v3, v3, v8, vcc_lo
	v_cmp_gt_u32_e32 vcc_lo, 28, v2
	v_cndmask_b32_e64 v8, 0, 1, vcc_lo
	v_lshlrev_b32_e32 v9, 2, v8
	v_add_nc_u32_e32 v8, 2, v2
	ds_bpermute_b32 v7, v6, v3
	v_cmp_lt_u32_e32 vcc_lo, v8, v15
	s_waitcnt lgkmcnt(0)
	v_add_f32_e32 v10, v3, v7
	v_add_lshl_u32 v7, v9, v2, 2
	s_delay_alu instid0(VALU_DEP_2) | instskip(SKIP_4) | instid1(VALU_DEP_1)
	v_cndmask_b32_e32 v3, v3, v10, vcc_lo
	v_cmp_gt_u32_e32 vcc_lo, 24, v2
	ds_bpermute_b32 v9, v7, v3
	v_cndmask_b32_e64 v10, 0, 1, vcc_lo
	s_waitcnt lgkmcnt(0)
	v_dual_add_f32 v12, v3, v9 :: v_dual_lshlrev_b32 v11, 3, v10
	v_add_nc_u32_e32 v10, 4, v2
	s_delay_alu instid0(VALU_DEP_2) | instskip(NEXT) | instid1(VALU_DEP_2)
	v_add_lshl_u32 v9, v11, v2, 2
	v_cmp_lt_u32_e32 vcc_lo, v10, v15
	s_delay_alu instid0(VALU_DEP_4) | instskip(SKIP_4) | instid1(VALU_DEP_1)
	v_cndmask_b32_e32 v3, v3, v12, vcc_lo
	v_cmp_gt_u32_e32 vcc_lo, 16, v2
	ds_bpermute_b32 v11, v9, v3
	v_cndmask_b32_e64 v12, 0, 1, vcc_lo
	s_waitcnt lgkmcnt(0)
	v_dual_add_f32 v16, v3, v11 :: v_dual_lshlrev_b32 v13, 4, v12
	v_add_nc_u32_e32 v12, 8, v2
	s_delay_alu instid0(VALU_DEP_2) | instskip(NEXT) | instid1(VALU_DEP_2)
	v_add_lshl_u32 v11, v13, v2, 2
	v_cmp_lt_u32_e32 vcc_lo, v12, v15
	s_delay_alu instid0(VALU_DEP_4) | instskip(SKIP_3) | instid1(VALU_DEP_1)
	v_cndmask_b32_e32 v3, v3, v16, vcc_lo
	ds_bpermute_b32 v16, v11, v3
	s_waitcnt lgkmcnt(0)
	v_dual_add_f32 v16, v3, v16 :: v_dual_add_nc_u32 v13, 16, v2
	v_cmp_lt_u32_e32 vcc_lo, v13, v15
	s_delay_alu instid0(VALU_DEP_2)
	v_cndmask_b32_e32 v3, v3, v16, vcc_lo
	s_and_saveexec_b32 s4, s5
	s_cbranch_execz .LBB17_9
; %bb.8:
	v_lshrrev_b32_e32 v15, 3, v0
	s_delay_alu instid0(VALU_DEP_1)
	v_and_b32_e32 v15, 0x7c, v15
	ds_store_b32 v15, v3 offset:256
.LBB17_9:
	s_or_b32 exec_lo, exec_lo, s4
	v_cmp_gt_u32_e64 s6, 32, v0
	v_lshlrev_b32_e32 v15, 2, v2
	s_waitcnt lgkmcnt(0)
	s_barrier
	buffer_gl0_inv
	s_and_saveexec_b32 s4, s6
	s_cbranch_execz .LBB17_11
; %bb.10:
	ds_load_b32 v2, v15 offset:256
	s_waitcnt lgkmcnt(0)
	ds_bpermute_b32 v3, v4, v2
	s_waitcnt lgkmcnt(0)
	v_add_f32_e32 v3, v2, v3
	v_add_nc_u32_e32 v1, 31, v1
	s_delay_alu instid0(VALU_DEP_1) | instskip(NEXT) | instid1(VALU_DEP_1)
	v_lshrrev_b32_e32 v1, 5, v1
	v_cmp_lt_u32_e32 vcc_lo, v5, v1
	s_delay_alu instid0(VALU_DEP_4) | instskip(SKIP_4) | instid1(VALU_DEP_1)
	v_cndmask_b32_e32 v2, v2, v3, vcc_lo
	v_cmp_lt_u32_e32 vcc_lo, v8, v1
	ds_bpermute_b32 v3, v6, v2
	s_waitcnt lgkmcnt(0)
	v_add_f32_e32 v3, v2, v3
	v_cndmask_b32_e32 v2, v2, v3, vcc_lo
	v_cmp_lt_u32_e32 vcc_lo, v10, v1
	ds_bpermute_b32 v3, v7, v2
	s_waitcnt lgkmcnt(0)
	v_add_f32_e32 v3, v2, v3
	s_delay_alu instid0(VALU_DEP_1) | instskip(SKIP_4) | instid1(VALU_DEP_1)
	v_cndmask_b32_e32 v2, v2, v3, vcc_lo
	v_cmp_lt_u32_e32 vcc_lo, v12, v1
	ds_bpermute_b32 v3, v9, v2
	s_waitcnt lgkmcnt(0)
	v_add_f32_e32 v3, v2, v3
	v_cndmask_b32_e32 v2, v2, v3, vcc_lo
	v_cmp_lt_u32_e32 vcc_lo, v13, v1
	ds_bpermute_b32 v3, v11, v2
	s_waitcnt lgkmcnt(0)
	v_add_f32_e32 v3, v2, v3
	s_delay_alu instid0(VALU_DEP_1)
	v_cndmask_b32_e32 v3, v2, v3, vcc_lo
.LBB17_11:
	s_or_b32 exec_lo, exec_lo, s4
	v_cmp_eq_u32_e64 s4, 0, v0
	s_mov_b32 s25, 0
	s_delay_alu instid0(VALU_DEP_1)
	s_and_saveexec_b32 s7, s4
	s_cbranch_execz .LBB17_13
; %bb.12:
	v_cvt_f32_i32_e32 v1, s21
	s_delay_alu instid0(VALU_DEP_1) | instskip(SKIP_1) | instid1(VALU_DEP_2)
	v_div_scale_f32 v2, null, v1, v1, v3
	v_div_scale_f32 v18, vcc_lo, v3, v1, v3
	v_rcp_f32_e32 v16, v2
	s_waitcnt_depctr 0xfff
	v_fma_f32 v17, -v2, v16, 1.0
	s_delay_alu instid0(VALU_DEP_1) | instskip(NEXT) | instid1(VALU_DEP_1)
	v_fmac_f32_e32 v16, v17, v16
	v_mul_f32_e32 v17, v18, v16
	s_delay_alu instid0(VALU_DEP_1) | instskip(NEXT) | instid1(VALU_DEP_1)
	v_fma_f32 v19, -v2, v17, v18
	v_fmac_f32_e32 v17, v19, v16
	s_delay_alu instid0(VALU_DEP_1) | instskip(NEXT) | instid1(VALU_DEP_1)
	v_fma_f32 v2, -v2, v17, v18
	v_div_fmas_f32 v2, v2, v16, v17
	s_delay_alu instid0(VALU_DEP_1) | instskip(NEXT) | instid1(VALU_DEP_1)
	v_div_fixup_f32 v1, v2, v1, v3
	v_add_f32_e32 v1, s20, v1
	s_delay_alu instid0(VALU_DEP_1) | instskip(SKIP_1) | instid1(VALU_DEP_2)
	v_mul_f32_e32 v2, 0x4b800000, v1
	v_cmp_gt_f32_e32 vcc_lo, 0x800000, v1
	v_cndmask_b32_e32 v1, v1, v2, vcc_lo
	s_delay_alu instid0(VALU_DEP_1) | instskip(SKIP_2) | instid1(VALU_DEP_1)
	v_rsq_f32_e32 v1, v1
	s_waitcnt_depctr 0xfff
	v_mul_f32_e32 v2, 0x45800000, v1
	v_dual_cndmask_b32 v1, v1, v2 :: v_dual_mov_b32 v2, 0
	ds_store_b32 v2, v1 offset:520
.LBB17_13:
	s_or_b32 exec_lo, exec_lo, s7
	v_mov_b32_e32 v1, 0
	s_waitcnt lgkmcnt(0)
	s_barrier
	buffer_gl0_inv
                                        ; implicit-def: $sgpr7
                                        ; implicit-def: $sgpr8_sgpr9
	ds_load_b32 v3, v1 offset:520
	s_waitcnt lgkmcnt(0)
	s_barrier
	buffer_gl0_inv
	s_and_saveexec_b32 s10, s3
	s_delay_alu instid0(SALU_CYCLE_1)
	s_xor_b32 s3, exec_lo, s10
; %bb.14:
	s_add_u32 s8, s0, 64
	s_addc_u32 s9, s1, 0
	s_mov_b32 s7, 0
; %bb.15:
	s_or_saveexec_b32 s3, s3
	v_dual_mov_b32 v16, s7 :: v_dual_mov_b32 v1, s8
	v_mov_b32_e32 v2, s9
	s_mul_hi_u32 s11, s22, s24
	s_mul_i32 s28, s22, s24
	s_xor_b32 exec_lo, exec_lo, s3
	s_cbranch_execz .LBB17_19
; %bb.16:
	s_load_b32 s23, s[0:1], 0x4c
	s_ashr_i32 s7, s22, 31
	v_dual_mov_b32 v2, 0 :: v_dual_mov_b32 v1, v0
	s_mul_i32 s7, s7, s24
	v_mov_b32_e32 v16, 0
	s_add_i32 s29, s11, s7
	s_delay_alu instid0(SALU_CYCLE_1) | instskip(NEXT) | instid1(SALU_CYCLE_1)
	s_lshl_b64 s[8:9], s[28:29], 1
	s_add_u32 s7, s16, s8
	s_addc_u32 s10, s17, s9
	s_add_u32 s8, s0, 64
	s_addc_u32 s9, s1, 0
	s_waitcnt lgkmcnt(0)
	s_and_b32 s29, s23, 0xffff
	s_mov_b32 s23, 0
	s_set_inst_prefetch_distance 0x1
	.p2align	6
.LBB17_17:                              ; =>This Inner Loop Header: Depth=1
	v_lshlrev_b64 v[17:18], 1, v[1:2]
	s_delay_alu instid0(VALU_DEP_2) | instskip(NEXT) | instid1(VALU_DEP_2)
	v_dual_max_f32 v16, v16, v16 :: v_dual_add_nc_u32 v1, s29, v1
	v_add_co_u32 v19, vcc_lo, s7, v17
	s_delay_alu instid0(VALU_DEP_3)
	v_add_co_ci_u32_e32 v20, vcc_lo, s10, v18, vcc_lo
	v_add_co_u32 v17, vcc_lo, s18, v17
	v_add_co_ci_u32_e32 v18, vcc_lo, s19, v18, vcc_lo
	global_load_u16 v19, v[19:20], off
	global_load_u16 v17, v[17:18], off
	s_waitcnt vmcnt(1)
	v_lshlrev_b32_e32 v18, 16, v19
	s_delay_alu instid0(VALU_DEP_1) | instskip(NEXT) | instid1(VALU_DEP_1)
	v_mul_f32_e32 v18, v3, v18
	v_bfe_u32 v19, v18, 16, 1
	s_delay_alu instid0(VALU_DEP_1) | instskip(NEXT) | instid1(VALU_DEP_1)
	v_add3_u32 v19, v18, v19, 0x7fff
	v_and_b32_e32 v19, 0xffff0000, v19
	v_cmp_o_f32_e32 vcc_lo, v18, v18
	s_waitcnt vmcnt(0)
	s_delay_alu instid0(VALU_DEP_2) | instskip(NEXT) | instid1(VALU_DEP_1)
	v_dual_cndmask_b32 v18, 0x7fc00000, v19 :: v_dual_lshlrev_b32 v17, 16, v17
	v_mul_f32_e32 v17, v18, v17
	s_delay_alu instid0(VALU_DEP_1) | instskip(NEXT) | instid1(VALU_DEP_1)
	v_bfe_u32 v18, v17, 16, 1
	v_add3_u32 v18, v17, v18, 0x7fff
	s_delay_alu instid0(VALU_DEP_1) | instskip(SKIP_1) | instid1(VALU_DEP_2)
	v_and_b32_e32 v18, 0xffff0000, v18
	v_cmp_o_f32_e32 vcc_lo, v17, v17
	v_cndmask_b32_e64 v17, 0x7fc00000, |v18|, vcc_lo
	v_cmp_le_u32_e32 vcc_lo, s21, v1
	s_delay_alu instid0(VALU_DEP_2) | instskip(SKIP_1) | instid1(VALU_DEP_1)
	v_max_f32_e32 v17, v17, v17
	s_or_b32 s23, vcc_lo, s23
	v_max_f32_e32 v16, v16, v17
	s_and_not1_b32 exec_lo, exec_lo, s23
	s_cbranch_execnz .LBB17_17
; %bb.18:
	s_set_inst_prefetch_distance 0x2
	s_or_b32 exec_lo, exec_lo, s23
	v_dual_mov_b32 v1, s8 :: v_dual_mov_b32 v2, s9
.LBB17_19:
	s_or_b32 exec_lo, exec_lo, s3
	global_load_b32 v17, v[1:2], off
	s_waitcnt vmcnt(0)
	v_cmp_lt_u32_e32 vcc_lo, s24, v17
	v_cndmask_b32_e64 v17, 18, 12, vcc_lo
	s_delay_alu instid0(VALU_DEP_1)
	v_add_co_u32 v1, vcc_lo, v1, v17
	v_add_co_ci_u32_e32 v2, vcc_lo, 0, v2, vcc_lo
	global_load_u16 v1, v[1:2], off
	ds_bpermute_b32 v2, v4, v16
	s_waitcnt lgkmcnt(0)
	v_cmp_lt_f32_e32 vcc_lo, v16, v2
	v_cndmask_b32_e32 v2, v16, v2, vcc_lo
	s_waitcnt vmcnt(0)
	v_sub_nc_u32_e64 v14, v1, v14 clamp
	s_delay_alu instid0(VALU_DEP_1)
	v_cmp_lt_u32_e32 vcc_lo, v5, v14
	v_cmp_lt_u32_e64 s9, v13, v14
	v_cndmask_b32_e32 v2, v16, v2, vcc_lo
	ds_bpermute_b32 v17, v6, v2
	s_waitcnt lgkmcnt(0)
	v_cmp_lt_f32_e64 s3, v2, v17
	s_delay_alu instid0(VALU_DEP_1) | instskip(SKIP_1) | instid1(VALU_DEP_1)
	v_cndmask_b32_e64 v17, v2, v17, s3
	v_cmp_lt_u32_e64 s3, v8, v14
	v_cndmask_b32_e64 v2, v2, v17, s3
	s_or_b32 s3, vcc_lo, s3
	ds_bpermute_b32 v17, v7, v2
	s_waitcnt lgkmcnt(0)
	v_cmp_lt_f32_e64 s7, v2, v17
	s_delay_alu instid0(VALU_DEP_1) | instskip(SKIP_1) | instid1(VALU_DEP_1)
	v_cndmask_b32_e64 v17, v2, v17, s7
	v_cmp_lt_u32_e64 s7, v10, v14
	v_cndmask_b32_e64 v2, v2, v17, s7
	s_or_b32 s3, s7, s3
	ds_bpermute_b32 v17, v9, v2
	s_waitcnt lgkmcnt(0)
	v_cmp_lt_f32_e64 s8, v2, v17
	s_delay_alu instid0(VALU_DEP_1) | instskip(SKIP_1) | instid1(VALU_DEP_1)
	v_cndmask_b32_e64 v17, v2, v17, s8
	v_cmp_lt_u32_e64 s8, v12, v14
	v_cndmask_b32_e64 v2, v2, v17, s8
	s_or_b32 s3, s8, s3
	ds_bpermute_b32 v17, v11, v2
	s_waitcnt lgkmcnt(0)
	v_cmp_lt_f32_e64 s10, v2, v17
	s_delay_alu instid0(VALU_DEP_1) | instskip(SKIP_2) | instid1(VALU_DEP_1)
	s_and_b32 vcc_lo, s9, s10
	v_cndmask_b32_e32 v2, v2, v17, vcc_lo
	s_or_b32 vcc_lo, s9, s3
	v_cndmask_b32_e32 v2, v16, v2, vcc_lo
	s_and_saveexec_b32 s3, s5
	s_cbranch_execz .LBB17_21
; %bb.20:
	v_lshrrev_b32_e32 v14, 3, v0
	s_delay_alu instid0(VALU_DEP_1)
	v_and_b32_e32 v14, 0x7c, v14
	ds_store_b32 v14, v2 offset:384
.LBB17_21:
	s_or_b32 exec_lo, exec_lo, s3
	s_waitcnt lgkmcnt(0)
	s_barrier
	buffer_gl0_inv
	s_and_saveexec_b32 s9, s6
	s_cbranch_execz .LBB17_23
; %bb.22:
	ds_load_b32 v2, v15 offset:384
	s_waitcnt lgkmcnt(0)
	ds_bpermute_b32 v4, v4, v2
	s_waitcnt lgkmcnt(0)
	v_cmp_lt_f32_e32 vcc_lo, v2, v4
	v_dual_cndmask_b32 v4, v2, v4 :: v_dual_add_nc_u32 v1, 31, v1
	s_delay_alu instid0(VALU_DEP_1) | instskip(NEXT) | instid1(VALU_DEP_1)
	v_lshrrev_b32_e32 v1, 5, v1
	v_cmp_lt_u32_e32 vcc_lo, v5, v1
	v_cmp_lt_u32_e64 s7, v13, v1
	s_delay_alu instid0(VALU_DEP_4) | instskip(SKIP_3) | instid1(VALU_DEP_1)
	v_cndmask_b32_e32 v4, v2, v4, vcc_lo
	ds_bpermute_b32 v5, v6, v4
	s_waitcnt lgkmcnt(0)
	v_cmp_lt_f32_e64 s3, v4, v5
	v_cndmask_b32_e64 v5, v4, v5, s3
	v_cmp_lt_u32_e64 s3, v8, v1
	s_delay_alu instid0(VALU_DEP_1) | instskip(SKIP_4) | instid1(VALU_DEP_1)
	v_cndmask_b32_e64 v4, v4, v5, s3
	s_or_b32 s3, vcc_lo, s3
	ds_bpermute_b32 v5, v7, v4
	s_waitcnt lgkmcnt(0)
	v_cmp_lt_f32_e64 s5, v4, v5
	v_cndmask_b32_e64 v5, v4, v5, s5
	v_cmp_lt_u32_e64 s5, v10, v1
	s_delay_alu instid0(VALU_DEP_1) | instskip(SKIP_4) | instid1(VALU_DEP_1)
	v_cndmask_b32_e64 v4, v4, v5, s5
	s_or_b32 s3, s5, s3
	ds_bpermute_b32 v5, v9, v4
	s_waitcnt lgkmcnt(0)
	v_cmp_lt_f32_e64 s6, v4, v5
	v_cndmask_b32_e64 v5, v4, v5, s6
	v_cmp_lt_u32_e64 s6, v12, v1
	s_delay_alu instid0(VALU_DEP_1) | instskip(SKIP_4) | instid1(VALU_DEP_1)
	v_cndmask_b32_e64 v4, v4, v5, s6
	s_or_b32 s3, s6, s3
	ds_bpermute_b32 v5, v11, v4
	s_waitcnt lgkmcnt(0)
	v_cmp_lt_f32_e64 s8, v4, v5
	s_and_b32 vcc_lo, s7, s8
	v_cndmask_b32_e32 v1, v4, v5, vcc_lo
	s_or_b32 vcc_lo, s7, s3
	s_delay_alu instid0(VALU_DEP_1)
	v_cndmask_b32_e32 v2, v2, v1, vcc_lo
.LBB17_23:
	s_or_b32 exec_lo, exec_lo, s9
	s_and_saveexec_b32 s3, s4
	s_cbranch_execz .LBB17_27
; %bb.24:
	s_cmp_eq_u64 s[26:27], 0
	s_cbranch_scc1 .LBB17_26
; %bb.25:
	s_load_b32 s4, s[26:27], 0x0
	v_max_f32_e32 v1, v2, v2
	s_waitcnt lgkmcnt(0)
	v_max_f32_e64 v2, s4, s4
	s_delay_alu instid0(VALU_DEP_1)
	v_min_f32_e32 v2, v1, v2
.LBB17_26:
	s_delay_alu instid0(VALU_DEP_1) | instskip(SKIP_2) | instid1(VALU_DEP_2)
	v_div_scale_f32 v1, null, 0x42fe0000, 0x42fe0000, v2
	v_div_scale_f32 v6, vcc_lo, v2, 0x42fe0000, v2
	s_lshl_b64 s[4:5], s[24:25], 2
	v_rcp_f32_e32 v4, v1
	s_add_u32 s4, s14, s4
	s_addc_u32 s5, s15, s5
	s_waitcnt_depctr 0xfff
	v_fma_f32 v5, -v1, v4, 1.0
	s_delay_alu instid0(VALU_DEP_1) | instskip(NEXT) | instid1(VALU_DEP_1)
	v_fmac_f32_e32 v4, v5, v4
	v_mul_f32_e32 v5, v6, v4
	s_delay_alu instid0(VALU_DEP_1) | instskip(NEXT) | instid1(VALU_DEP_1)
	v_fma_f32 v7, -v1, v5, v6
	v_fmac_f32_e32 v5, v7, v4
	s_delay_alu instid0(VALU_DEP_1) | instskip(NEXT) | instid1(VALU_DEP_1)
	v_fma_f32 v1, -v1, v5, v6
	v_div_fmas_f32 v1, v1, v4, v5
	s_delay_alu instid0(VALU_DEP_1) | instskip(NEXT) | instid1(VALU_DEP_1)
	v_div_fixup_f32 v1, v1, 0x42fe0000, v2
	v_dual_mov_b32 v2, 0 :: v_dual_max_f32 v1, 0x34000000, v1
	ds_store_b32 v2, v1 offset:524
	global_store_b32 v2, v1, s[4:5]
.LBB17_27:
	s_or_b32 exec_lo, exec_lo, s3
	s_waitcnt lgkmcnt(0)
	s_waitcnt_vscnt null, 0x0
	s_barrier
	buffer_gl0_inv
	s_and_saveexec_b32 s4, s2
	s_cbranch_execz .LBB17_30
; %bb.28:
	v_mov_b32_e32 v2, 0
	s_load_b32 s7, s[0:1], 0x4c
	s_ashr_i32 s3, s22, 31
	s_ashr_i32 s2, s21, 31
	s_mul_i32 s3, s3, s24
	ds_load_b32 v1, v2 offset:524
	s_add_i32 s29, s11, s3
	s_mul_hi_u32 s5, s21, s24
	s_mul_i32 s6, s2, s24
	s_lshl_b64 s[2:3], s[28:29], 1
	s_add_i32 s9, s5, s6
	s_mul_i32 s8, s21, s24
	s_add_u32 s5, s16, s2
	s_addc_u32 s6, s17, s3
	s_add_u32 s2, s12, s8
	s_addc_u32 s3, s13, s9
	s_mov_b32 s8, 0
	s_waitcnt lgkmcnt(0)
	s_and_b32 s7, s7, 0xffff
	v_div_scale_f32 v4, null, v1, v1, 1.0
	v_div_scale_f32 v7, vcc_lo, 1.0, v1, 1.0
	s_delay_alu instid0(VALU_DEP_2) | instskip(SKIP_2) | instid1(VALU_DEP_1)
	v_rcp_f32_e32 v5, v4
	s_waitcnt_depctr 0xfff
	v_fma_f32 v6, -v4, v5, 1.0
	v_fmac_f32_e32 v5, v6, v5
	s_delay_alu instid0(VALU_DEP_1) | instskip(NEXT) | instid1(VALU_DEP_1)
	v_mul_f32_e32 v6, v7, v5
	v_fma_f32 v8, -v4, v6, v7
	s_delay_alu instid0(VALU_DEP_1) | instskip(NEXT) | instid1(VALU_DEP_1)
	v_fmac_f32_e32 v6, v8, v5
	v_fma_f32 v4, -v4, v6, v7
	s_delay_alu instid0(VALU_DEP_1) | instskip(NEXT) | instid1(VALU_DEP_1)
	v_div_fmas_f32 v4, v4, v5, v6
	v_div_fixup_f32 v4, v4, v1, 1.0
	v_mov_b32_e32 v1, v0
.LBB17_29:                              ; =>This Inner Loop Header: Depth=1
	s_delay_alu instid0(VALU_DEP_1) | instskip(NEXT) | instid1(VALU_DEP_1)
	v_lshlrev_b64 v[5:6], 1, v[1:2]
	v_add_co_u32 v7, vcc_lo, s5, v5
	s_delay_alu instid0(VALU_DEP_2)
	v_add_co_ci_u32_e32 v8, vcc_lo, s6, v6, vcc_lo
	v_add_co_u32 v5, vcc_lo, s18, v5
	v_add_co_ci_u32_e32 v6, vcc_lo, s19, v6, vcc_lo
	global_load_u16 v7, v[7:8], off
	global_load_u16 v5, v[5:6], off
	s_waitcnt vmcnt(1)
	v_lshlrev_b32_e32 v6, 16, v7
	s_delay_alu instid0(VALU_DEP_1) | instskip(NEXT) | instid1(VALU_DEP_1)
	v_mul_f32_e32 v6, v3, v6
	v_bfe_u32 v7, v6, 16, 1
	s_delay_alu instid0(VALU_DEP_1) | instskip(NEXT) | instid1(VALU_DEP_1)
	v_add3_u32 v7, v6, v7, 0x7fff
	v_and_b32_e32 v7, 0xffff0000, v7
	v_cmp_o_f32_e32 vcc_lo, v6, v6
	s_waitcnt vmcnt(0)
	s_delay_alu instid0(VALU_DEP_2) | instskip(NEXT) | instid1(VALU_DEP_1)
	v_dual_cndmask_b32 v6, 0x7fc00000, v7 :: v_dual_lshlrev_b32 v5, 16, v5
	v_mul_f32_e32 v5, v6, v5
	s_delay_alu instid0(VALU_DEP_1) | instskip(NEXT) | instid1(VALU_DEP_1)
	v_bfe_u32 v6, v5, 16, 1
	v_add3_u32 v6, v5, v6, 0x7fff
	s_delay_alu instid0(VALU_DEP_1) | instskip(SKIP_1) | instid1(VALU_DEP_2)
	v_and_b32_e32 v6, 0xffff0000, v6
	v_cmp_o_f32_e32 vcc_lo, v5, v5
	v_cndmask_b32_e32 v5, 0x7fc00000, v6, vcc_lo
	s_delay_alu instid0(VALU_DEP_1) | instskip(NEXT) | instid1(VALU_DEP_1)
	v_mul_f32_e32 v5, v4, v5
	v_rndne_f32_e32 v5, v5
	s_delay_alu instid0(VALU_DEP_1) | instskip(SKIP_2) | instid1(VALU_DEP_2)
	v_cmp_nlt_f32_e32 vcc_lo, 0x42fe0000, v5
	v_cndmask_b32_e32 v6, 0x42fe0000, v5, vcc_lo
	v_cmp_ngt_f32_e32 vcc_lo, 0xc3000000, v5
	v_cndmask_b32_e32 v5, 0xc3000000, v6, vcc_lo
	s_delay_alu instid0(VALU_DEP_1) | instskip(SKIP_2) | instid1(VALU_DEP_1)
	v_cvt_i32_f32_e32 v5, v5
	global_store_b8 v1, v5, s[2:3]
	v_add_nc_u32_e32 v1, s7, v1
	v_cmp_le_u32_e32 vcc_lo, s21, v1
	s_or_b32 s8, vcc_lo, s8
	s_delay_alu instid0(SALU_CYCLE_1)
	s_and_not1_b32 exec_lo, exec_lo, s8
	s_cbranch_execnz .LBB17_29
.LBB17_30:
	s_or_b32 exec_lo, exec_lo, s4
	s_branch .LBB17_75
.LBB17_31:
	s_cbranch_execz .LBB17_75
; %bb.32:
	s_load_b32 s3, s[0:1], 0x40
	s_ashr_i32 s2, s22, 31
	s_mul_hi_u32 s4, s22, s24
	s_mul_i32 s2, s2, s24
	v_mov_b32_e32 v6, 0
	s_add_i32 s5, s4, s2
	s_mul_i32 s4, s22, s24
	s_mov_b32 s25, 0
	s_lshl_b64 s[4:5], s[4:5], 1
	s_delay_alu instid0(SALU_CYCLE_1)
	s_add_u32 s9, s16, s4
	s_addc_u32 s10, s17, s5
	s_ashr_i32 s11, s21, 2
	s_add_u32 s0, s0, 64
	v_cmp_gt_u32_e64 s2, s11, v0
	s_addc_u32 s1, s1, 0
	s_delay_alu instid0(VALU_DEP_1)
	s_and_saveexec_b32 s4, s2
	s_cbranch_execz .LBB17_42
; %bb.33:
	s_waitcnt lgkmcnt(0)
	s_cmp_lt_u32 s24, s3
	v_mov_b32_e32 v2, 0
	s_cselect_b32 s5, 12, 18
	v_mov_b32_e32 v1, v0
	s_add_u32 s6, s0, s5
	s_addc_u32 s7, s1, 0
	s_mov_b32 s5, s25
	global_load_u16 v7, v2, s[6:7]
                                        ; implicit-def: $sgpr6
	s_waitcnt vmcnt(0)
	v_lshlrev_b32_e32 v9, 1, v7
	v_mul_lo_u32 v8, v7, 3
	v_add_nc_u32_e32 v10, v7, v7
	v_mov_b32_e32 v6, v2
	s_branch .LBB17_37
.LBB17_34:                              ;   in Loop: Header=BB17_37 Depth=1
	s_or_b32 exec_lo, exec_lo, s16
	s_delay_alu instid0(SALU_CYCLE_1)
	s_or_not1_b32 s16, s17, exec_lo
.LBB17_35:                              ;   in Loop: Header=BB17_37 Depth=1
	s_or_b32 exec_lo, exec_lo, s8
	s_delay_alu instid0(SALU_CYCLE_1) | instskip(SKIP_1) | instid1(SALU_CYCLE_1)
	s_and_not1_b32 s6, s6, exec_lo
	s_and_b32 s8, s16, exec_lo
	s_or_b32 s6, s6, s8
.LBB17_36:                              ;   in Loop: Header=BB17_37 Depth=1
	s_or_b32 exec_lo, exec_lo, s7
	s_delay_alu instid0(SALU_CYCLE_1) | instskip(NEXT) | instid1(SALU_CYCLE_1)
	s_and_b32 s7, exec_lo, s6
	s_or_b32 s5, s7, s5
	s_delay_alu instid0(SALU_CYCLE_1)
	s_and_not1_b32 exec_lo, exec_lo, s5
	s_cbranch_execz .LBB17_41
.LBB17_37:                              ; =>This Inner Loop Header: Depth=1
	v_lshlrev_b64 v[3:4], 3, v[1:2]
	s_or_b32 s6, s6, exec_lo
	s_mov_b32 s7, exec_lo
	s_delay_alu instid0(VALU_DEP_1) | instskip(NEXT) | instid1(VALU_DEP_2)
	v_add_co_u32 v3, vcc_lo, s9, v3
	v_add_co_ci_u32_e32 v4, vcc_lo, s10, v4, vcc_lo
	global_load_b64 v[3:4], v[3:4], off
	s_waitcnt vmcnt(0)
	v_lshlrev_b32_e32 v5, 16, v3
	v_and_b32_e32 v11, 0xffff0000, v3
	v_alignbit_b32 v3, v4, v3, 16
	v_and_b32_e32 v4, 0xffff0000, v4
	s_delay_alu instid0(VALU_DEP_2) | instskip(NEXT) | instid1(VALU_DEP_1)
	v_dual_fmac_f32 v6, v5, v5 :: v_dual_and_b32 v3, 0xffff0000, v3
	v_fmac_f32_e32 v6, v11, v11
	s_delay_alu instid0(VALU_DEP_1) | instskip(NEXT) | instid1(VALU_DEP_1)
	v_fmac_f32_e32 v6, v3, v3
	v_dual_fmac_f32 v6, v4, v4 :: v_dual_add_nc_u32 v3, v1, v7
	s_delay_alu instid0(VALU_DEP_1)
	v_cmpx_gt_u32_e64 s11, v3
	s_cbranch_execz .LBB17_36
; %bb.38:                               ;   in Loop: Header=BB17_37 Depth=1
	v_mov_b32_e32 v4, v2
	s_mov_b32 s16, -1
	s_mov_b32 s8, exec_lo
	s_delay_alu instid0(VALU_DEP_1) | instskip(NEXT) | instid1(VALU_DEP_1)
	v_lshlrev_b64 v[4:5], 3, v[3:4]
	v_add_co_u32 v4, vcc_lo, s9, v4
	s_delay_alu instid0(VALU_DEP_2)
	v_add_co_ci_u32_e32 v5, vcc_lo, s10, v5, vcc_lo
	global_load_b64 v[4:5], v[4:5], off
	s_waitcnt vmcnt(0)
	v_lshlrev_b32_e32 v11, 16, v4
	v_and_b32_e32 v12, 0xffff0000, v4
	v_alignbit_b32 v4, v5, v4, 16
	s_delay_alu instid0(VALU_DEP_3) | instskip(NEXT) | instid1(VALU_DEP_2)
	v_dual_fmac_f32 v6, v11, v11 :: v_dual_and_b32 v5, 0xffff0000, v5
	v_and_b32_e32 v4, 0xffff0000, v4
	s_delay_alu instid0(VALU_DEP_2) | instskip(NEXT) | instid1(VALU_DEP_1)
	v_fmac_f32_e32 v6, v12, v12
	v_fmac_f32_e32 v6, v4, v4
	v_add_nc_u32_e32 v4, v9, v1
	s_delay_alu instid0(VALU_DEP_2) | instskip(NEXT) | instid1(VALU_DEP_2)
	v_fmac_f32_e32 v6, v5, v5
	v_cmpx_gt_u32_e64 s11, v4
	s_cbranch_execz .LBB17_35
; %bb.39:                               ;   in Loop: Header=BB17_37 Depth=1
	v_mov_b32_e32 v5, v2
	v_add_nc_u32_e32 v1, v8, v1
	s_mov_b32 s17, -1
	s_mov_b32 s16, exec_lo
	s_delay_alu instid0(VALU_DEP_2) | instskip(NEXT) | instid1(VALU_DEP_1)
	v_lshlrev_b64 v[4:5], 3, v[4:5]
	v_add_co_u32 v4, vcc_lo, s9, v4
	s_delay_alu instid0(VALU_DEP_2)
	v_add_co_ci_u32_e32 v5, vcc_lo, s10, v5, vcc_lo
	global_load_b64 v[4:5], v[4:5], off
	s_waitcnt vmcnt(0)
	v_and_b32_e32 v12, 0xffff0000, v4
	v_lshlrev_b32_e32 v11, 16, v4
	v_alignbit_b32 v4, v5, v4, 16
	s_delay_alu instid0(VALU_DEP_2) | instskip(NEXT) | instid1(VALU_DEP_2)
	v_dual_fmac_f32 v6, v11, v11 :: v_dual_and_b32 v5, 0xffff0000, v5
	v_and_b32_e32 v4, 0xffff0000, v4
	s_delay_alu instid0(VALU_DEP_2) | instskip(NEXT) | instid1(VALU_DEP_1)
	v_fmac_f32_e32 v6, v12, v12
	v_fmac_f32_e32 v6, v4, v4
	s_delay_alu instid0(VALU_DEP_1)
	v_fmac_f32_e32 v6, v5, v5
	v_cmpx_gt_u32_e64 s11, v1
	s_xor_b32 s16, exec_lo, s16
	s_cbranch_execz .LBB17_34
; %bb.40:                               ;   in Loop: Header=BB17_37 Depth=1
	v_lshlrev_b64 v[4:5], 3, v[1:2]
	s_delay_alu instid0(VALU_DEP_1) | instskip(NEXT) | instid1(VALU_DEP_2)
	v_add_co_u32 v4, vcc_lo, s9, v4
	v_add_co_ci_u32_e32 v5, vcc_lo, s10, v5, vcc_lo
	global_load_b64 v[4:5], v[4:5], off
	s_waitcnt vmcnt(0)
	v_and_b32_e32 v11, 0xffff0000, v4
	v_lshlrev_b32_e32 v1, 16, v4
	v_alignbit_b32 v4, v5, v4, 16
	s_delay_alu instid0(VALU_DEP_2) | instskip(NEXT) | instid1(VALU_DEP_2)
	v_fmac_f32_e32 v6, v1, v1
	v_and_b32_e32 v4, 0xffff0000, v4
	v_add3_u32 v1, v10, v7, v3
	s_delay_alu instid0(VALU_DEP_3) | instskip(NEXT) | instid1(VALU_DEP_2)
	v_dual_fmac_f32 v6, v11, v11 :: v_dual_and_b32 v3, 0xffff0000, v5
	v_cmp_le_u32_e32 vcc_lo, s11, v1
	s_delay_alu instid0(VALU_DEP_2) | instskip(SKIP_1) | instid1(VALU_DEP_1)
	v_fmac_f32_e32 v6, v4, v4
	s_or_not1_b32 s17, vcc_lo, exec_lo
	v_fmac_f32_e32 v6, v3, v3
	s_branch .LBB17_34
.LBB17_41:
	s_or_b32 exec_lo, exec_lo, s5
.LBB17_42:
	s_delay_alu instid0(SALU_CYCLE_1)
	s_or_b32 exec_lo, exec_lo, s4
	v_mbcnt_lo_u32_b32 v7, -1, 0
	s_waitcnt lgkmcnt(0)
	s_cmp_lt_u32 s24, s3
	v_and_b32_e32 v4, 0x3e0, v0
	s_cselect_b32 s3, 12, 18
	s_delay_alu instid0(SALU_CYCLE_1)
	s_add_u32 s0, s0, s3
	v_cmp_ne_u32_e32 vcc_lo, 31, v7
	s_addc_u32 s1, s1, 0
	v_add_nc_u32_e32 v12, 2, v7
	v_add_nc_u32_e32 v14, 4, v7
	;; [unrolled: 1-line block ×3, first 2 shown]
	v_add_co_ci_u32_e32 v2, vcc_lo, 0, v7, vcc_lo
	v_mov_b32_e32 v1, 0
	v_cmp_gt_u32_e32 vcc_lo, 30, v7
	v_add_nc_u32_e32 v17, 16, v7
	s_delay_alu instid0(VALU_DEP_4)
	v_lshlrev_b32_e32 v8, 2, v2
	v_cmp_eq_u32_e64 s6, 0, v7
	global_load_u16 v1, v1, s[0:1]
	v_cndmask_b32_e64 v3, 0, 1, vcc_lo
	v_cmp_gt_u32_e32 vcc_lo, 28, v7
	ds_bpermute_b32 v2, v8, v6
	v_add_nc_u32_e32 v9, 1, v7
	v_lshlrev_b32_e32 v3, 1, v3
	v_cndmask_b32_e64 v5, 0, 1, vcc_lo
	v_cmp_gt_u32_e32 vcc_lo, 24, v7
	s_delay_alu instid0(VALU_DEP_3) | instskip(NEXT) | instid1(VALU_DEP_3)
	v_add_lshl_u32 v10, v3, v7, 2
	v_lshlrev_b32_e32 v5, 2, v5
	s_delay_alu instid0(VALU_DEP_1) | instskip(SKIP_3) | instid1(VALU_DEP_2)
	v_add_lshl_u32 v11, v5, v7, 2
	v_cndmask_b32_e64 v5, 0, 1, vcc_lo
	v_cmp_gt_u32_e32 vcc_lo, 16, v7
	s_waitcnt lgkmcnt(0)
	v_dual_add_f32 v2, v6, v2 :: v_dual_lshlrev_b32 v5, 3, v5
	s_delay_alu instid0(VALU_DEP_1) | instskip(SKIP_1) | instid1(VALU_DEP_1)
	v_add_lshl_u32 v13, v5, v7, 2
	v_cndmask_b32_e64 v5, 0, 1, vcc_lo
	v_lshlrev_b32_e32 v5, 4, v5
	s_delay_alu instid0(VALU_DEP_1) | instskip(SKIP_3) | instid1(VALU_DEP_2)
	v_add_lshl_u32 v15, v5, v7, 2
	s_waitcnt vmcnt(0)
	v_sub_nc_u32_e64 v4, v1, v4 clamp
	v_readfirstlane_b32 s16, v1
	v_cmp_lt_u32_e64 s0, v9, v4
	v_cmp_lt_u32_e64 s1, v12, v4
	;; [unrolled: 1-line block ×5, first 2 shown]
	v_cndmask_b32_e64 v2, v6, v2, s0
	ds_bpermute_b32 v3, v10, v2
	s_waitcnt lgkmcnt(0)
	v_add_f32_e32 v3, v2, v3
	s_delay_alu instid0(VALU_DEP_1) | instskip(SKIP_3) | instid1(VALU_DEP_1)
	v_cndmask_b32_e64 v2, v2, v3, s1
	ds_bpermute_b32 v3, v11, v2
	s_waitcnt lgkmcnt(0)
	v_add_f32_e32 v3, v2, v3
	v_cndmask_b32_e64 v2, v2, v3, s3
	ds_bpermute_b32 v3, v13, v2
	s_waitcnt lgkmcnt(0)
	v_add_f32_e32 v3, v2, v3
	s_delay_alu instid0(VALU_DEP_1) | instskip(SKIP_3) | instid1(VALU_DEP_1)
	v_cndmask_b32_e64 v2, v2, v3, s5
	ds_bpermute_b32 v3, v15, v2
	s_waitcnt lgkmcnt(0)
	v_add_f32_e32 v3, v2, v3
	v_cndmask_b32_e64 v1, v2, v3, s8
	s_and_saveexec_b32 s4, s6
	s_cbranch_execz .LBB17_44
; %bb.43:
	v_lshrrev_b32_e32 v2, 3, v0
	s_delay_alu instid0(VALU_DEP_1)
	v_and_b32_e32 v2, 0x7c, v2
	ds_store_b32 v2, v1
.LBB17_44:
	s_or_b32 exec_lo, exec_lo, s4
	v_cmp_gt_u32_e64 s7, 32, v0
	s_waitcnt lgkmcnt(0)
	s_waitcnt_vscnt null, 0x0
	s_barrier
	buffer_gl0_inv
	s_and_saveexec_b32 s4, s7
	s_cbranch_execz .LBB17_46
; %bb.45:
	v_lshlrev_b32_e32 v1, 2, v7
	s_add_i32 s17, s16, 31
	s_delay_alu instid0(SALU_CYCLE_1) | instskip(NEXT) | instid1(SALU_CYCLE_1)
	s_lshr_b32 s17, s17, 5
	v_cmp_gt_u32_e32 vcc_lo, s17, v9
	ds_load_b32 v1, v1
	s_waitcnt lgkmcnt(0)
	ds_bpermute_b32 v2, v8, v1
	s_waitcnt lgkmcnt(0)
	v_add_f32_e32 v2, v1, v2
	s_delay_alu instid0(VALU_DEP_1) | instskip(SKIP_4) | instid1(VALU_DEP_1)
	v_cndmask_b32_e32 v1, v1, v2, vcc_lo
	v_cmp_gt_u32_e32 vcc_lo, s17, v12
	ds_bpermute_b32 v2, v10, v1
	s_waitcnt lgkmcnt(0)
	v_add_f32_e32 v2, v1, v2
	v_cndmask_b32_e32 v1, v1, v2, vcc_lo
	v_cmp_gt_u32_e32 vcc_lo, s17, v14
	ds_bpermute_b32 v2, v11, v1
	s_waitcnt lgkmcnt(0)
	v_add_f32_e32 v2, v1, v2
	s_delay_alu instid0(VALU_DEP_1) | instskip(SKIP_4) | instid1(VALU_DEP_1)
	v_cndmask_b32_e32 v1, v1, v2, vcc_lo
	v_cmp_gt_u32_e32 vcc_lo, s17, v16
	ds_bpermute_b32 v2, v13, v1
	s_waitcnt lgkmcnt(0)
	v_add_f32_e32 v2, v1, v2
	v_cndmask_b32_e32 v1, v1, v2, vcc_lo
	v_cmp_gt_u32_e32 vcc_lo, s17, v17
	ds_bpermute_b32 v2, v15, v1
	s_waitcnt lgkmcnt(0)
	v_add_f32_e32 v2, v1, v2
	s_delay_alu instid0(VALU_DEP_1)
	v_cndmask_b32_e32 v1, v1, v2, vcc_lo
.LBB17_46:
	s_or_b32 exec_lo, exec_lo, s4
	v_cmp_eq_u32_e64 s4, 0, v0
	s_delay_alu instid0(VALU_DEP_1)
	s_and_saveexec_b32 s17, s4
	s_cbranch_execz .LBB17_48
; %bb.47:
	v_cvt_f32_i32_e32 v2, s21
	s_delay_alu instid0(VALU_DEP_1) | instskip(SKIP_1) | instid1(VALU_DEP_2)
	v_div_scale_f32 v3, null, v2, v2, v1
	v_div_scale_f32 v6, vcc_lo, v1, v2, v1
	v_rcp_f32_e32 v4, v3
	s_waitcnt_depctr 0xfff
	v_fma_f32 v5, -v3, v4, 1.0
	s_delay_alu instid0(VALU_DEP_1) | instskip(NEXT) | instid1(VALU_DEP_1)
	v_fmac_f32_e32 v4, v5, v4
	v_mul_f32_e32 v5, v6, v4
	s_delay_alu instid0(VALU_DEP_1) | instskip(NEXT) | instid1(VALU_DEP_1)
	v_fma_f32 v18, -v3, v5, v6
	v_fmac_f32_e32 v5, v18, v4
	s_delay_alu instid0(VALU_DEP_1) | instskip(NEXT) | instid1(VALU_DEP_1)
	v_fma_f32 v3, -v3, v5, v6
	v_div_fmas_f32 v3, v3, v4, v5
	s_delay_alu instid0(VALU_DEP_1) | instskip(NEXT) | instid1(VALU_DEP_1)
	v_div_fixup_f32 v1, v3, v2, v1
	v_add_f32_e32 v1, s20, v1
	s_delay_alu instid0(VALU_DEP_1) | instskip(SKIP_1) | instid1(VALU_DEP_2)
	v_mul_f32_e32 v2, 0x4b800000, v1
	v_cmp_gt_f32_e32 vcc_lo, 0x800000, v1
	v_cndmask_b32_e32 v1, v1, v2, vcc_lo
	s_delay_alu instid0(VALU_DEP_1) | instskip(SKIP_2) | instid1(VALU_DEP_1)
	v_rsq_f32_e32 v1, v1
	s_waitcnt_depctr 0xfff
	v_mul_f32_e32 v2, 0x45800000, v1
	v_dual_cndmask_b32 v1, v1, v2 :: v_dual_mov_b32 v2, 0
	ds_store_b32 v2, v1 offset:512
.LBB17_48:
	s_or_b32 exec_lo, exec_lo, s17
	v_mov_b32_e32 v18, 0
	s_waitcnt lgkmcnt(0)
	s_barrier
	buffer_gl0_inv
	ds_load_b32 v6, v18 offset:512
	s_and_saveexec_b32 s17, s2
	s_cbranch_execz .LBB17_58
; %bb.49:
	v_dual_mov_b32 v2, 0 :: v_dual_mov_b32 v1, v0
	s_mul_i32 s20, s16, 3
	s_lshl_b32 s23, s16, 1
	s_mov_b32 s22, 0
	s_delay_alu instid0(VALU_DEP_1)
	v_mov_b32_e32 v18, v2
	s_add_i32 s28, s16, s16
                                        ; implicit-def: $sgpr29
	s_branch .LBB17_53
.LBB17_50:                              ;   in Loop: Header=BB17_53 Depth=1
	s_or_b32 exec_lo, exec_lo, s33
	s_delay_alu instid0(SALU_CYCLE_1)
	s_or_not1_b32 s33, s34, exec_lo
.LBB17_51:                              ;   in Loop: Header=BB17_53 Depth=1
	s_or_b32 exec_lo, exec_lo, s31
	s_delay_alu instid0(SALU_CYCLE_1) | instskip(SKIP_1) | instid1(SALU_CYCLE_1)
	s_and_not1_b32 s29, s29, exec_lo
	s_and_b32 s31, s33, exec_lo
	s_or_b32 s29, s29, s31
.LBB17_52:                              ;   in Loop: Header=BB17_53 Depth=1
	s_or_b32 exec_lo, exec_lo, s30
	s_delay_alu instid0(SALU_CYCLE_1) | instskip(NEXT) | instid1(SALU_CYCLE_1)
	s_and_b32 s30, exec_lo, s29
	s_or_b32 s22, s30, s22
	s_delay_alu instid0(SALU_CYCLE_1)
	s_and_not1_b32 exec_lo, exec_lo, s22
	s_cbranch_execz .LBB17_57
.LBB17_53:                              ; =>This Inner Loop Header: Depth=1
	v_lshlrev_b64 v[3:4], 3, v[1:2]
	s_or_b32 s29, s29, exec_lo
	s_mov_b32 s30, exec_lo
	s_delay_alu instid0(VALU_DEP_1) | instskip(NEXT) | instid1(VALU_DEP_2)
	v_add_co_u32 v19, vcc_lo, s9, v3
	v_add_co_ci_u32_e32 v20, vcc_lo, s10, v4, vcc_lo
	v_add_co_u32 v3, vcc_lo, s18, v3
	v_add_co_ci_u32_e32 v4, vcc_lo, s19, v4, vcc_lo
	global_load_b64 v[19:20], v[19:20], off
	global_load_b64 v[3:4], v[3:4], off
	s_waitcnt vmcnt(1)
	v_lshlrev_b32_e32 v21, 16, v19
	v_and_b32_e32 v5, 0xffff0000, v19
	s_waitcnt vmcnt(0)
	v_and_b32_e32 v22, 0xffff0000, v3
	v_alignbit_b32 v19, v20, v19, 16
	s_waitcnt lgkmcnt(0)
	v_dual_mul_f32 v21, v6, v21 :: v_dual_and_b32 v20, 0xffff0000, v20
	s_delay_alu instid0(VALU_DEP_1) | instskip(SKIP_1) | instid1(VALU_DEP_3)
	v_dual_mul_f32 v20, v6, v20 :: v_dual_and_b32 v19, 0xffff0000, v19
	v_mul_f32_e32 v5, v6, v5
	v_bfe_u32 v24, v21, 16, 1
	v_cmp_o_f32_e32 vcc_lo, v21, v21
	s_delay_alu instid0(VALU_DEP_4) | instskip(SKIP_3) | instid1(VALU_DEP_3)
	v_mul_f32_e32 v19, v6, v19
	v_bfe_u32 v26, v20, 16, 1
	v_bfe_u32 v25, v5, 16, 1
	v_add3_u32 v24, v21, v24, 0x7fff
	v_add3_u32 v26, v20, v26, 0x7fff
	s_delay_alu instid0(VALU_DEP_3) | instskip(NEXT) | instid1(VALU_DEP_3)
	v_add3_u32 v25, v5, v25, 0x7fff
	v_and_b32_e32 v24, 0xffff0000, v24
	s_delay_alu instid0(VALU_DEP_3) | instskip(NEXT) | instid1(VALU_DEP_3)
	v_and_b32_e32 v26, 0xffff0000, v26
	v_and_b32_e32 v25, 0xffff0000, v25
	s_delay_alu instid0(VALU_DEP_3) | instskip(SKIP_1) | instid1(VALU_DEP_3)
	v_cndmask_b32_e32 v21, 0x7fc00000, v24, vcc_lo
	v_cmp_o_f32_e32 vcc_lo, v5, v5
	v_cndmask_b32_e32 v5, 0x7fc00000, v25, vcc_lo
	v_cmp_o_f32_e32 vcc_lo, v20, v20
	s_delay_alu instid0(VALU_DEP_2)
	v_mul_f32_e32 v5, v5, v22
	v_dual_cndmask_b32 v20, 0x7fc00000, v26 :: v_dual_lshlrev_b32 v23, 16, v3
	v_alignbit_b32 v3, v4, v3, 16
	v_and_b32_e32 v4, 0xffff0000, v4
	v_bfe_u32 v27, v19, 16, 1
	v_cmp_o_f32_e32 vcc_lo, v19, v19
	v_bfe_u32 v22, v5, 16, 1
	s_delay_alu instid0(VALU_DEP_4) | instskip(NEXT) | instid1(VALU_DEP_4)
	v_dual_mul_f32 v4, v20, v4 :: v_dual_and_b32 v3, 0xffff0000, v3
	v_add3_u32 v27, v19, v27, 0x7fff
	v_mul_f32_e32 v21, v21, v23
	s_delay_alu instid0(VALU_DEP_4) | instskip(NEXT) | instid1(VALU_DEP_3)
	v_add3_u32 v22, v5, v22, 0x7fff
	v_and_b32_e32 v24, 0xffff0000, v27
	s_delay_alu instid0(VALU_DEP_3) | instskip(NEXT) | instid1(VALU_DEP_3)
	v_bfe_u32 v20, v21, 16, 1
	v_and_b32_e32 v22, 0xffff0000, v22
	s_delay_alu instid0(VALU_DEP_3) | instskip(NEXT) | instid1(VALU_DEP_3)
	v_cndmask_b32_e32 v19, 0x7fc00000, v24, vcc_lo
	v_add3_u32 v20, v21, v20, 0x7fff
	v_cmp_o_f32_e32 vcc_lo, v21, v21
	s_delay_alu instid0(VALU_DEP_3) | instskip(SKIP_1) | instid1(VALU_DEP_4)
	v_mul_f32_e32 v3, v19, v3
	v_bfe_u32 v19, v4, 16, 1
	v_and_b32_e32 v20, 0xffff0000, v20
	s_delay_alu instid0(VALU_DEP_3) | instskip(NEXT) | instid1(VALU_DEP_3)
	v_bfe_u32 v23, v3, 16, 1
	v_add3_u32 v19, v4, v19, 0x7fff
	s_delay_alu instid0(VALU_DEP_3) | instskip(SKIP_1) | instid1(VALU_DEP_4)
	v_cndmask_b32_e64 v20, 0x7fc00000, |v20|, vcc_lo
	v_cmp_o_f32_e32 vcc_lo, v5, v5
	v_add3_u32 v23, v3, v23, 0x7fff
	s_delay_alu instid0(VALU_DEP_4) | instskip(SKIP_2) | instid1(VALU_DEP_4)
	v_and_b32_e32 v19, 0xffff0000, v19
	v_cndmask_b32_e64 v5, 0x7fc00000, |v22|, vcc_lo
	v_cmp_o_f32_e32 vcc_lo, v4, v4
	v_and_b32_e32 v21, 0xffff0000, v23
	s_delay_alu instid0(VALU_DEP_3) | instskip(SKIP_4) | instid1(VALU_DEP_1)
	v_max3_f32 v5, v18, v20, v5
	v_cndmask_b32_e64 v4, 0x7fc00000, |v19|, vcc_lo
	v_cmp_o_f32_e32 vcc_lo, v3, v3
	v_add_nc_u32_e32 v3, s16, v1
	v_cndmask_b32_e64 v18, 0x7fc00000, |v21|, vcc_lo
	v_max3_f32 v18, v5, v18, v4
	s_delay_alu instid0(VALU_DEP_3)
	v_cmpx_gt_u32_e64 s11, v3
	s_cbranch_execz .LBB17_52
; %bb.54:                               ;   in Loop: Header=BB17_53 Depth=1
	v_mov_b32_e32 v4, v2
	s_mov_b32 s33, -1
	s_mov_b32 s31, exec_lo
	s_delay_alu instid0(VALU_DEP_1) | instskip(NEXT) | instid1(VALU_DEP_1)
	v_lshlrev_b64 v[4:5], 3, v[3:4]
	v_add_co_u32 v19, vcc_lo, s9, v4
	s_delay_alu instid0(VALU_DEP_2)
	v_add_co_ci_u32_e32 v20, vcc_lo, s10, v5, vcc_lo
	v_add_co_u32 v4, vcc_lo, s18, v4
	v_add_co_ci_u32_e32 v5, vcc_lo, s19, v5, vcc_lo
	global_load_b64 v[19:20], v[19:20], off
	global_load_b64 v[4:5], v[4:5], off
	s_waitcnt vmcnt(1)
	v_and_b32_e32 v21, 0xffff0000, v19
	v_lshlrev_b32_e32 v22, 16, v19
	v_alignbit_b32 v19, v20, v19, 16
	s_delay_alu instid0(VALU_DEP_3) | instskip(SKIP_1) | instid1(VALU_DEP_3)
	v_mul_f32_e32 v21, v6, v21
	s_waitcnt vmcnt(0)
	v_dual_mul_f32 v22, v6, v22 :: v_dual_and_b32 v23, 0xffff0000, v4
	s_delay_alu instid0(VALU_DEP_3) | instskip(SKIP_2) | instid1(VALU_DEP_4)
	v_and_b32_e32 v19, 0xffff0000, v19
	v_and_b32_e32 v20, 0xffff0000, v20
	v_bfe_u32 v26, v21, 16, 1
	v_bfe_u32 v25, v22, 16, 1
	s_delay_alu instid0(VALU_DEP_4) | instskip(NEXT) | instid1(VALU_DEP_4)
	v_mul_f32_e32 v19, v6, v19
	v_mul_f32_e32 v20, v6, v20
	s_delay_alu instid0(VALU_DEP_4)
	v_add3_u32 v26, v21, v26, 0x7fff
	v_cmp_o_f32_e32 vcc_lo, v22, v22
	v_add3_u32 v25, v22, v25, 0x7fff
	v_bfe_u32 v28, v19, 16, 1
	v_bfe_u32 v27, v20, 16, 1
	v_and_b32_e32 v26, 0xffff0000, v26
	s_delay_alu instid0(VALU_DEP_4) | instskip(NEXT) | instid1(VALU_DEP_4)
	v_and_b32_e32 v25, 0xffff0000, v25
	v_add3_u32 v28, v19, v28, 0x7fff
	s_delay_alu instid0(VALU_DEP_4) | instskip(NEXT) | instid1(VALU_DEP_3)
	v_add3_u32 v27, v20, v27, 0x7fff
	v_cndmask_b32_e32 v22, 0x7fc00000, v25, vcc_lo
	v_cmp_o_f32_e32 vcc_lo, v21, v21
	v_lshlrev_b32_e32 v24, 16, v4
	s_delay_alu instid0(VALU_DEP_4)
	v_and_b32_e32 v27, 0xffff0000, v27
	v_alignbit_b32 v4, v5, v4, 16
	v_and_b32_e32 v25, 0xffff0000, v28
	v_cndmask_b32_e32 v21, 0x7fc00000, v26, vcc_lo
	v_cmp_o_f32_e32 vcc_lo, v20, v20
	v_dual_mul_f32 v22, v22, v24 :: v_dual_and_b32 v5, 0xffff0000, v5
	s_delay_alu instid0(VALU_DEP_3) | instskip(SKIP_2) | instid1(VALU_DEP_3)
	v_dual_mul_f32 v21, v21, v23 :: v_dual_and_b32 v4, 0xffff0000, v4
	v_cndmask_b32_e32 v20, 0x7fc00000, v27, vcc_lo
	v_cmp_o_f32_e32 vcc_lo, v19, v19
	v_bfe_u32 v23, v21, 16, 1
	s_delay_alu instid0(VALU_DEP_3) | instskip(SKIP_4) | instid1(VALU_DEP_4)
	v_mul_f32_e32 v5, v20, v5
	v_bfe_u32 v20, v22, 16, 1
	v_cndmask_b32_e32 v19, 0x7fc00000, v25, vcc_lo
	v_cmp_o_f32_e32 vcc_lo, v22, v22
	v_add3_u32 v23, v21, v23, 0x7fff
	v_add3_u32 v20, v22, v20, 0x7fff
	s_delay_alu instid0(VALU_DEP_4) | instskip(SKIP_1) | instid1(VALU_DEP_4)
	v_mul_f32_e32 v4, v19, v4
	v_bfe_u32 v19, v5, 16, 1
	v_and_b32_e32 v23, 0xffff0000, v23
	s_delay_alu instid0(VALU_DEP_4) | instskip(NEXT) | instid1(VALU_DEP_4)
	v_and_b32_e32 v20, 0xffff0000, v20
	v_bfe_u32 v24, v4, 16, 1
	s_delay_alu instid0(VALU_DEP_4) | instskip(NEXT) | instid1(VALU_DEP_3)
	v_add3_u32 v19, v5, v19, 0x7fff
	v_cndmask_b32_e64 v20, 0x7fc00000, |v20|, vcc_lo
	v_cmp_o_f32_e32 vcc_lo, v21, v21
	s_delay_alu instid0(VALU_DEP_4) | instskip(NEXT) | instid1(VALU_DEP_4)
	v_add3_u32 v24, v4, v24, 0x7fff
	v_and_b32_e32 v19, 0xffff0000, v19
	v_cndmask_b32_e64 v21, 0x7fc00000, |v23|, vcc_lo
	v_cmp_o_f32_e32 vcc_lo, v5, v5
	s_delay_alu instid0(VALU_DEP_4) | instskip(NEXT) | instid1(VALU_DEP_3)
	v_and_b32_e32 v22, 0xffff0000, v24
	v_max3_f32 v18, v18, v20, v21
	v_cndmask_b32_e64 v5, 0x7fc00000, |v19|, vcc_lo
	v_cmp_o_f32_e32 vcc_lo, v4, v4
	v_add_nc_u32_e32 v4, s23, v1
	v_cndmask_b32_e64 v19, 0x7fc00000, |v22|, vcc_lo
	s_delay_alu instid0(VALU_DEP_1) | instskip(NEXT) | instid1(VALU_DEP_3)
	v_max3_f32 v18, v18, v19, v5
	v_cmpx_gt_u32_e64 s11, v4
	s_cbranch_execz .LBB17_51
; %bb.55:                               ;   in Loop: Header=BB17_53 Depth=1
	v_mov_b32_e32 v5, v2
	v_add_nc_u32_e32 v1, s20, v1
	s_mov_b32 s34, -1
	s_mov_b32 s33, exec_lo
	s_delay_alu instid0(VALU_DEP_2) | instskip(NEXT) | instid1(VALU_DEP_1)
	v_lshlrev_b64 v[4:5], 3, v[4:5]
	v_add_co_u32 v19, vcc_lo, s9, v4
	s_delay_alu instid0(VALU_DEP_2)
	v_add_co_ci_u32_e32 v20, vcc_lo, s10, v5, vcc_lo
	v_add_co_u32 v4, vcc_lo, s18, v4
	v_add_co_ci_u32_e32 v5, vcc_lo, s19, v5, vcc_lo
	global_load_b64 v[19:20], v[19:20], off
	global_load_b64 v[4:5], v[4:5], off
	s_waitcnt vmcnt(1)
	v_lshlrev_b32_e32 v22, 16, v19
	v_and_b32_e32 v21, 0xffff0000, v19
	v_alignbit_b32 v19, v20, v19, 16
	s_waitcnt vmcnt(0)
	s_delay_alu instid0(VALU_DEP_3) | instskip(NEXT) | instid1(VALU_DEP_3)
	v_dual_mul_f32 v22, v6, v22 :: v_dual_and_b32 v23, 0xffff0000, v4
	v_dual_mul_f32 v21, v6, v21 :: v_dual_and_b32 v20, 0xffff0000, v20
	s_delay_alu instid0(VALU_DEP_3) | instskip(NEXT) | instid1(VALU_DEP_3)
	v_and_b32_e32 v19, 0xffff0000, v19
	v_bfe_u32 v25, v22, 16, 1
	s_delay_alu instid0(VALU_DEP_3) | instskip(NEXT) | instid1(VALU_DEP_4)
	v_mul_f32_e32 v20, v6, v20
	v_bfe_u32 v26, v21, 16, 1
	v_cmp_o_f32_e32 vcc_lo, v22, v22
	v_dual_mul_f32 v19, v6, v19 :: v_dual_lshlrev_b32 v24, 16, v4
	v_add3_u32 v25, v22, v25, 0x7fff
	v_bfe_u32 v27, v20, 16, 1
	v_add3_u32 v26, v21, v26, 0x7fff
	v_alignbit_b32 v4, v5, v4, 16
	v_bfe_u32 v28, v19, 16, 1
	v_and_b32_e32 v25, 0xffff0000, v25
	v_add3_u32 v27, v20, v27, 0x7fff
	s_delay_alu instid0(VALU_DEP_3) | instskip(NEXT) | instid1(VALU_DEP_3)
	v_add3_u32 v28, v19, v28, 0x7fff
	v_cndmask_b32_e32 v22, 0x7fc00000, v25, vcc_lo
	v_and_b32_e32 v5, 0xffff0000, v5
	v_cmp_o_f32_e32 vcc_lo, v21, v21
	v_and_b32_e32 v27, 0xffff0000, v27
	v_and_b32_e32 v25, 0xffff0000, v28
	v_mul_f32_e32 v22, v22, v24
	v_and_b32_e32 v26, 0xffff0000, v26
	s_delay_alu instid0(VALU_DEP_1) | instskip(SKIP_1) | instid1(VALU_DEP_2)
	v_cndmask_b32_e32 v21, 0x7fc00000, v26, vcc_lo
	v_cmp_o_f32_e32 vcc_lo, v20, v20
	v_dual_mul_f32 v21, v21, v23 :: v_dual_and_b32 v4, 0xffff0000, v4
	v_cndmask_b32_e32 v20, 0x7fc00000, v27, vcc_lo
	v_cmp_o_f32_e32 vcc_lo, v19, v19
	s_delay_alu instid0(VALU_DEP_3) | instskip(NEXT) | instid1(VALU_DEP_3)
	v_bfe_u32 v23, v21, 16, 1
	v_mul_f32_e32 v5, v20, v5
	v_bfe_u32 v20, v22, 16, 1
	v_cndmask_b32_e32 v19, 0x7fc00000, v25, vcc_lo
	v_cmp_o_f32_e32 vcc_lo, v22, v22
	v_add3_u32 v23, v21, v23, 0x7fff
	s_delay_alu instid0(VALU_DEP_4) | instskip(NEXT) | instid1(VALU_DEP_4)
	v_add3_u32 v20, v22, v20, 0x7fff
	v_mul_f32_e32 v4, v19, v4
	v_bfe_u32 v19, v5, 16, 1
	s_delay_alu instid0(VALU_DEP_4) | instskip(NEXT) | instid1(VALU_DEP_4)
	v_and_b32_e32 v23, 0xffff0000, v23
	v_and_b32_e32 v20, 0xffff0000, v20
	s_delay_alu instid0(VALU_DEP_4) | instskip(NEXT) | instid1(VALU_DEP_4)
	v_bfe_u32 v24, v4, 16, 1
	v_add3_u32 v19, v5, v19, 0x7fff
	s_delay_alu instid0(VALU_DEP_3) | instskip(SKIP_1) | instid1(VALU_DEP_4)
	v_cndmask_b32_e64 v20, 0x7fc00000, |v20|, vcc_lo
	v_cmp_o_f32_e32 vcc_lo, v21, v21
	v_add3_u32 v24, v4, v24, 0x7fff
	s_delay_alu instid0(VALU_DEP_4) | instskip(SKIP_2) | instid1(VALU_DEP_4)
	v_and_b32_e32 v19, 0xffff0000, v19
	v_cndmask_b32_e64 v21, 0x7fc00000, |v23|, vcc_lo
	v_cmp_o_f32_e32 vcc_lo, v5, v5
	v_and_b32_e32 v22, 0xffff0000, v24
	s_delay_alu instid0(VALU_DEP_3) | instskip(SKIP_2) | instid1(VALU_DEP_4)
	v_max3_f32 v18, v18, v20, v21
	v_cndmask_b32_e64 v5, 0x7fc00000, |v19|, vcc_lo
	v_cmp_o_f32_e32 vcc_lo, v4, v4
	v_cndmask_b32_e64 v4, 0x7fc00000, |v22|, vcc_lo
	s_delay_alu instid0(VALU_DEP_1)
	v_max3_f32 v18, v18, v4, v5
	v_cmpx_gt_u32_e64 s11, v1
	s_xor_b32 s33, exec_lo, s33
	s_cbranch_execz .LBB17_50
; %bb.56:                               ;   in Loop: Header=BB17_53 Depth=1
	v_lshlrev_b64 v[4:5], 3, v[1:2]
	s_delay_alu instid0(VALU_DEP_1) | instskip(NEXT) | instid1(VALU_DEP_2)
	v_add_co_u32 v19, vcc_lo, s9, v4
	v_add_co_ci_u32_e32 v20, vcc_lo, s10, v5, vcc_lo
	v_add_co_u32 v4, vcc_lo, s18, v4
	v_add_co_ci_u32_e32 v5, vcc_lo, s19, v5, vcc_lo
	global_load_b64 v[19:20], v[19:20], off
	global_load_b64 v[4:5], v[4:5], off
	s_waitcnt vmcnt(1)
	v_lshlrev_b32_e32 v21, 16, v19
	v_and_b32_e32 v1, 0xffff0000, v19
	s_waitcnt vmcnt(0)
	v_and_b32_e32 v22, 0xffff0000, v4
	v_alignbit_b32 v19, v20, v19, 16
	v_dual_mul_f32 v21, v6, v21 :: v_dual_and_b32 v20, 0xffff0000, v20
	v_lshlrev_b32_e32 v23, 16, v4
	v_alignbit_b32 v4, v5, v4, 16
	s_delay_alu instid0(VALU_DEP_3) | instskip(SKIP_3) | instid1(VALU_DEP_4)
	v_dual_mul_f32 v20, v6, v20 :: v_dual_and_b32 v19, 0xffff0000, v19
	v_mul_f32_e32 v1, v6, v1
	v_bfe_u32 v24, v21, 16, 1
	v_cmp_o_f32_e32 vcc_lo, v21, v21
	v_dual_mul_f32 v19, v6, v19 :: v_dual_and_b32 v4, 0xffff0000, v4
	s_delay_alu instid0(VALU_DEP_4) | instskip(NEXT) | instid1(VALU_DEP_4)
	v_bfe_u32 v25, v1, 16, 1
	v_add3_u32 v24, v21, v24, 0x7fff
	v_bfe_u32 v26, v20, 16, 1
	s_delay_alu instid0(VALU_DEP_4) | instskip(NEXT) | instid1(VALU_DEP_4)
	v_bfe_u32 v27, v19, 16, 1
	v_add3_u32 v25, v1, v25, 0x7fff
	s_delay_alu instid0(VALU_DEP_4) | instskip(NEXT) | instid1(VALU_DEP_4)
	v_and_b32_e32 v24, 0xffff0000, v24
	v_add3_u32 v26, v20, v26, 0x7fff
	s_delay_alu instid0(VALU_DEP_4) | instskip(NEXT) | instid1(VALU_DEP_4)
	v_add3_u32 v27, v19, v27, 0x7fff
	v_and_b32_e32 v25, 0xffff0000, v25
	s_delay_alu instid0(VALU_DEP_4) | instskip(SKIP_1) | instid1(VALU_DEP_2)
	v_cndmask_b32_e32 v21, 0x7fc00000, v24, vcc_lo
	v_cmp_o_f32_e32 vcc_lo, v1, v1
	v_dual_mul_f32 v21, v21, v23 :: v_dual_and_b32 v26, 0xffff0000, v26
	s_delay_alu instid0(VALU_DEP_4) | instskip(SKIP_1) | instid1(VALU_DEP_2)
	v_cndmask_b32_e32 v1, 0x7fc00000, v25, vcc_lo
	v_cmp_o_f32_e32 vcc_lo, v20, v20
	v_dual_mul_f32 v1, v1, v22 :: v_dual_and_b32 v24, 0xffff0000, v27
	s_delay_alu instid0(VALU_DEP_4) | instskip(SKIP_2) | instid1(VALU_DEP_4)
	v_cndmask_b32_e32 v20, 0x7fc00000, v26, vcc_lo
	v_cmp_o_f32_e32 vcc_lo, v19, v19
	v_bfe_u32 v22, v21, 16, 1
	v_cndmask_b32_e32 v19, 0x7fc00000, v24, vcc_lo
	v_and_b32_e32 v5, 0xffff0000, v5
	v_cmp_o_f32_e32 vcc_lo, v21, v21
	s_delay_alu instid0(VALU_DEP_2) | instskip(SKIP_2) | instid1(VALU_DEP_3)
	v_dual_mul_f32 v4, v19, v4 :: v_dual_mul_f32 v5, v20, v5
	v_bfe_u32 v20, v1, 16, 1
	v_add3_u32 v19, v21, v22, 0x7fff
	v_bfe_u32 v23, v4, 16, 1
	s_delay_alu instid0(VALU_DEP_4) | instskip(NEXT) | instid1(VALU_DEP_4)
	v_bfe_u32 v22, v5, 16, 1
	v_add3_u32 v20, v1, v20, 0x7fff
	s_delay_alu instid0(VALU_DEP_4) | instskip(NEXT) | instid1(VALU_DEP_4)
	v_and_b32_e32 v19, 0xffff0000, v19
	v_add3_u32 v23, v4, v23, 0x7fff
	s_delay_alu instid0(VALU_DEP_4) | instskip(NEXT) | instid1(VALU_DEP_4)
	v_add3_u32 v22, v5, v22, 0x7fff
	v_and_b32_e32 v20, 0xffff0000, v20
	s_delay_alu instid0(VALU_DEP_4)
	v_cndmask_b32_e64 v19, 0x7fc00000, |v19|, vcc_lo
	v_cmp_o_f32_e32 vcc_lo, v1, v1
	v_and_b32_e32 v21, 0xffff0000, v23
	v_add3_u32 v1, s28, s16, v3
	v_and_b32_e32 v3, 0xffff0000, v22
	v_cndmask_b32_e64 v20, 0x7fc00000, |v20|, vcc_lo
	v_cmp_o_f32_e32 vcc_lo, v4, v4
	s_delay_alu instid0(VALU_DEP_2) | instskip(SKIP_4) | instid1(VALU_DEP_2)
	v_max3_f32 v18, v18, v19, v20
	v_cndmask_b32_e64 v4, 0x7fc00000, |v21|, vcc_lo
	v_cmp_o_f32_e32 vcc_lo, v5, v5
	v_cndmask_b32_e64 v3, 0x7fc00000, |v3|, vcc_lo
	v_cmp_le_u32_e32 vcc_lo, s11, v1
	v_max3_f32 v18, v18, v4, v3
	s_or_not1_b32 s34, vcc_lo, exec_lo
	s_branch .LBB17_50
.LBB17_57:
	s_or_b32 exec_lo, exec_lo, s22
.LBB17_58:
	s_delay_alu instid0(SALU_CYCLE_1) | instskip(SKIP_4) | instid1(VALU_DEP_1)
	s_or_b32 exec_lo, exec_lo, s17
	ds_bpermute_b32 v1, v8, v18
	s_waitcnt lgkmcnt(0)
	v_cmp_lt_f32_e32 vcc_lo, v18, v1
	v_cndmask_b32_e32 v1, v18, v1, vcc_lo
	v_cndmask_b32_e64 v1, v18, v1, s0
	s_or_b32 s0, s0, s1
	s_delay_alu instid0(SALU_CYCLE_1) | instskip(NEXT) | instid1(SALU_CYCLE_1)
	s_or_b32 s0, s3, s0
	s_or_b32 s0, s5, s0
	ds_bpermute_b32 v2, v10, v1
	s_waitcnt lgkmcnt(0)
	v_cmp_lt_f32_e32 vcc_lo, v1, v2
	v_cndmask_b32_e32 v2, v1, v2, vcc_lo
	s_delay_alu instid0(VALU_DEP_1) | instskip(SKIP_4) | instid1(VALU_DEP_1)
	v_cndmask_b32_e64 v1, v1, v2, s1
	ds_bpermute_b32 v2, v11, v1
	s_waitcnt lgkmcnt(0)
	v_cmp_lt_f32_e32 vcc_lo, v1, v2
	v_cndmask_b32_e32 v2, v1, v2, vcc_lo
	v_cndmask_b32_e64 v1, v1, v2, s3
	ds_bpermute_b32 v2, v13, v1
	s_waitcnt lgkmcnt(0)
	v_cmp_lt_f32_e32 vcc_lo, v1, v2
	v_cndmask_b32_e32 v2, v1, v2, vcc_lo
	s_delay_alu instid0(VALU_DEP_1)
	v_cndmask_b32_e64 v1, v1, v2, s5
	ds_bpermute_b32 v2, v15, v1
	s_waitcnt lgkmcnt(0)
	v_cmp_lt_f32_e32 vcc_lo, v1, v2
	s_and_b32 vcc_lo, s8, vcc_lo
	v_cndmask_b32_e32 v1, v1, v2, vcc_lo
	s_or_b32 vcc_lo, s8, s0
	s_delay_alu instid0(VALU_DEP_1)
	v_cndmask_b32_e32 v1, v18, v1, vcc_lo
	s_and_saveexec_b32 s0, s6
	s_cbranch_execz .LBB17_60
; %bb.59:
	v_lshrrev_b32_e32 v2, 3, v0
	s_delay_alu instid0(VALU_DEP_1)
	v_and_b32_e32 v2, 0x7c, v2
	ds_store_b32 v2, v1 offset:128
.LBB17_60:
	s_or_b32 exec_lo, exec_lo, s0
	s_waitcnt lgkmcnt(0)
	s_barrier
	buffer_gl0_inv
	s_and_saveexec_b32 s8, s7
	s_cbranch_execz .LBB17_62
; %bb.61:
	v_lshlrev_b32_e32 v1, 2, v7
	s_add_i32 s0, s16, 31
	s_delay_alu instid0(SALU_CYCLE_1)
	s_lshr_b32 s5, s0, 5
	ds_load_b32 v1, v1 offset:128
	s_waitcnt lgkmcnt(0)
	ds_bpermute_b32 v2, v8, v1
	s_waitcnt lgkmcnt(0)
	v_cmp_lt_f32_e32 vcc_lo, v1, v2
	v_cndmask_b32_e32 v2, v1, v2, vcc_lo
	v_cmp_gt_u32_e32 vcc_lo, s5, v9
	s_delay_alu instid0(VALU_DEP_2) | instskip(SKIP_3) | instid1(VALU_DEP_1)
	v_cndmask_b32_e32 v2, v1, v2, vcc_lo
	ds_bpermute_b32 v3, v10, v2
	s_waitcnt lgkmcnt(0)
	v_cmp_lt_f32_e64 s0, v2, v3
	v_cndmask_b32_e64 v3, v2, v3, s0
	v_cmp_gt_u32_e64 s0, s5, v12
	s_delay_alu instid0(VALU_DEP_1) | instskip(SKIP_4) | instid1(VALU_DEP_1)
	v_cndmask_b32_e64 v2, v2, v3, s0
	s_or_b32 s0, vcc_lo, s0
	ds_bpermute_b32 v3, v11, v2
	s_waitcnt lgkmcnt(0)
	v_cmp_lt_f32_e64 s1, v2, v3
	v_cndmask_b32_e64 v3, v2, v3, s1
	v_cmp_gt_u32_e64 s1, s5, v14
	s_delay_alu instid0(VALU_DEP_1) | instskip(SKIP_4) | instid1(VALU_DEP_1)
	v_cndmask_b32_e64 v2, v2, v3, s1
	s_or_b32 s0, s1, s0
	ds_bpermute_b32 v3, v13, v2
	s_waitcnt lgkmcnt(0)
	v_cmp_lt_f32_e64 s3, v2, v3
	v_cndmask_b32_e64 v3, v2, v3, s3
	v_cmp_gt_u32_e64 s3, s5, v16
	v_cmp_gt_u32_e64 s5, s5, v17
	s_delay_alu instid0(VALU_DEP_2) | instskip(SKIP_4) | instid1(VALU_DEP_1)
	v_cndmask_b32_e64 v2, v2, v3, s3
	s_or_b32 s0, s3, s0
	ds_bpermute_b32 v3, v15, v2
	s_waitcnt lgkmcnt(0)
	v_cmp_lt_f32_e64 s6, v2, v3
	s_and_b32 vcc_lo, s5, s6
	v_cndmask_b32_e32 v2, v2, v3, vcc_lo
	s_or_b32 vcc_lo, s5, s0
	s_delay_alu instid0(VALU_DEP_1)
	v_cndmask_b32_e32 v1, v1, v2, vcc_lo
.LBB17_62:
	s_or_b32 exec_lo, exec_lo, s8
	s_and_saveexec_b32 s0, s4
	s_cbranch_execz .LBB17_66
; %bb.63:
	s_cmp_eq_u64 s[26:27], 0
	s_cbranch_scc1 .LBB17_65
; %bb.64:
	s_load_b32 s1, s[26:27], 0x0
	v_max_f32_e32 v1, v1, v1
	s_waitcnt lgkmcnt(0)
	v_max_f32_e64 v2, s1, s1
	s_delay_alu instid0(VALU_DEP_1)
	v_min_f32_e32 v1, v1, v2
.LBB17_65:
	s_delay_alu instid0(VALU_DEP_1) | instskip(SKIP_2) | instid1(VALU_DEP_2)
	v_div_scale_f32 v2, null, 0x42fe0000, 0x42fe0000, v1
	v_div_scale_f32 v5, vcc_lo, v1, 0x42fe0000, v1
	s_lshl_b64 s[4:5], s[24:25], 2
	v_rcp_f32_e32 v3, v2
	s_add_u32 s4, s14, s4
	s_addc_u32 s5, s15, s5
	s_waitcnt_depctr 0xfff
	v_fma_f32 v4, -v2, v3, 1.0
	s_delay_alu instid0(VALU_DEP_1) | instskip(NEXT) | instid1(VALU_DEP_1)
	v_fmac_f32_e32 v3, v4, v3
	v_mul_f32_e32 v4, v5, v3
	s_delay_alu instid0(VALU_DEP_1) | instskip(NEXT) | instid1(VALU_DEP_1)
	v_fma_f32 v7, -v2, v4, v5
	v_fmac_f32_e32 v4, v7, v3
	s_delay_alu instid0(VALU_DEP_1) | instskip(NEXT) | instid1(VALU_DEP_1)
	v_fma_f32 v2, -v2, v4, v5
	v_div_fmas_f32 v2, v2, v3, v4
	s_delay_alu instid0(VALU_DEP_1) | instskip(NEXT) | instid1(VALU_DEP_1)
	v_div_fixup_f32 v1, v2, 0x42fe0000, v1
	v_dual_mov_b32 v2, 0 :: v_dual_max_f32 v1, 0x34000000, v1
	ds_store_b32 v2, v1 offset:516
	global_store_b32 v2, v1, s[4:5]
.LBB17_66:
	s_or_b32 exec_lo, exec_lo, s0
	s_waitcnt lgkmcnt(0)
	s_waitcnt_vscnt null, 0x0
	s_barrier
	buffer_gl0_inv
	s_and_saveexec_b32 s0, s2
	s_cbranch_execz .LBB17_75
; %bb.67:
	v_mov_b32_e32 v1, 0
	s_ashr_i32 s0, s21, 31
	s_mul_hi_u32 s1, s21, s24
	s_mul_i32 s0, s0, s24
	s_mul_i32 s2, s21, s24
	ds_load_b32 v2, v1 offset:516
	s_add_i32 s1, s1, s0
	s_add_u32 s0, s12, s2
	s_addc_u32 s1, s13, s1
	s_mul_i32 s2, s16, 3
	s_lshl_b32 s3, s16, 1
	s_mov_b32 s4, 0
	s_add_i32 s5, s16, s16
                                        ; implicit-def: $sgpr6
	s_waitcnt lgkmcnt(0)
	v_div_scale_f32 v3, null, v2, v2, 1.0
	v_div_scale_f32 v7, vcc_lo, 1.0, v2, 1.0
	s_delay_alu instid0(VALU_DEP_2) | instskip(SKIP_2) | instid1(VALU_DEP_1)
	v_rcp_f32_e32 v4, v3
	s_waitcnt_depctr 0xfff
	v_fma_f32 v5, -v3, v4, 1.0
	v_fmac_f32_e32 v4, v5, v4
	s_delay_alu instid0(VALU_DEP_1) | instskip(NEXT) | instid1(VALU_DEP_1)
	v_mul_f32_e32 v5, v7, v4
	v_fma_f32 v8, -v3, v5, v7
	s_delay_alu instid0(VALU_DEP_1) | instskip(NEXT) | instid1(VALU_DEP_1)
	v_fmac_f32_e32 v5, v8, v4
	v_fma_f32 v3, -v3, v5, v7
	s_delay_alu instid0(VALU_DEP_1) | instskip(NEXT) | instid1(VALU_DEP_1)
	v_div_fmas_f32 v3, v3, v4, v5
	v_div_fixup_f32 v5, v3, v2, 1.0
	s_branch .LBB17_71
.LBB17_68:                              ;   in Loop: Header=BB17_71 Depth=1
	s_or_b32 exec_lo, exec_lo, s12
	s_delay_alu instid0(SALU_CYCLE_1)
	s_or_not1_b32 s12, s13, exec_lo
.LBB17_69:                              ;   in Loop: Header=BB17_71 Depth=1
	s_or_b32 exec_lo, exec_lo, s8
	s_delay_alu instid0(SALU_CYCLE_1) | instskip(SKIP_1) | instid1(SALU_CYCLE_1)
	s_and_not1_b32 s6, s6, exec_lo
	s_and_b32 s8, s12, exec_lo
	s_or_b32 s6, s6, s8
.LBB17_70:                              ;   in Loop: Header=BB17_71 Depth=1
	s_or_b32 exec_lo, exec_lo, s7
	s_delay_alu instid0(SALU_CYCLE_1) | instskip(NEXT) | instid1(SALU_CYCLE_1)
	s_and_b32 s7, exec_lo, s6
	s_or_b32 s4, s7, s4
	s_delay_alu instid0(SALU_CYCLE_1)
	s_and_not1_b32 exec_lo, exec_lo, s4
	s_cbranch_execz .LBB17_75
.LBB17_71:                              ; =>This Inner Loop Header: Depth=1
	v_lshlrev_b64 v[2:3], 3, v[0:1]
	s_or_b32 s6, s6, exec_lo
	s_mov_b32 s7, exec_lo
	s_delay_alu instid0(VALU_DEP_1) | instskip(NEXT) | instid1(VALU_DEP_2)
	v_add_co_u32 v7, vcc_lo, s9, v2
	v_add_co_ci_u32_e32 v8, vcc_lo, s10, v3, vcc_lo
	v_add_co_u32 v2, vcc_lo, s18, v2
	v_add_co_ci_u32_e32 v3, vcc_lo, s19, v3, vcc_lo
	global_load_b64 v[7:8], v[7:8], off
	global_load_b64 v[2:3], v[2:3], off
	s_waitcnt vmcnt(1)
	v_alignbit_b32 v4, v8, v7, 16
	v_and_b32_e32 v8, 0xffff0000, v8
	v_and_b32_e32 v9, 0xffff0000, v7
	s_waitcnt vmcnt(0)
	v_lshlrev_b32_e32 v11, 16, v2
	v_and_b32_e32 v4, 0xffff0000, v4
	v_dual_mul_f32 v8, v6, v8 :: v_dual_lshlrev_b32 v7, 16, v7
	v_mul_f32_e32 v9, v6, v9
	s_delay_alu instid0(VALU_DEP_3) | instskip(NEXT) | instid1(VALU_DEP_3)
	v_mul_f32_e32 v4, v6, v4
	v_dual_mul_f32 v7, v6, v7 :: v_dual_and_b32 v10, 0xffff0000, v2
	s_delay_alu instid0(VALU_DEP_3) | instskip(SKIP_1) | instid1(VALU_DEP_4)
	v_bfe_u32 v13, v9, 16, 1
	v_bfe_u32 v14, v8, 16, 1
	;; [unrolled: 1-line block ×3, first 2 shown]
	v_alignbit_b32 v2, v3, v2, 16
	v_bfe_u32 v12, v7, 16, 1
	v_add3_u32 v13, v9, v13, 0x7fff
	v_cmp_o_f32_e32 vcc_lo, v7, v7
	v_add3_u32 v15, v4, v15, 0x7fff
	v_add3_u32 v14, v8, v14, 0x7fff
	;; [unrolled: 1-line block ×3, first 2 shown]
	v_and_b32_e32 v13, 0xffff0000, v13
	s_delay_alu instid0(VALU_DEP_4) | instskip(NEXT) | instid1(VALU_DEP_4)
	v_and_b32_e32 v15, 0xffff0000, v15
	v_and_b32_e32 v14, 0xffff0000, v14
	s_delay_alu instid0(VALU_DEP_4) | instskip(NEXT) | instid1(VALU_DEP_1)
	v_and_b32_e32 v12, 0xffff0000, v12
	v_cndmask_b32_e32 v7, 0x7fc00000, v12, vcc_lo
	v_cmp_o_f32_e32 vcc_lo, v9, v9
	v_cndmask_b32_e32 v9, 0x7fc00000, v13, vcc_lo
	v_cmp_o_f32_e32 vcc_lo, v4, v4
	s_delay_alu instid0(VALU_DEP_2) | instskip(SKIP_4) | instid1(VALU_DEP_3)
	v_dual_mul_f32 v9, v9, v10 :: v_dual_cndmask_b32 v4, 0x7fc00000, v15
	v_cmp_o_f32_e32 vcc_lo, v8, v8
	v_dual_mul_f32 v7, v7, v11 :: v_dual_cndmask_b32 v8, 0x7fc00000, v14
	v_and_b32_e32 v2, 0xffff0000, v2
	v_and_b32_e32 v3, 0xffff0000, v3
	v_cmp_o_f32_e32 vcc_lo, v7, v7
	s_delay_alu instid0(VALU_DEP_3) | instskip(SKIP_1) | instid1(VALU_DEP_4)
	v_mul_f32_e32 v2, v4, v2
	v_bfe_u32 v4, v7, 16, 1
	v_mul_f32_e32 v3, v8, v3
	v_bfe_u32 v8, v9, 16, 1
	s_delay_alu instid0(VALU_DEP_4) | instskip(NEXT) | instid1(VALU_DEP_4)
	v_bfe_u32 v10, v2, 16, 1
	v_add3_u32 v4, v7, v4, 0x7fff
	s_delay_alu instid0(VALU_DEP_4) | instskip(NEXT) | instid1(VALU_DEP_4)
	v_bfe_u32 v11, v3, 16, 1
	v_add3_u32 v8, v9, v8, 0x7fff
	s_delay_alu instid0(VALU_DEP_4) | instskip(NEXT) | instid1(VALU_DEP_4)
	v_add3_u32 v10, v2, v10, 0x7fff
	v_and_b32_e32 v4, 0xffff0000, v4
	s_delay_alu instid0(VALU_DEP_4) | instskip(NEXT) | instid1(VALU_DEP_4)
	v_add3_u32 v11, v3, v11, 0x7fff
	v_and_b32_e32 v8, 0xffff0000, v8
	s_delay_alu instid0(VALU_DEP_4) | instskip(NEXT) | instid1(VALU_DEP_4)
	v_and_b32_e32 v10, 0xffff0000, v10
	v_cndmask_b32_e32 v4, 0x7fc00000, v4, vcc_lo
	v_cmp_o_f32_e32 vcc_lo, v2, v2
	s_delay_alu instid0(VALU_DEP_2) | instskip(NEXT) | instid1(VALU_DEP_4)
	v_dual_mul_f32 v4, v5, v4 :: v_dual_and_b32 v11, 0xffff0000, v11
	v_cndmask_b32_e32 v2, 0x7fc00000, v10, vcc_lo
	v_cmp_o_f32_e32 vcc_lo, v9, v9
	s_delay_alu instid0(VALU_DEP_3) | instskip(NEXT) | instid1(VALU_DEP_3)
	v_rndne_f32_e32 v4, v4
	v_dual_mul_f32 v2, v5, v2 :: v_dual_cndmask_b32 v7, 0x7fc00000, v8
	v_cmp_o_f32_e32 vcc_lo, v3, v3
	s_delay_alu instid0(VALU_DEP_2) | instskip(NEXT) | instid1(VALU_DEP_3)
	v_rndne_f32_e32 v2, v2
	v_mul_f32_e32 v7, v5, v7
	v_cndmask_b32_e32 v3, 0x7fc00000, v11, vcc_lo
	s_delay_alu instid0(VALU_DEP_3) | instskip(NEXT) | instid1(VALU_DEP_3)
	v_cmp_nlt_f32_e32 vcc_lo, 0x42fe0000, v2
	v_rndne_f32_e32 v7, v7
	s_delay_alu instid0(VALU_DEP_3) | instskip(SKIP_1) | instid1(VALU_DEP_2)
	v_dual_mul_f32 v3, v5, v3 :: v_dual_cndmask_b32 v8, 0x42fe0000, v2
	v_cmp_nlt_f32_e32 vcc_lo, 0x42fe0000, v4
	v_rndne_f32_e32 v3, v3
	v_cndmask_b32_e32 v9, 0x42fe0000, v4, vcc_lo
	v_cmp_nlt_f32_e32 vcc_lo, 0x42fe0000, v7
	v_cndmask_b32_e32 v10, 0x42fe0000, v7, vcc_lo
	v_cmp_ngt_f32_e32 vcc_lo, 0xc3000000, v2
	v_cndmask_b32_e32 v2, 0xc3000000, v8, vcc_lo
	v_cmp_nlt_f32_e32 vcc_lo, 0x42fe0000, v3
	s_delay_alu instid0(VALU_DEP_2) | instskip(SKIP_2) | instid1(VALU_DEP_3)
	v_cvt_i32_f32_e32 v2, v2
	v_cndmask_b32_e32 v8, 0x42fe0000, v3, vcc_lo
	v_cmp_ngt_f32_e32 vcc_lo, 0xc3000000, v7
	v_and_b32_e32 v2, 0xff, v2
	v_cndmask_b32_e32 v7, 0xc3000000, v10, vcc_lo
	v_cmp_ngt_f32_e32 vcc_lo, 0xc3000000, v4
	s_delay_alu instid0(VALU_DEP_3) | instskip(NEXT) | instid1(VALU_DEP_3)
	v_lshlrev_b32_e32 v2, 16, v2
	v_cvt_i32_f32_e32 v7, v7
	v_cndmask_b32_e32 v4, 0xc3000000, v9, vcc_lo
	v_cmp_ngt_f32_e32 vcc_lo, 0xc3000000, v3
	s_delay_alu instid0(VALU_DEP_3) | instskip(SKIP_1) | instid1(VALU_DEP_4)
	v_and_b32_e32 v7, 0xff, v7
	v_cndmask_b32_e32 v3, 0xc3000000, v8, vcc_lo
	v_cvt_i32_f32_e32 v8, v4
	s_delay_alu instid0(VALU_DEP_3) | instskip(NEXT) | instid1(VALU_DEP_3)
	v_lshlrev_b32_e32 v7, 8, v7
	v_cvt_i32_f32_e32 v9, v3
	v_lshlrev_b64 v[3:4], 2, v[0:1]
	s_delay_alu instid0(VALU_DEP_4) | instskip(NEXT) | instid1(VALU_DEP_3)
	v_and_b32_e32 v8, 0xff, v8
	v_lshl_or_b32 v9, v9, 24, v2
	v_add_nc_u32_e32 v2, s16, v0
	s_delay_alu instid0(VALU_DEP_4) | instskip(SKIP_1) | instid1(VALU_DEP_4)
	v_add_co_u32 v3, vcc_lo, s0, v3
	v_add_co_ci_u32_e32 v4, vcc_lo, s1, v4, vcc_lo
	v_or3_b32 v7, v9, v7, v8
	global_store_b32 v[3:4], v7, off
	v_cmpx_gt_u32_e64 s11, v2
	s_cbranch_execz .LBB17_70
; %bb.72:                               ;   in Loop: Header=BB17_71 Depth=1
	v_mov_b32_e32 v3, v1
	s_mov_b32 s12, -1
	s_mov_b32 s8, exec_lo
	s_delay_alu instid0(VALU_DEP_1) | instskip(NEXT) | instid1(VALU_DEP_1)
	v_lshlrev_b64 v[7:8], 3, v[2:3]
	v_add_co_u32 v9, vcc_lo, s9, v7
	s_delay_alu instid0(VALU_DEP_2)
	v_add_co_ci_u32_e32 v10, vcc_lo, s10, v8, vcc_lo
	v_add_co_u32 v7, vcc_lo, s18, v7
	v_add_co_ci_u32_e32 v8, vcc_lo, s19, v8, vcc_lo
	global_load_b64 v[9:10], v[9:10], off
	global_load_b64 v[7:8], v[7:8], off
	s_waitcnt vmcnt(1)
	v_alignbit_b32 v4, v10, v9, 16
	s_waitcnt vmcnt(0)
	v_and_b32_e32 v12, 0xffff0000, v7
	v_and_b32_e32 v10, 0xffff0000, v10
	;; [unrolled: 1-line block ×4, first 2 shown]
	s_delay_alu instid0(VALU_DEP_1) | instskip(NEXT) | instid1(VALU_DEP_1)
	v_dual_mul_f32 v4, v6, v4 :: v_dual_lshlrev_b32 v9, 16, v9
	v_mul_f32_e32 v9, v6, v9
	v_mul_f32_e32 v10, v6, v10
	;; [unrolled: 1-line block ×3, first 2 shown]
	s_delay_alu instid0(VALU_DEP_4) | instskip(NEXT) | instid1(VALU_DEP_4)
	v_bfe_u32 v17, v4, 16, 1
	v_bfe_u32 v14, v9, 16, 1
	v_cmp_o_f32_e32 vcc_lo, v9, v9
	s_delay_alu instid0(VALU_DEP_4) | instskip(SKIP_3) | instid1(VALU_DEP_4)
	v_bfe_u32 v15, v11, 16, 1
	v_bfe_u32 v16, v10, 16, 1
	v_add3_u32 v17, v4, v17, 0x7fff
	v_add3_u32 v14, v9, v14, 0x7fff
	;; [unrolled: 1-line block ×3, first 2 shown]
	s_delay_alu instid0(VALU_DEP_4) | instskip(NEXT) | instid1(VALU_DEP_4)
	v_add3_u32 v16, v10, v16, 0x7fff
	v_and_b32_e32 v17, 0xffff0000, v17
	s_delay_alu instid0(VALU_DEP_4) | instskip(NEXT) | instid1(VALU_DEP_4)
	v_and_b32_e32 v14, 0xffff0000, v14
	v_and_b32_e32 v15, 0xffff0000, v15
	s_delay_alu instid0(VALU_DEP_4) | instskip(NEXT) | instid1(VALU_DEP_3)
	v_and_b32_e32 v16, 0xffff0000, v16
	v_cndmask_b32_e32 v9, 0x7fc00000, v14, vcc_lo
	v_cmp_o_f32_e32 vcc_lo, v11, v11
	s_delay_alu instid0(VALU_DEP_4) | instskip(SKIP_3) | instid1(VALU_DEP_4)
	v_cndmask_b32_e32 v11, 0x7fc00000, v15, vcc_lo
	v_cmp_o_f32_e32 vcc_lo, v4, v4
	v_lshlrev_b32_e32 v13, 16, v7
	v_alignbit_b32 v7, v8, v7, 16
	v_dual_mul_f32 v11, v11, v12 :: v_dual_cndmask_b32 v4, 0x7fc00000, v17
	v_cmp_o_f32_e32 vcc_lo, v10, v10
	s_delay_alu instid0(VALU_DEP_4) | instskip(NEXT) | instid1(VALU_DEP_4)
	v_dual_mul_f32 v9, v9, v13 :: v_dual_and_b32 v8, 0xffff0000, v8
	v_and_b32_e32 v7, 0xffff0000, v7
	v_cndmask_b32_e32 v10, 0x7fc00000, v16, vcc_lo
	s_delay_alu instid0(VALU_DEP_3) | instskip(NEXT) | instid1(VALU_DEP_2)
	v_cmp_o_f32_e32 vcc_lo, v9, v9
	v_dual_mul_f32 v4, v4, v7 :: v_dual_mul_f32 v7, v10, v8
	v_bfe_u32 v8, v9, 16, 1
	v_bfe_u32 v10, v11, 16, 1
	s_delay_alu instid0(VALU_DEP_3) | instskip(NEXT) | instid1(VALU_DEP_3)
	v_bfe_u32 v12, v4, 16, 1
	v_add3_u32 v8, v9, v8, 0x7fff
	s_delay_alu instid0(VALU_DEP_3) | instskip(NEXT) | instid1(VALU_DEP_3)
	v_add3_u32 v10, v11, v10, 0x7fff
	v_add3_u32 v12, v4, v12, 0x7fff
	s_delay_alu instid0(VALU_DEP_3) | instskip(NEXT) | instid1(VALU_DEP_3)
	v_and_b32_e32 v8, 0xffff0000, v8
	v_and_b32_e32 v10, 0xffff0000, v10
	s_delay_alu instid0(VALU_DEP_3) | instskip(SKIP_1) | instid1(VALU_DEP_4)
	v_and_b32_e32 v12, 0xffff0000, v12
	v_bfe_u32 v13, v7, 16, 1
	v_cndmask_b32_e32 v8, 0x7fc00000, v8, vcc_lo
	v_cmp_o_f32_e32 vcc_lo, v4, v4
	s_delay_alu instid0(VALU_DEP_3) | instskip(NEXT) | instid1(VALU_DEP_3)
	v_add3_u32 v13, v7, v13, 0x7fff
	v_mul_f32_e32 v8, v5, v8
	v_cndmask_b32_e32 v4, 0x7fc00000, v12, vcc_lo
	v_cmp_o_f32_e32 vcc_lo, v11, v11
	s_delay_alu instid0(VALU_DEP_4) | instskip(NEXT) | instid1(VALU_DEP_4)
	v_and_b32_e32 v13, 0xffff0000, v13
	v_rndne_f32_e32 v8, v8
	s_delay_alu instid0(VALU_DEP_4) | instskip(SKIP_1) | instid1(VALU_DEP_2)
	v_dual_mul_f32 v4, v5, v4 :: v_dual_cndmask_b32 v9, 0x7fc00000, v10
	v_cmp_o_f32_e32 vcc_lo, v7, v7
	v_rndne_f32_e32 v4, v4
	s_delay_alu instid0(VALU_DEP_3) | instskip(SKIP_1) | instid1(VALU_DEP_3)
	v_mul_f32_e32 v9, v5, v9
	v_cndmask_b32_e32 v7, 0x7fc00000, v13, vcc_lo
	v_cmp_nlt_f32_e32 vcc_lo, 0x42fe0000, v4
	s_delay_alu instid0(VALU_DEP_3) | instskip(NEXT) | instid1(VALU_DEP_3)
	v_rndne_f32_e32 v9, v9
	v_dual_mul_f32 v7, v5, v7 :: v_dual_cndmask_b32 v10, 0x42fe0000, v4
	v_cmp_nlt_f32_e32 vcc_lo, 0x42fe0000, v8
	s_delay_alu instid0(VALU_DEP_2)
	v_rndne_f32_e32 v7, v7
	v_cndmask_b32_e32 v11, 0x42fe0000, v8, vcc_lo
	v_cmp_nlt_f32_e32 vcc_lo, 0x42fe0000, v9
	v_cndmask_b32_e32 v12, 0x42fe0000, v9, vcc_lo
	v_cmp_ngt_f32_e32 vcc_lo, 0xc3000000, v4
	v_cndmask_b32_e32 v4, 0xc3000000, v10, vcc_lo
	v_cmp_nlt_f32_e32 vcc_lo, 0x42fe0000, v7
	s_delay_alu instid0(VALU_DEP_2) | instskip(SKIP_2) | instid1(VALU_DEP_3)
	v_cvt_i32_f32_e32 v4, v4
	v_cndmask_b32_e32 v10, 0x42fe0000, v7, vcc_lo
	v_cmp_ngt_f32_e32 vcc_lo, 0xc3000000, v9
	v_and_b32_e32 v4, 0xff, v4
	v_cndmask_b32_e32 v9, 0xc3000000, v12, vcc_lo
	v_cmp_ngt_f32_e32 vcc_lo, 0xc3000000, v8
	s_delay_alu instid0(VALU_DEP_3) | instskip(NEXT) | instid1(VALU_DEP_3)
	v_lshlrev_b32_e32 v4, 16, v4
	v_cvt_i32_f32_e32 v9, v9
	v_cndmask_b32_e32 v8, 0xc3000000, v11, vcc_lo
	v_cmp_ngt_f32_e32 vcc_lo, 0xc3000000, v7
	s_delay_alu instid0(VALU_DEP_3) | instskip(SKIP_1) | instid1(VALU_DEP_4)
	v_and_b32_e32 v9, 0xff, v9
	v_cndmask_b32_e32 v7, 0xc3000000, v10, vcc_lo
	v_cvt_i32_f32_e32 v10, v8
	s_delay_alu instid0(VALU_DEP_3) | instskip(NEXT) | instid1(VALU_DEP_3)
	v_lshlrev_b32_e32 v9, 8, v9
	v_cvt_i32_f32_e32 v11, v7
	v_lshlrev_b64 v[7:8], 2, v[2:3]
	s_delay_alu instid0(VALU_DEP_4) | instskip(SKIP_1) | instid1(VALU_DEP_4)
	v_and_b32_e32 v10, 0xff, v10
	v_add_nc_u32_e32 v3, s3, v0
	v_lshl_or_b32 v4, v11, 24, v4
	s_delay_alu instid0(VALU_DEP_4) | instskip(SKIP_1) | instid1(VALU_DEP_3)
	v_add_co_u32 v7, vcc_lo, s0, v7
	v_add_co_ci_u32_e32 v8, vcc_lo, s1, v8, vcc_lo
	v_or3_b32 v4, v4, v9, v10
	global_store_b32 v[7:8], v4, off
	v_cmpx_gt_u32_e64 s11, v3
	s_cbranch_execz .LBB17_69
; %bb.73:                               ;   in Loop: Header=BB17_71 Depth=1
	v_mov_b32_e32 v4, v1
	v_add_nc_u32_e32 v0, s2, v0
	s_mov_b32 s13, -1
	s_mov_b32 s12, exec_lo
	s_delay_alu instid0(VALU_DEP_2) | instskip(NEXT) | instid1(VALU_DEP_1)
	v_lshlrev_b64 v[7:8], 3, v[3:4]
	v_add_co_u32 v9, vcc_lo, s9, v7
	s_delay_alu instid0(VALU_DEP_2)
	v_add_co_ci_u32_e32 v10, vcc_lo, s10, v8, vcc_lo
	v_add_co_u32 v7, vcc_lo, s18, v7
	v_add_co_ci_u32_e32 v8, vcc_lo, s19, v8, vcc_lo
	global_load_b64 v[9:10], v[9:10], off
	global_load_b64 v[7:8], v[7:8], off
	s_waitcnt vmcnt(1)
	v_alignbit_b32 v11, v10, v9, 16
	s_delay_alu instid0(VALU_DEP_1) | instskip(SKIP_4) | instid1(VALU_DEP_3)
	v_and_b32_e32 v11, 0xffff0000, v11
	v_and_b32_e32 v12, 0xffff0000, v9
	v_lshlrev_b32_e32 v9, 16, v9
	v_and_b32_e32 v10, 0xffff0000, v10
	v_lshlrev_b64 v[3:4], 2, v[3:4]
	v_mul_f32_e32 v9, v6, v9
	s_delay_alu instid0(VALU_DEP_3)
	v_mul_f32_e32 v10, v6, v10
	v_mul_f32_e32 v11, v6, v11
	s_waitcnt vmcnt(0)
	v_dual_mul_f32 v12, v6, v12 :: v_dual_and_b32 v13, 0xffff0000, v7
	v_bfe_u32 v15, v9, 16, 1
	v_cmp_o_f32_e32 vcc_lo, v9, v9
	v_bfe_u32 v18, v11, 16, 1
	v_bfe_u32 v17, v10, 16, 1
	;; [unrolled: 1-line block ×3, first 2 shown]
	v_add3_u32 v15, v9, v15, 0x7fff
	s_delay_alu instid0(VALU_DEP_4) | instskip(NEXT) | instid1(VALU_DEP_4)
	v_add3_u32 v18, v11, v18, 0x7fff
	v_add3_u32 v17, v10, v17, 0x7fff
	s_delay_alu instid0(VALU_DEP_4) | instskip(NEXT) | instid1(VALU_DEP_4)
	v_add3_u32 v16, v12, v16, 0x7fff
	v_and_b32_e32 v15, 0xffff0000, v15
	s_delay_alu instid0(VALU_DEP_4) | instskip(NEXT) | instid1(VALU_DEP_4)
	v_and_b32_e32 v18, 0xffff0000, v18
	v_and_b32_e32 v17, 0xffff0000, v17
	s_delay_alu instid0(VALU_DEP_4) | instskip(NEXT) | instid1(VALU_DEP_4)
	v_and_b32_e32 v16, 0xffff0000, v16
	v_cndmask_b32_e32 v9, 0x7fc00000, v15, vcc_lo
	v_cmp_o_f32_e32 vcc_lo, v12, v12
	s_delay_alu instid0(VALU_DEP_3)
	v_cndmask_b32_e32 v12, 0x7fc00000, v16, vcc_lo
	v_cmp_o_f32_e32 vcc_lo, v11, v11
	v_lshlrev_b32_e32 v14, 16, v7
	v_alignbit_b32 v7, v8, v7, 16
	v_cndmask_b32_e32 v11, 0x7fc00000, v18, vcc_lo
	v_cmp_o_f32_e32 vcc_lo, v10, v10
	s_delay_alu instid0(VALU_DEP_4) | instskip(SKIP_1) | instid1(VALU_DEP_2)
	v_dual_mul_f32 v9, v9, v14 :: v_dual_and_b32 v8, 0xffff0000, v8
	v_cndmask_b32_e32 v10, 0x7fc00000, v17, vcc_lo
	v_cmp_o_f32_e32 vcc_lo, v9, v9
	s_delay_alu instid0(VALU_DEP_2) | instskip(SKIP_1) | instid1(VALU_DEP_2)
	v_mul_f32_e32 v8, v10, v8
	v_bfe_u32 v10, v9, 16, 1
	v_bfe_u32 v14, v8, 16, 1
	s_delay_alu instid0(VALU_DEP_2) | instskip(NEXT) | instid1(VALU_DEP_2)
	v_add3_u32 v10, v9, v10, 0x7fff
	v_add3_u32 v14, v8, v14, 0x7fff
	s_delay_alu instid0(VALU_DEP_2) | instskip(NEXT) | instid1(VALU_DEP_2)
	v_and_b32_e32 v10, 0xffff0000, v10
	v_and_b32_e32 v14, 0xffff0000, v14
	s_delay_alu instid0(VALU_DEP_2) | instskip(NEXT) | instid1(VALU_DEP_1)
	v_cndmask_b32_e32 v9, 0x7fc00000, v10, vcc_lo
	v_mul_f32_e32 v9, v5, v9
	v_dual_mul_f32 v12, v12, v13 :: v_dual_and_b32 v7, 0xffff0000, v7
	s_delay_alu instid0(VALU_DEP_2) | instskip(NEXT) | instid1(VALU_DEP_2)
	v_rndne_f32_e32 v9, v9
	v_mul_f32_e32 v7, v11, v7
	s_delay_alu instid0(VALU_DEP_3) | instskip(NEXT) | instid1(VALU_DEP_2)
	v_bfe_u32 v11, v12, 16, 1
	v_bfe_u32 v13, v7, 16, 1
	v_cmp_o_f32_e32 vcc_lo, v7, v7
	s_delay_alu instid0(VALU_DEP_3) | instskip(NEXT) | instid1(VALU_DEP_3)
	v_add3_u32 v11, v12, v11, 0x7fff
	v_add3_u32 v13, v7, v13, 0x7fff
	s_delay_alu instid0(VALU_DEP_2) | instskip(NEXT) | instid1(VALU_DEP_2)
	v_and_b32_e32 v11, 0xffff0000, v11
	v_and_b32_e32 v13, 0xffff0000, v13
	s_delay_alu instid0(VALU_DEP_1) | instskip(SKIP_1) | instid1(VALU_DEP_2)
	v_cndmask_b32_e32 v7, 0x7fc00000, v13, vcc_lo
	v_cmp_o_f32_e32 vcc_lo, v12, v12
	v_mul_f32_e32 v7, v5, v7
	v_cndmask_b32_e32 v10, 0x7fc00000, v11, vcc_lo
	v_cmp_o_f32_e32 vcc_lo, v8, v8
	s_delay_alu instid0(VALU_DEP_3) | instskip(NEXT) | instid1(VALU_DEP_3)
	v_rndne_f32_e32 v7, v7
	v_mul_f32_e32 v10, v5, v10
	v_cndmask_b32_e32 v8, 0x7fc00000, v14, vcc_lo
	s_delay_alu instid0(VALU_DEP_3) | instskip(NEXT) | instid1(VALU_DEP_3)
	v_cmp_nlt_f32_e32 vcc_lo, 0x42fe0000, v7
	v_rndne_f32_e32 v10, v10
	s_delay_alu instid0(VALU_DEP_3) | instskip(SKIP_1) | instid1(VALU_DEP_2)
	v_dual_mul_f32 v8, v5, v8 :: v_dual_cndmask_b32 v11, 0x42fe0000, v7
	v_cmp_nlt_f32_e32 vcc_lo, 0x42fe0000, v9
	v_rndne_f32_e32 v8, v8
	v_cndmask_b32_e32 v12, 0x42fe0000, v9, vcc_lo
	v_cmp_nlt_f32_e32 vcc_lo, 0x42fe0000, v10
	v_cndmask_b32_e32 v13, 0x42fe0000, v10, vcc_lo
	v_cmp_ngt_f32_e32 vcc_lo, 0xc3000000, v7
	v_cndmask_b32_e32 v7, 0xc3000000, v11, vcc_lo
	v_cmp_nlt_f32_e32 vcc_lo, 0x42fe0000, v8
	s_delay_alu instid0(VALU_DEP_2) | instskip(SKIP_2) | instid1(VALU_DEP_3)
	v_cvt_i32_f32_e32 v7, v7
	v_cndmask_b32_e32 v11, 0x42fe0000, v8, vcc_lo
	v_cmp_ngt_f32_e32 vcc_lo, 0xc3000000, v10
	v_and_b32_e32 v7, 0xff, v7
	v_cndmask_b32_e32 v10, 0xc3000000, v13, vcc_lo
	v_cmp_ngt_f32_e32 vcc_lo, 0xc3000000, v9
	s_delay_alu instid0(VALU_DEP_3) | instskip(NEXT) | instid1(VALU_DEP_3)
	v_lshlrev_b32_e32 v7, 16, v7
	v_cvt_i32_f32_e32 v10, v10
	v_cndmask_b32_e32 v9, 0xc3000000, v12, vcc_lo
	v_cmp_ngt_f32_e32 vcc_lo, 0xc3000000, v8
	s_delay_alu instid0(VALU_DEP_3) | instskip(NEXT) | instid1(VALU_DEP_3)
	v_and_b32_e32 v10, 0xff, v10
	v_cvt_i32_f32_e32 v9, v9
	v_cndmask_b32_e32 v8, 0xc3000000, v11, vcc_lo
	v_add_co_u32 v3, vcc_lo, s0, v3
	s_delay_alu instid0(VALU_DEP_4) | instskip(NEXT) | instid1(VALU_DEP_4)
	v_lshlrev_b32_e32 v10, 8, v10
	v_and_b32_e32 v9, 0xff, v9
	s_delay_alu instid0(VALU_DEP_4) | instskip(SKIP_1) | instid1(VALU_DEP_2)
	v_cvt_i32_f32_e32 v8, v8
	v_add_co_ci_u32_e32 v4, vcc_lo, s1, v4, vcc_lo
	v_lshl_or_b32 v7, v8, 24, v7
	s_delay_alu instid0(VALU_DEP_1)
	v_or3_b32 v7, v7, v10, v9
	global_store_b32 v[3:4], v7, off
	v_cmpx_gt_u32_e64 s11, v0
	s_cbranch_execz .LBB17_68
; %bb.74:                               ;   in Loop: Header=BB17_71 Depth=1
	v_lshlrev_b64 v[3:4], 3, v[0:1]
	s_delay_alu instid0(VALU_DEP_1) | instskip(NEXT) | instid1(VALU_DEP_2)
	v_add_co_u32 v7, vcc_lo, s9, v3
	v_add_co_ci_u32_e32 v8, vcc_lo, s10, v4, vcc_lo
	v_add_co_u32 v3, vcc_lo, s18, v3
	v_add_co_ci_u32_e32 v4, vcc_lo, s19, v4, vcc_lo
	global_load_b64 v[7:8], v[7:8], off
	global_load_b64 v[3:4], v[3:4], off
	s_waitcnt vmcnt(1)
	v_alignbit_b32 v9, v8, v7, 16
	s_delay_alu instid0(VALU_DEP_1) | instskip(NEXT) | instid1(VALU_DEP_1)
	v_and_b32_e32 v9, 0xffff0000, v9
	v_dual_mul_f32 v9, v6, v9 :: v_dual_and_b32 v10, 0xffff0000, v7
	s_delay_alu instid0(VALU_DEP_1) | instskip(SKIP_1) | instid1(VALU_DEP_3)
	v_dual_mul_f32 v10, v6, v10 :: v_dual_lshlrev_b32 v7, 16, v7
	v_and_b32_e32 v8, 0xffff0000, v8
	v_bfe_u32 v16, v9, 16, 1
	s_delay_alu instid0(VALU_DEP_3) | instskip(NEXT) | instid1(VALU_DEP_4)
	v_mul_f32_e32 v7, v6, v7
	v_bfe_u32 v14, v10, 16, 1
	s_waitcnt vmcnt(0)
	v_dual_mul_f32 v8, v6, v8 :: v_dual_and_b32 v11, 0xffff0000, v3
	v_add3_u32 v16, v9, v16, 0x7fff
	v_bfe_u32 v13, v7, 16, 1
	v_add3_u32 v14, v10, v14, 0x7fff
	v_cmp_o_f32_e32 vcc_lo, v7, v7
	v_bfe_u32 v15, v8, 16, 1
	v_and_b32_e32 v16, 0xffff0000, v16
	v_add3_u32 v13, v7, v13, 0x7fff
	s_delay_alu instid0(VALU_DEP_3) | instskip(NEXT) | instid1(VALU_DEP_2)
	v_add3_u32 v15, v8, v15, 0x7fff
	v_and_b32_e32 v13, 0xffff0000, v13
	v_lshlrev_b32_e32 v12, 16, v3
	v_alignbit_b32 v3, v4, v3, 16
	s_delay_alu instid0(VALU_DEP_4) | instskip(NEXT) | instid1(VALU_DEP_4)
	v_and_b32_e32 v15, 0xffff0000, v15
	v_cndmask_b32_e32 v7, 0x7fc00000, v13, vcc_lo
	v_and_b32_e32 v14, 0xffff0000, v14
	v_cmp_o_f32_e32 vcc_lo, v10, v10
	s_delay_alu instid0(VALU_DEP_2)
	v_dual_mul_f32 v7, v7, v12 :: v_dual_cndmask_b32 v10, 0x7fc00000, v14
	v_cmp_o_f32_e32 vcc_lo, v9, v9
	v_cndmask_b32_e32 v9, 0x7fc00000, v16, vcc_lo
	v_cmp_o_f32_e32 vcc_lo, v8, v8
	v_cndmask_b32_e32 v8, 0x7fc00000, v15, vcc_lo
	v_and_b32_e32 v3, 0xffff0000, v3
	v_and_b32_e32 v4, 0xffff0000, v4
	v_cmp_o_f32_e32 vcc_lo, v7, v7
	s_delay_alu instid0(VALU_DEP_2) | instskip(SKIP_1) | instid1(VALU_DEP_2)
	v_dual_mul_f32 v3, v9, v3 :: v_dual_mul_f32 v4, v8, v4
	v_bfe_u32 v8, v7, 16, 1
	v_bfe_u32 v12, v4, 16, 1
	s_delay_alu instid0(VALU_DEP_2) | instskip(NEXT) | instid1(VALU_DEP_2)
	v_add3_u32 v8, v7, v8, 0x7fff
	v_add3_u32 v12, v4, v12, 0x7fff
	s_delay_alu instid0(VALU_DEP_2) | instskip(NEXT) | instid1(VALU_DEP_2)
	v_and_b32_e32 v8, 0xffff0000, v8
	v_and_b32_e32 v12, 0xffff0000, v12
	s_delay_alu instid0(VALU_DEP_2) | instskip(SKIP_1) | instid1(VALU_DEP_2)
	v_cndmask_b32_e32 v7, 0x7fc00000, v8, vcc_lo
	v_cmp_o_f32_e32 vcc_lo, v3, v3
	v_mul_f32_e32 v7, v5, v7
	v_mul_f32_e32 v10, v10, v11
	v_bfe_u32 v11, v3, 16, 1
	s_delay_alu instid0(VALU_DEP_3) | instskip(NEXT) | instid1(VALU_DEP_3)
	v_rndne_f32_e32 v7, v7
	v_bfe_u32 v9, v10, 16, 1
	s_delay_alu instid0(VALU_DEP_3) | instskip(NEXT) | instid1(VALU_DEP_2)
	v_add3_u32 v11, v3, v11, 0x7fff
	v_add3_u32 v9, v10, v9, 0x7fff
	s_delay_alu instid0(VALU_DEP_2) | instskip(NEXT) | instid1(VALU_DEP_2)
	v_and_b32_e32 v11, 0xffff0000, v11
	v_and_b32_e32 v9, 0xffff0000, v9
	s_delay_alu instid0(VALU_DEP_2) | instskip(SKIP_1) | instid1(VALU_DEP_2)
	v_cndmask_b32_e32 v3, 0x7fc00000, v11, vcc_lo
	v_cmp_o_f32_e32 vcc_lo, v10, v10
	v_dual_mul_f32 v3, v5, v3 :: v_dual_cndmask_b32 v8, 0x7fc00000, v9
	v_cmp_o_f32_e32 vcc_lo, v4, v4
	s_delay_alu instid0(VALU_DEP_2) | instskip(NEXT) | instid1(VALU_DEP_3)
	v_rndne_f32_e32 v3, v3
	v_mul_f32_e32 v8, v5, v8
	v_cndmask_b32_e32 v4, 0x7fc00000, v12, vcc_lo
	s_delay_alu instid0(VALU_DEP_3) | instskip(NEXT) | instid1(VALU_DEP_3)
	v_cmp_nlt_f32_e32 vcc_lo, 0x42fe0000, v3
	v_rndne_f32_e32 v8, v8
	s_delay_alu instid0(VALU_DEP_3) | instskip(SKIP_1) | instid1(VALU_DEP_2)
	v_dual_mul_f32 v4, v5, v4 :: v_dual_cndmask_b32 v9, 0x42fe0000, v3
	v_cmp_nlt_f32_e32 vcc_lo, 0x42fe0000, v7
	v_rndne_f32_e32 v4, v4
	v_cndmask_b32_e32 v10, 0x42fe0000, v7, vcc_lo
	v_cmp_nlt_f32_e32 vcc_lo, 0x42fe0000, v8
	v_cndmask_b32_e32 v11, 0x42fe0000, v8, vcc_lo
	v_cmp_ngt_f32_e32 vcc_lo, 0xc3000000, v3
	v_cndmask_b32_e32 v3, 0xc3000000, v9, vcc_lo
	v_cmp_nlt_f32_e32 vcc_lo, 0x42fe0000, v4
	s_delay_alu instid0(VALU_DEP_2) | instskip(SKIP_2) | instid1(VALU_DEP_3)
	v_cvt_i32_f32_e32 v3, v3
	v_cndmask_b32_e32 v9, 0x42fe0000, v4, vcc_lo
	v_cmp_ngt_f32_e32 vcc_lo, 0xc3000000, v8
	v_and_b32_e32 v3, 0xff, v3
	v_cndmask_b32_e32 v8, 0xc3000000, v11, vcc_lo
	v_cmp_ngt_f32_e32 vcc_lo, 0xc3000000, v7
	s_delay_alu instid0(VALU_DEP_2) | instskip(SKIP_3) | instid1(VALU_DEP_4)
	v_cvt_i32_f32_e32 v8, v8
	v_cndmask_b32_e32 v7, 0xc3000000, v10, vcc_lo
	v_cmp_ngt_f32_e32 vcc_lo, 0xc3000000, v4
	v_lshlrev_b32_e32 v10, 16, v3
	v_and_b32_e32 v8, 0xff, v8
	s_delay_alu instid0(VALU_DEP_4) | instskip(SKIP_1) | instid1(VALU_DEP_3)
	v_cvt_i32_f32_e32 v7, v7
	v_cndmask_b32_e32 v4, 0xc3000000, v9, vcc_lo
	v_lshlrev_b32_e32 v8, 8, v8
	s_delay_alu instid0(VALU_DEP_3) | instskip(NEXT) | instid1(VALU_DEP_3)
	v_and_b32_e32 v7, 0xff, v7
	v_cvt_i32_f32_e32 v9, v4
	v_lshlrev_b64 v[3:4], 2, v[0:1]
	v_add3_u32 v0, s5, s16, v2
	s_delay_alu instid0(VALU_DEP_3) | instskip(NEXT) | instid1(VALU_DEP_3)
	v_lshl_or_b32 v9, v9, 24, v10
	v_add_co_u32 v2, vcc_lo, s0, v3
	s_delay_alu instid0(VALU_DEP_4) | instskip(NEXT) | instid1(VALU_DEP_4)
	v_add_co_ci_u32_e32 v3, vcc_lo, s1, v4, vcc_lo
	v_cmp_le_u32_e32 vcc_lo, s11, v0
	s_delay_alu instid0(VALU_DEP_4)
	v_or3_b32 v4, v9, v8, v7
	s_or_not1_b32 s13, vcc_lo, exec_lo
	global_store_b32 v[2:3], v4, off
	s_branch .LBB17_68
.LBB17_75:
	s_nop 0
	s_sendmsg sendmsg(MSG_DEALLOC_VGPRS)
	s_endpgm
	.section	.rodata,"a",@progbits
	.p2align	6, 0x0
	.amdhsa_kernel _ZN4vllm39rms_norm_dynamic_per_token_quant_kernelIN3c108BFloat16EaLb0EEEvPT0_PfPKT_S8_PKffiiPS6_
		.amdhsa_group_segment_fixed_size 528
		.amdhsa_private_segment_fixed_size 0
		.amdhsa_kernarg_size 320
		.amdhsa_user_sgpr_count 15
		.amdhsa_user_sgpr_dispatch_ptr 0
		.amdhsa_user_sgpr_queue_ptr 0
		.amdhsa_user_sgpr_kernarg_segment_ptr 1
		.amdhsa_user_sgpr_dispatch_id 0
		.amdhsa_user_sgpr_private_segment_size 0
		.amdhsa_wavefront_size32 1
		.amdhsa_uses_dynamic_stack 0
		.amdhsa_enable_private_segment 0
		.amdhsa_system_sgpr_workgroup_id_x 1
		.amdhsa_system_sgpr_workgroup_id_y 0
		.amdhsa_system_sgpr_workgroup_id_z 0
		.amdhsa_system_sgpr_workgroup_info 0
		.amdhsa_system_vgpr_workitem_id 0
		.amdhsa_next_free_vgpr 29
		.amdhsa_next_free_sgpr 35
		.amdhsa_reserve_vcc 1
		.amdhsa_float_round_mode_32 0
		.amdhsa_float_round_mode_16_64 0
		.amdhsa_float_denorm_mode_32 3
		.amdhsa_float_denorm_mode_16_64 3
		.amdhsa_dx10_clamp 1
		.amdhsa_ieee_mode 1
		.amdhsa_fp16_overflow 0
		.amdhsa_workgroup_processor_mode 1
		.amdhsa_memory_ordered 1
		.amdhsa_forward_progress 0
		.amdhsa_shared_vgpr_count 0
		.amdhsa_exception_fp_ieee_invalid_op 0
		.amdhsa_exception_fp_denorm_src 0
		.amdhsa_exception_fp_ieee_div_zero 0
		.amdhsa_exception_fp_ieee_overflow 0
		.amdhsa_exception_fp_ieee_underflow 0
		.amdhsa_exception_fp_ieee_inexact 0
		.amdhsa_exception_int_div_zero 0
	.end_amdhsa_kernel
	.section	.text._ZN4vllm39rms_norm_dynamic_per_token_quant_kernelIN3c108BFloat16EaLb0EEEvPT0_PfPKT_S8_PKffiiPS6_,"axG",@progbits,_ZN4vllm39rms_norm_dynamic_per_token_quant_kernelIN3c108BFloat16EaLb0EEEvPT0_PfPKT_S8_PKffiiPS6_,comdat
.Lfunc_end17:
	.size	_ZN4vllm39rms_norm_dynamic_per_token_quant_kernelIN3c108BFloat16EaLb0EEEvPT0_PfPKT_S8_PKffiiPS6_, .Lfunc_end17-_ZN4vllm39rms_norm_dynamic_per_token_quant_kernelIN3c108BFloat16EaLb0EEEvPT0_PfPKT_S8_PKffiiPS6_
                                        ; -- End function
	.section	.AMDGPU.csdata,"",@progbits
; Kernel info:
; codeLenInByte = 11308
; NumSgprs: 37
; NumVgprs: 29
; ScratchSize: 0
; MemoryBound: 0
; FloatMode: 240
; IeeeMode: 1
; LDSByteSize: 528 bytes/workgroup (compile time only)
; SGPRBlocks: 4
; VGPRBlocks: 3
; NumSGPRsForWavesPerEU: 37
; NumVGPRsForWavesPerEU: 29
; Occupancy: 16
; WaveLimiterHint : 0
; COMPUTE_PGM_RSRC2:SCRATCH_EN: 0
; COMPUTE_PGM_RSRC2:USER_SGPR: 15
; COMPUTE_PGM_RSRC2:TRAP_HANDLER: 0
; COMPUTE_PGM_RSRC2:TGID_X_EN: 1
; COMPUTE_PGM_RSRC2:TGID_Y_EN: 0
; COMPUTE_PGM_RSRC2:TGID_Z_EN: 0
; COMPUTE_PGM_RSRC2:TIDIG_COMP_CNT: 0
	.section	.text._ZN4vllm31rms_norm_per_block_quant_kernelIfN3c1013Float8_e4m3fnELb1ELb1ELi128EEEvPT0_PfPKT_S8_PKffiiPS6_l,"axG",@progbits,_ZN4vllm31rms_norm_per_block_quant_kernelIfN3c1013Float8_e4m3fnELb1ELb1ELi128EEEvPT0_PfPKT_S8_PKffiiPS6_l,comdat
	.protected	_ZN4vllm31rms_norm_per_block_quant_kernelIfN3c1013Float8_e4m3fnELb1ELb1ELi128EEEvPT0_PfPKT_S8_PKffiiPS6_l ; -- Begin function _ZN4vllm31rms_norm_per_block_quant_kernelIfN3c1013Float8_e4m3fnELb1ELb1ELi128EEEvPT0_PfPKT_S8_PKffiiPS6_l
	.globl	_ZN4vllm31rms_norm_per_block_quant_kernelIfN3c1013Float8_e4m3fnELb1ELb1ELi128EEEvPT0_PfPKT_S8_PKffiiPS6_l
	.p2align	8
	.type	_ZN4vllm31rms_norm_per_block_quant_kernelIfN3c1013Float8_e4m3fnELb1ELb1ELi128EEEvPT0_PfPKT_S8_PKffiiPS6_l,@function
_ZN4vllm31rms_norm_per_block_quant_kernelIfN3c1013Float8_e4m3fnELb1ELb1ELi128EEEvPT0_PfPKT_S8_PKffiiPS6_l: ; @_ZN4vllm31rms_norm_per_block_quant_kernelIfN3c1013Float8_e4m3fnELb1ELb1ELi128EEEvPT0_PfPKT_S8_PKffiiPS6_l
; %bb.0:
	s_mov_b32 s16, s15
	s_clause 0x3
	s_load_b128 s[12:15], s[0:1], 0x28
	s_load_b256 s[4:11], s[0:1], 0x0
	s_load_b64 s[2:3], s[0:1], 0x38
	s_load_b32 s34, s[0:1], 0x48
	v_mov_b32_e32 v6, 0
	s_waitcnt lgkmcnt(0)
	s_ashr_i32 s15, s14, 31
	s_mul_hi_u32 s17, s14, s16
	s_mul_i32 s15, s15, s16
	s_ashr_i32 s19, s13, 31
	s_mul_i32 s20, s14, s16
	s_add_i32 s21, s17, s15
	s_mul_hi_u32 s18, s13, s16
	s_mul_i32 s15, s19, s16
	s_lshl_b64 s[20:21], s[20:21], 2
	s_mul_i32 s14, s13, s16
	s_add_i32 s15, s18, s15
	s_add_u32 s28, s8, s20
	s_addc_u32 s29, s9, s21
	s_lshl_b64 s[8:9], s[14:15], 2
	s_mov_b32 s17, 0
	s_add_u32 s30, s2, s8
	s_addc_u32 s31, s3, s9
	s_ashr_i32 s8, s13, 2
	s_add_u32 s20, s0, 0x48
	v_cmp_gt_u32_e64 s2, s8, v0
	s_mov_b32 s18, s13
	s_addc_u32 s21, s1, 0
	s_delay_alu instid0(VALU_DEP_1)
	s_and_saveexec_b32 s3, s2
	s_cbranch_execz .LBB18_10
; %bb.1:
	s_cmp_lt_u32 s16, s34
	v_mov_b32_e32 v2, 0
	s_cselect_b32 s9, 12, 18
                                        ; implicit-def: $sgpr13
	v_mov_b32_e32 v1, v0
	s_add_u32 s22, s20, s9
	s_addc_u32 s23, s21, 0
	s_mov_b32 s9, s17
	global_load_u16 v7, v2, s[22:23]
	s_waitcnt vmcnt(0)
	v_lshlrev_b32_e32 v9, 1, v7
	v_mul_lo_u32 v8, v7, 3
	v_add_nc_u32_e32 v10, v7, v7
	v_mov_b32_e32 v6, v2
	s_branch .LBB18_5
.LBB18_2:                               ;   in Loop: Header=BB18_5 Depth=1
	s_or_b32 exec_lo, exec_lo, s24
	s_delay_alu instid0(SALU_CYCLE_1)
	s_or_not1_b32 s24, s25, exec_lo
.LBB18_3:                               ;   in Loop: Header=BB18_5 Depth=1
	s_or_b32 exec_lo, exec_lo, s23
	s_delay_alu instid0(SALU_CYCLE_1) | instskip(SKIP_1) | instid1(SALU_CYCLE_1)
	s_and_not1_b32 s13, s13, exec_lo
	s_and_b32 s23, s24, exec_lo
	s_or_b32 s13, s13, s23
.LBB18_4:                               ;   in Loop: Header=BB18_5 Depth=1
	s_or_b32 exec_lo, exec_lo, s22
	s_delay_alu instid0(SALU_CYCLE_1) | instskip(NEXT) | instid1(SALU_CYCLE_1)
	s_and_b32 s22, exec_lo, s13
	s_or_b32 s9, s22, s9
	s_delay_alu instid0(SALU_CYCLE_1)
	s_and_not1_b32 exec_lo, exec_lo, s9
	s_cbranch_execz .LBB18_9
.LBB18_5:                               ; =>This Inner Loop Header: Depth=1
	v_lshlrev_b64 v[3:4], 4, v[1:2]
	s_or_b32 s13, s13, exec_lo
	s_mov_b32 s22, exec_lo
	s_delay_alu instid0(VALU_DEP_1) | instskip(NEXT) | instid1(VALU_DEP_2)
	v_add_co_u32 v11, vcc_lo, s28, v3
	v_add_co_ci_u32_e32 v12, vcc_lo, s29, v4, vcc_lo
	v_add_co_u32 v3, vcc_lo, s30, v3
	v_add_co_ci_u32_e32 v4, vcc_lo, s31, v4, vcc_lo
	global_load_b128 v[11:14], v[11:12], off
	global_load_b128 v[15:18], v[3:4], off
	s_waitcnt vmcnt(0)
	v_dual_add_f32 v3, v11, v15 :: v_dual_add_f32 v4, v12, v16
	s_delay_alu instid0(VALU_DEP_1) | instskip(NEXT) | instid1(VALU_DEP_1)
	v_dual_fmac_f32 v6, v3, v3 :: v_dual_add_f32 v3, v13, v17
	v_fmac_f32_e32 v6, v4, v4
	v_add_f32_e32 v4, v14, v18
	s_delay_alu instid0(VALU_DEP_2) | instskip(NEXT) | instid1(VALU_DEP_1)
	v_fmac_f32_e32 v6, v3, v3
	v_dual_fmac_f32 v6, v4, v4 :: v_dual_add_nc_u32 v3, v1, v7
	s_delay_alu instid0(VALU_DEP_1)
	v_cmpx_gt_u32_e64 s8, v3
	s_cbranch_execz .LBB18_4
; %bb.6:                                ;   in Loop: Header=BB18_5 Depth=1
	v_mov_b32_e32 v4, v2
	s_mov_b32 s24, -1
	s_mov_b32 s23, exec_lo
	s_delay_alu instid0(VALU_DEP_1) | instskip(NEXT) | instid1(VALU_DEP_1)
	v_lshlrev_b64 v[4:5], 4, v[3:4]
	v_add_co_u32 v11, vcc_lo, s28, v4
	s_delay_alu instid0(VALU_DEP_2)
	v_add_co_ci_u32_e32 v12, vcc_lo, s29, v5, vcc_lo
	v_add_co_u32 v4, vcc_lo, s30, v4
	v_add_co_ci_u32_e32 v5, vcc_lo, s31, v5, vcc_lo
	global_load_b128 v[11:14], v[11:12], off
	global_load_b128 v[15:18], v[4:5], off
	s_waitcnt vmcnt(0)
	v_dual_add_f32 v5, v12, v16 :: v_dual_add_f32 v4, v11, v15
	s_delay_alu instid0(VALU_DEP_1) | instskip(SKIP_1) | instid1(VALU_DEP_2)
	v_fmac_f32_e32 v6, v4, v4
	v_add_f32_e32 v4, v13, v17
	v_dual_fmac_f32 v6, v5, v5 :: v_dual_add_f32 v5, v14, v18
	s_delay_alu instid0(VALU_DEP_1) | instskip(SKIP_1) | instid1(VALU_DEP_2)
	v_fmac_f32_e32 v6, v4, v4
	v_add_nc_u32_e32 v4, v9, v1
	v_fmac_f32_e32 v6, v5, v5
	s_delay_alu instid0(VALU_DEP_2)
	v_cmpx_gt_u32_e64 s8, v4
	s_cbranch_execz .LBB18_3
; %bb.7:                                ;   in Loop: Header=BB18_5 Depth=1
	v_mov_b32_e32 v5, v2
	v_add_nc_u32_e32 v1, v8, v1
	s_mov_b32 s25, -1
	s_mov_b32 s24, exec_lo
	s_delay_alu instid0(VALU_DEP_2) | instskip(NEXT) | instid1(VALU_DEP_1)
	v_lshlrev_b64 v[4:5], 4, v[4:5]
	v_add_co_u32 v11, vcc_lo, s28, v4
	s_delay_alu instid0(VALU_DEP_2)
	v_add_co_ci_u32_e32 v12, vcc_lo, s29, v5, vcc_lo
	v_add_co_u32 v4, vcc_lo, s30, v4
	v_add_co_ci_u32_e32 v5, vcc_lo, s31, v5, vcc_lo
	global_load_b128 v[11:14], v[11:12], off
	global_load_b128 v[15:18], v[4:5], off
	s_waitcnt vmcnt(0)
	v_dual_add_f32 v4, v11, v15 :: v_dual_add_f32 v5, v12, v16
	s_delay_alu instid0(VALU_DEP_1) | instskip(SKIP_1) | instid1(VALU_DEP_2)
	v_fmac_f32_e32 v6, v4, v4
	v_add_f32_e32 v4, v13, v17
	v_dual_fmac_f32 v6, v5, v5 :: v_dual_add_f32 v5, v14, v18
	s_delay_alu instid0(VALU_DEP_1) | instskip(NEXT) | instid1(VALU_DEP_1)
	v_fmac_f32_e32 v6, v4, v4
	v_fmac_f32_e32 v6, v5, v5
	v_cmpx_gt_u32_e64 s8, v1
	s_xor_b32 s24, exec_lo, s24
	s_cbranch_execz .LBB18_2
; %bb.8:                                ;   in Loop: Header=BB18_5 Depth=1
	v_lshlrev_b64 v[4:5], 4, v[1:2]
	s_delay_alu instid0(VALU_DEP_1) | instskip(NEXT) | instid1(VALU_DEP_2)
	v_add_co_u32 v11, vcc_lo, s28, v4
	v_add_co_ci_u32_e32 v12, vcc_lo, s29, v5, vcc_lo
	v_add_co_u32 v4, vcc_lo, s30, v4
	v_add_co_ci_u32_e32 v5, vcc_lo, s31, v5, vcc_lo
	global_load_b128 v[11:14], v[11:12], off
	global_load_b128 v[15:18], v[4:5], off
	s_waitcnt vmcnt(0)
	v_dual_add_f32 v1, v11, v15 :: v_dual_add_f32 v4, v12, v16
	s_delay_alu instid0(VALU_DEP_1) | instskip(SKIP_2) | instid1(VALU_DEP_3)
	v_fmac_f32_e32 v6, v1, v1
	v_add3_u32 v1, v10, v7, v3
	v_add_f32_e32 v3, v14, v18
	v_dual_add_f32 v5, v13, v17 :: v_dual_fmac_f32 v6, v4, v4
	s_delay_alu instid0(VALU_DEP_3) | instskip(NEXT) | instid1(VALU_DEP_2)
	v_cmp_le_u32_e32 vcc_lo, s8, v1
	v_fmac_f32_e32 v6, v5, v5
	s_or_not1_b32 s25, vcc_lo, exec_lo
	s_delay_alu instid0(VALU_DEP_1)
	v_fmac_f32_e32 v6, v3, v3
	s_branch .LBB18_2
.LBB18_9:
	s_or_b32 exec_lo, exec_lo, s9
.LBB18_10:
	s_delay_alu instid0(SALU_CYCLE_1) | instskip(SKIP_4) | instid1(VALU_DEP_2)
	s_or_b32 exec_lo, exec_lo, s3
	v_mbcnt_lo_u32_b32 v1, -1, 0
	s_load_b32 s3, s[20:21], 0xc
	v_and_b32_e32 v7, 0x3e0, v0
	s_mov_b32 s9, exec_lo
	v_cmp_ne_u32_e32 vcc_lo, 31, v1
	v_add_nc_u32_e32 v3, 1, v1
	v_add_co_ci_u32_e32 v2, vcc_lo, 0, v1, vcc_lo
	v_cmp_gt_u32_e32 vcc_lo, 30, v1
	s_delay_alu instid0(VALU_DEP_2)
	v_lshlrev_b32_e32 v2, 2, v2
	v_cndmask_b32_e64 v5, 0, 1, vcc_lo
	ds_bpermute_b32 v4, v2, v6
	s_waitcnt lgkmcnt(0)
	s_and_b32 s3, s3, 0xffff
	v_lshlrev_b32_e32 v5, 1, v5
	v_sub_nc_u32_e64 v12, s3, v7 clamp
	s_delay_alu instid0(VALU_DEP_1) | instskip(SKIP_1) | instid1(VALU_DEP_4)
	v_cmp_lt_u32_e32 vcc_lo, v3, v12
	v_add_f32_e32 v7, v6, v4
	v_add_lshl_u32 v4, v5, v1, 2
	s_delay_alu instid0(VALU_DEP_2) | instskip(SKIP_2) | instid1(VALU_DEP_1)
	v_cndmask_b32_e32 v7, v6, v7, vcc_lo
	v_cmp_gt_u32_e32 vcc_lo, 28, v1
	v_cndmask_b32_e64 v5, 0, 1, vcc_lo
	v_lshlrev_b32_e32 v8, 2, v5
	ds_bpermute_b32 v6, v4, v7
	v_add_nc_u32_e32 v5, 2, v1
	s_delay_alu instid0(VALU_DEP_1) | instskip(SKIP_3) | instid1(VALU_DEP_2)
	v_cmp_lt_u32_e32 vcc_lo, v5, v12
	s_waitcnt lgkmcnt(0)
	v_add_f32_e32 v9, v7, v6
	v_add_lshl_u32 v6, v8, v1, 2
	v_cndmask_b32_e32 v9, v7, v9, vcc_lo
	v_cmp_gt_u32_e32 vcc_lo, 24, v1
	ds_bpermute_b32 v8, v6, v9
	v_cndmask_b32_e64 v7, 0, 1, vcc_lo
	s_delay_alu instid0(VALU_DEP_1) | instskip(SKIP_1) | instid1(VALU_DEP_1)
	v_lshlrev_b32_e32 v10, 3, v7
	v_add_nc_u32_e32 v7, 4, v1
	v_cmp_lt_u32_e32 vcc_lo, v7, v12
	s_waitcnt lgkmcnt(0)
	v_add_f32_e32 v11, v9, v8
	v_add_lshl_u32 v8, v10, v1, 2
	s_delay_alu instid0(VALU_DEP_2) | instskip(SKIP_3) | instid1(VALU_DEP_1)
	v_cndmask_b32_e32 v11, v9, v11, vcc_lo
	v_cmp_gt_u32_e32 vcc_lo, 16, v1
	ds_bpermute_b32 v10, v8, v11
	v_cndmask_b32_e64 v9, 0, 1, vcc_lo
	v_lshlrev_b32_e32 v13, 4, v9
	v_add_nc_u32_e32 v9, 8, v1
	s_delay_alu instid0(VALU_DEP_1) | instskip(SKIP_3) | instid1(VALU_DEP_2)
	v_cmp_lt_u32_e32 vcc_lo, v9, v12
	s_waitcnt lgkmcnt(0)
	v_add_f32_e32 v14, v11, v10
	v_add_lshl_u32 v10, v13, v1, 2
	v_cndmask_b32_e32 v13, v11, v14, vcc_lo
	v_add_nc_u32_e32 v11, 16, v1
	ds_bpermute_b32 v14, v10, v13
	v_cmp_lt_u32_e32 vcc_lo, v11, v12
	s_waitcnt lgkmcnt(0)
	v_add_f32_e32 v14, v13, v14
	s_delay_alu instid0(VALU_DEP_1)
	v_cndmask_b32_e32 v12, v13, v14, vcc_lo
	v_cmpx_eq_u32_e32 0, v1
	s_cbranch_execz .LBB18_12
; %bb.11:
	v_lshrrev_b32_e32 v13, 3, v0
	s_delay_alu instid0(VALU_DEP_1)
	v_and_b32_e32 v13, 0x7c, v13
	ds_store_b32 v13, v12 offset:4096
.LBB18_12:
	s_or_b32 exec_lo, exec_lo, s9
	s_delay_alu instid0(SALU_CYCLE_1)
	s_mov_b32 s9, exec_lo
	s_waitcnt lgkmcnt(0)
	s_barrier
	buffer_gl0_inv
	v_cmpx_gt_u32_e32 32, v0
	s_cbranch_execz .LBB18_14
; %bb.13:
	v_lshlrev_b32_e32 v1, 2, v1
	s_add_i32 s3, s3, 31
	s_delay_alu instid0(SALU_CYCLE_1) | instskip(NEXT) | instid1(SALU_CYCLE_1)
	s_lshr_b32 s3, s3, 5
	v_cmp_gt_u32_e32 vcc_lo, s3, v3
	ds_load_b32 v1, v1 offset:4096
	s_waitcnt lgkmcnt(0)
	ds_bpermute_b32 v2, v2, v1
	s_waitcnt lgkmcnt(0)
	v_add_f32_e32 v2, v1, v2
	s_delay_alu instid0(VALU_DEP_1) | instskip(SKIP_4) | instid1(VALU_DEP_1)
	v_cndmask_b32_e32 v1, v1, v2, vcc_lo
	v_cmp_gt_u32_e32 vcc_lo, s3, v5
	ds_bpermute_b32 v2, v4, v1
	s_waitcnt lgkmcnt(0)
	v_add_f32_e32 v2, v1, v2
	v_cndmask_b32_e32 v1, v1, v2, vcc_lo
	v_cmp_gt_u32_e32 vcc_lo, s3, v7
	ds_bpermute_b32 v2, v6, v1
	s_waitcnt lgkmcnt(0)
	v_add_f32_e32 v2, v1, v2
	s_delay_alu instid0(VALU_DEP_1) | instskip(SKIP_4) | instid1(VALU_DEP_1)
	v_cndmask_b32_e32 v1, v1, v2, vcc_lo
	v_cmp_gt_u32_e32 vcc_lo, s3, v9
	ds_bpermute_b32 v2, v8, v1
	s_waitcnt lgkmcnt(0)
	v_add_f32_e32 v2, v1, v2
	v_cndmask_b32_e32 v1, v1, v2, vcc_lo
	v_cmp_gt_u32_e32 vcc_lo, s3, v11
	ds_bpermute_b32 v2, v10, v1
	s_waitcnt lgkmcnt(0)
	v_add_f32_e32 v2, v1, v2
	s_delay_alu instid0(VALU_DEP_1)
	v_cndmask_b32_e32 v12, v1, v2, vcc_lo
.LBB18_14:
	s_or_b32 exec_lo, exec_lo, s9
	s_delay_alu instid0(SALU_CYCLE_1)
	s_mov_b32 s3, exec_lo
	v_cmpx_eq_u32_e32 0, v0
	s_cbranch_execz .LBB18_16
; %bb.15:
	v_cvt_f32_i32_e32 v1, s18
	s_delay_alu instid0(VALU_DEP_1) | instskip(SKIP_1) | instid1(VALU_DEP_2)
	v_div_scale_f32 v2, null, v1, v1, v12
	v_div_scale_f32 v5, vcc_lo, v12, v1, v12
	v_rcp_f32_e32 v3, v2
	s_waitcnt_depctr 0xfff
	v_fma_f32 v4, -v2, v3, 1.0
	s_delay_alu instid0(VALU_DEP_1) | instskip(NEXT) | instid1(VALU_DEP_1)
	v_fmac_f32_e32 v3, v4, v3
	v_mul_f32_e32 v4, v5, v3
	s_delay_alu instid0(VALU_DEP_1) | instskip(NEXT) | instid1(VALU_DEP_1)
	v_fma_f32 v6, -v2, v4, v5
	v_fmac_f32_e32 v4, v6, v3
	s_delay_alu instid0(VALU_DEP_1) | instskip(NEXT) | instid1(VALU_DEP_1)
	v_fma_f32 v2, -v2, v4, v5
	v_div_fmas_f32 v2, v2, v3, v4
	s_delay_alu instid0(VALU_DEP_1) | instskip(NEXT) | instid1(VALU_DEP_1)
	v_div_fixup_f32 v1, v2, v1, v12
	v_add_f32_e32 v1, s12, v1
	s_delay_alu instid0(VALU_DEP_1) | instskip(SKIP_1) | instid1(VALU_DEP_2)
	v_mul_f32_e32 v2, 0x4b800000, v1
	v_cmp_gt_f32_e32 vcc_lo, 0x800000, v1
	v_cndmask_b32_e32 v1, v1, v2, vcc_lo
	s_delay_alu instid0(VALU_DEP_1) | instskip(SKIP_2) | instid1(VALU_DEP_1)
	v_rsq_f32_e32 v1, v1
	s_waitcnt_depctr 0xfff
	v_mul_f32_e32 v2, 0x45800000, v1
	v_dual_cndmask_b32 v1, v1, v2 :: v_dual_mov_b32 v2, 0
	ds_store_b32 v2, v1 offset:4224
.LBB18_16:
	s_or_b32 exec_lo, exec_lo, s3
	s_ashr_i32 s3, s18, 31
	v_mov_b32_e32 v4, 0
	s_lshr_b32 s3, s3, 25
	s_waitcnt lgkmcnt(0)
	s_add_i32 s3, s18, s3
	s_barrier
	s_ashr_i32 s12, s3, 7
	s_cmp_lt_u32 s16, s34
	buffer_gl0_inv
	s_cselect_b32 s9, 12, 18
	ds_load_b32 v28, v4 offset:4224
	s_add_u32 s20, s20, s9
	s_addc_u32 s21, s21, 0
	s_abs_i32 s9, s12
	global_load_u16 v1, v4, s[20:21]
	v_cvt_f32_u32_e32 v2, s9
	s_sub_i32 s20, 0, s9
	s_ashr_i32 s3, s3, 31
	s_delay_alu instid0(VALU_DEP_1) | instskip(SKIP_2) | instid1(VALU_DEP_1)
	v_rcp_iflag_f32_e32 v2, v2
	s_waitcnt_depctr 0xfff
	v_mul_f32_e32 v2, 0x4f7ffffe, v2
	v_cvt_u32_f32_e32 v2, v2
	s_delay_alu instid0(VALU_DEP_1) | instskip(NEXT) | instid1(VALU_DEP_1)
	v_readfirstlane_b32 s13, v2
	s_mul_i32 s20, s20, s13
	s_delay_alu instid0(SALU_CYCLE_1) | instskip(NEXT) | instid1(SALU_CYCLE_1)
	s_mul_hi_u32 s20, s13, s20
	s_add_i32 s13, s13, s20
	s_waitcnt vmcnt(0)
	v_readfirstlane_b32 s33, v1
	s_delay_alu instid0(VALU_DEP_1) | instskip(NEXT) | instid1(SALU_CYCLE_1)
	s_mul_hi_u32 s13, s33, s13
	s_mul_i32 s20, s13, s9
	s_add_i32 s21, s13, 1
	s_sub_i32 s20, s33, s20
	s_delay_alu instid0(SALU_CYCLE_1)
	s_sub_i32 s22, s20, s9
	s_cmp_ge_u32 s20, s9
	s_cselect_b32 s13, s21, s13
	s_cselect_b32 s20, s22, s20
	s_add_i32 s21, s13, 1
	s_cmp_ge_u32 s20, s9
	s_cselect_b32 s9, s21, s13
	s_delay_alu instid0(SALU_CYCLE_1) | instskip(NEXT) | instid1(SALU_CYCLE_1)
	s_xor_b32 s9, s9, s3
	s_sub_i32 s20, s9, s3
	s_delay_alu instid0(SALU_CYCLE_1) | instskip(SKIP_3) | instid1(VALU_DEP_1)
	s_abs_i32 s3, s20
	s_ashr_i32 s21, s20, 31
	v_cvt_f32_u32_e32 v1, s3
	s_sub_i32 s9, 0, s3
	v_rcp_iflag_f32_e32 v1, v1
	s_waitcnt_depctr 0xfff
	v_mul_f32_e32 v1, 0x4f7ffffe, v1
	s_delay_alu instid0(VALU_DEP_1) | instskip(NEXT) | instid1(VALU_DEP_1)
	v_cvt_u32_f32_e32 v1, v1
	v_mul_lo_u32 v2, s9, v1
	s_ashr_i32 s9, s8, 31
	s_delay_alu instid0(VALU_DEP_1) | instskip(NEXT) | instid1(VALU_DEP_1)
	v_mul_hi_u32 v2, v1, v2
	v_add_nc_u32_e32 v1, v1, v2
	s_delay_alu instid0(VALU_DEP_1) | instskip(NEXT) | instid1(VALU_DEP_1)
	v_mul_hi_u32 v1, v0, v1
	v_mul_lo_u32 v2, v1, s3
	v_add_nc_u32_e32 v3, 1, v1
	s_delay_alu instid0(VALU_DEP_2) | instskip(NEXT) | instid1(VALU_DEP_1)
	v_sub_nc_u32_e32 v2, v0, v2
	v_subrev_nc_u32_e32 v5, s3, v2
	v_cmp_le_u32_e32 vcc_lo, s3, v2
	s_delay_alu instid0(VALU_DEP_2) | instskip(NEXT) | instid1(VALU_DEP_1)
	v_dual_cndmask_b32 v2, v2, v5 :: v_dual_cndmask_b32 v1, v1, v3
	v_cmp_le_u32_e32 vcc_lo, s3, v2
	s_delay_alu instid0(VALU_DEP_2) | instskip(NEXT) | instid1(VALU_DEP_1)
	v_add_nc_u32_e32 v3, 1, v1
	v_cndmask_b32_e32 v1, v1, v3, vcc_lo
	s_delay_alu instid0(VALU_DEP_1) | instskip(NEXT) | instid1(VALU_DEP_1)
	v_xor_b32_e32 v1, s21, v1
	v_subrev_nc_u32_e32 v1, s21, v1
	s_delay_alu instid0(VALU_DEP_1) | instskip(SKIP_1) | instid1(VALU_DEP_2)
	v_ashrrev_i32_e32 v2, 31, v1
	v_mul_lo_u32 v3, v1, s20
	v_lshlrev_b64 v[7:8], 5, v[1:2]
	s_delay_alu instid0(VALU_DEP_2) | instskip(NEXT) | instid1(VALU_DEP_2)
	v_sub_nc_u32_e32 v3, v0, v3
	v_add_co_u32 v5, vcc_lo, v7, 32
	s_delay_alu instid0(VALU_DEP_3) | instskip(NEXT) | instid1(VALU_DEP_1)
	v_add_co_ci_u32_e32 v6, vcc_lo, 0, v8, vcc_lo
	v_cmp_gt_i64_e32 vcc_lo, s[8:9], v[5:6]
	v_cndmask_b32_e32 v6, s9, v6, vcc_lo
	v_cndmask_b32_e32 v5, s8, v5, vcc_lo
	v_add_co_u32 v7, vcc_lo, v7, v3
	v_add_co_ci_u32_e32 v8, vcc_lo, 0, v8, vcc_lo
	s_delay_alu instid0(VALU_DEP_3) | instskip(SKIP_2) | instid1(VALU_DEP_1)
	v_ashrrev_i32_e32 v10, 31, v5
	v_mov_b32_e32 v9, v5
	s_mov_b32 s9, exec_lo
	v_cmpx_lt_i64_e64 v[7:8], v[9:10]
	s_cbranch_execz .LBB18_26
; %bb.17:
	v_lshlrev_b64 v[11:12], 9, v[1:2]
	v_lshlrev_b64 v[13:14], 4, v[3:4]
	v_mov_b32_e32 v4, 0
	s_lshl_b64 s[22:23], s[20:21], 6
	s_mul_hi_i32 s13, s20, 3
	s_mul_i32 s35, s20, 3
	s_lshl_b64 s[24:25], s[20:21], 1
	v_add_co_u32 v21, vcc_lo, v11, v13
	v_add_co_ci_u32_e32 v22, vcc_lo, v12, v14, vcc_lo
	v_dual_mov_b32 v12, v8 :: v_dual_mov_b32 v11, v7
	s_lshl_b64 s[26:27], s[20:21], 4
	s_mov_b32 s36, 0
                                        ; implicit-def: $sgpr37
	s_branch .LBB18_21
.LBB18_18:                              ;   in Loop: Header=BB18_21 Depth=1
	s_or_b32 exec_lo, exec_lo, s40
	s_delay_alu instid0(SALU_CYCLE_1)
	s_or_not1_b32 s3, s3, exec_lo
.LBB18_19:                              ;   in Loop: Header=BB18_21 Depth=1
	s_or_b32 exec_lo, exec_lo, s39
	s_delay_alu instid0(SALU_CYCLE_1) | instskip(SKIP_1) | instid1(SALU_CYCLE_1)
	s_and_not1_b32 s37, s37, exec_lo
	s_and_b32 s3, s3, exec_lo
	s_or_b32 s37, s37, s3
.LBB18_20:                              ;   in Loop: Header=BB18_21 Depth=1
	s_or_b32 exec_lo, exec_lo, s38
	s_delay_alu instid0(SALU_CYCLE_1) | instskip(NEXT) | instid1(SALU_CYCLE_1)
	s_and_b32 s3, exec_lo, s37
	s_or_b32 s36, s3, s36
	s_delay_alu instid0(SALU_CYCLE_1)
	s_and_not1_b32 exec_lo, exec_lo, s36
	s_cbranch_execz .LBB18_25
.LBB18_21:                              ; =>This Inner Loop Header: Depth=1
	v_add_co_u32 v15, vcc_lo, s28, v21
	v_add_co_ci_u32_e32 v16, vcc_lo, s29, v22, vcc_lo
	v_add_co_u32 v19, vcc_lo, s30, v21
	v_add_co_ci_u32_e32 v20, vcc_lo, s31, v22, vcc_lo
	v_add_co_u32 v17, vcc_lo, s10, v21
	global_load_b128 v[23:26], v[15:16], off
	global_load_b128 v[29:32], v[19:20], off
	v_add_co_ci_u32_e32 v18, vcc_lo, s11, v22, vcc_lo
	s_or_b32 s37, s37, exec_lo
	s_mov_b32 s38, exec_lo
	global_load_b128 v[33:36], v[17:18], off
	s_waitcnt vmcnt(1)
	v_dual_add_f32 v13, v23, v29 :: v_dual_add_f32 v14, v24, v30
	v_dual_add_f32 v23, v25, v31 :: v_dual_add_f32 v24, v26, v32
	s_waitcnt lgkmcnt(0)
	s_delay_alu instid0(VALU_DEP_2) | instskip(NEXT) | instid1(VALU_DEP_3)
	v_mul_f32_e32 v14, v28, v14
	v_mul_f32_e32 v13, v28, v13
	s_delay_alu instid0(VALU_DEP_3) | instskip(SKIP_2) | instid1(VALU_DEP_3)
	v_mul_f32_e32 v23, v28, v23
	v_mul_f32_e32 v24, v28, v24
	s_waitcnt vmcnt(0)
	v_dual_mul_f32 v26, v34, v14 :: v_dual_mul_f32 v25, v33, v13
	s_delay_alu instid0(VALU_DEP_2) | instskip(SKIP_1) | instid1(VALU_DEP_3)
	v_dual_mul_f32 v23, v35, v23 :: v_dual_mul_f32 v24, v36, v24
	v_add_co_u32 v13, vcc_lo, v11, s20
	v_max3_f32 v4, v4, |v25|, |v26|
	v_add_co_ci_u32_e32 v14, vcc_lo, s21, v12, vcc_lo
	s_delay_alu instid0(VALU_DEP_2) | instskip(NEXT) | instid1(VALU_DEP_2)
	v_max3_f32 v4, v4, |v23|, |v24|
	v_cmpx_lt_i64_e64 v[13:14], v[9:10]
	s_cbranch_execz .LBB18_20
; %bb.22:                               ;   in Loop: Header=BB18_21 Depth=1
	v_add_co_u32 v15, vcc_lo, v15, s26
	v_add_co_ci_u32_e32 v16, vcc_lo, s27, v16, vcc_lo
	v_add_co_u32 v19, vcc_lo, v19, s26
	v_add_co_ci_u32_e32 v20, vcc_lo, s27, v20, vcc_lo
	v_add_co_u32 v17, vcc_lo, v17, s26
	global_load_b128 v[23:26], v[15:16], off
	global_load_b128 v[29:32], v[19:20], off
	v_add_co_ci_u32_e32 v18, vcc_lo, s27, v18, vcc_lo
	s_mov_b32 s3, -1
	s_mov_b32 s39, exec_lo
	global_load_b128 v[33:36], v[17:18], off
	s_waitcnt vmcnt(1)
	v_dual_add_f32 v23, v23, v29 :: v_dual_add_f32 v24, v24, v30
	v_dual_add_f32 v25, v25, v31 :: v_dual_add_f32 v26, v26, v32
	s_delay_alu instid0(VALU_DEP_2) | instskip(NEXT) | instid1(VALU_DEP_3)
	v_mul_f32_e32 v23, v28, v23
	v_mul_f32_e32 v24, v28, v24
	s_delay_alu instid0(VALU_DEP_3) | instskip(SKIP_1) | instid1(VALU_DEP_3)
	v_mul_f32_e32 v25, v28, v25
	s_waitcnt vmcnt(0)
	v_dual_mul_f32 v27, v33, v23 :: v_dual_mul_f32 v26, v28, v26
	s_delay_alu instid0(VALU_DEP_3) | instskip(NEXT) | instid1(VALU_DEP_3)
	v_mul_f32_e32 v29, v34, v24
	v_mul_f32_e32 v25, v35, v25
	v_add_co_u32 v23, vcc_lo, s24, v11
	s_delay_alu instid0(VALU_DEP_4) | instskip(NEXT) | instid1(VALU_DEP_4)
	v_mul_f32_e32 v26, v36, v26
	v_max3_f32 v4, v4, |v27|, |v29|
	v_add_co_ci_u32_e32 v24, vcc_lo, s25, v12, vcc_lo
	s_delay_alu instid0(VALU_DEP_2) | instskip(NEXT) | instid1(VALU_DEP_2)
	v_max3_f32 v4, v4, |v25|, |v26|
	v_cmpx_lt_i64_e64 v[23:24], v[9:10]
	s_cbranch_execz .LBB18_19
; %bb.23:                               ;   in Loop: Header=BB18_21 Depth=1
	v_add_co_u32 v15, vcc_lo, v15, s26
	v_add_co_ci_u32_e32 v16, vcc_lo, s27, v16, vcc_lo
	v_add_co_u32 v19, vcc_lo, v19, s26
	v_add_co_ci_u32_e32 v20, vcc_lo, s27, v20, vcc_lo
	v_add_co_u32 v17, vcc_lo, v17, s26
	global_load_b128 v[23:26], v[15:16], off
	global_load_b128 v[29:32], v[19:20], off
	v_add_co_ci_u32_e32 v18, vcc_lo, s27, v18, vcc_lo
	v_add_co_u32 v11, vcc_lo, s35, v11
	v_add_co_ci_u32_e32 v12, vcc_lo, s13, v12, vcc_lo
	global_load_b128 v[33:36], v[17:18], off
	v_cmp_lt_i64_e32 vcc_lo, v[11:12], v[9:10]
                                        ; implicit-def: $vgpr11_vgpr12
	s_waitcnt vmcnt(1)
	v_dual_add_f32 v23, v23, v29 :: v_dual_add_f32 v24, v24, v30
	v_dual_add_f32 v25, v25, v31 :: v_dual_add_f32 v26, v26, v32
	s_delay_alu instid0(VALU_DEP_2) | instskip(NEXT) | instid1(VALU_DEP_3)
	v_mul_f32_e32 v24, v28, v24
	v_mul_f32_e32 v23, v28, v23
	s_delay_alu instid0(VALU_DEP_3) | instskip(NEXT) | instid1(VALU_DEP_4)
	v_mul_f32_e32 v25, v28, v25
	v_mul_f32_e32 v26, v28, v26
	s_waitcnt vmcnt(0)
	s_delay_alu instid0(VALU_DEP_3) | instskip(NEXT) | instid1(VALU_DEP_3)
	v_dual_mul_f32 v24, v34, v24 :: v_dual_mul_f32 v23, v33, v23
	v_mul_f32_e32 v25, v35, v25
	s_delay_alu instid0(VALU_DEP_2) | instskip(SKIP_1) | instid1(VALU_DEP_1)
	v_max3_f32 v4, v4, |v23|, |v24|
	v_mul_f32_e32 v23, v36, v26
	v_max3_f32 v4, v4, |v25|, |v23|
	s_and_saveexec_b32 s40, vcc_lo
	s_delay_alu instid0(SALU_CYCLE_1)
	s_xor_b32 s40, exec_lo, s40
	s_cbranch_execz .LBB18_18
; %bb.24:                               ;   in Loop: Header=BB18_21 Depth=1
	v_add_co_u32 v11, vcc_lo, v15, s26
	v_add_co_ci_u32_e32 v12, vcc_lo, s27, v16, vcc_lo
	v_add_co_u32 v15, vcc_lo, v19, s26
	v_add_co_ci_u32_e32 v16, vcc_lo, s27, v20, vcc_lo
	s_add_u32 s3, s20, s20
	global_load_b128 v[23:26], v[11:12], off
	global_load_b128 v[29:32], v[15:16], off
	v_add_co_u32 v11, vcc_lo, v17, s26
	v_add_co_ci_u32_e32 v12, vcc_lo, s27, v18, vcc_lo
	s_addc_u32 s41, s21, s21
	s_add_u32 s3, s3, s20
	s_addc_u32 s41, s41, s21
	global_load_b128 v[15:18], v[11:12], off
	s_waitcnt vmcnt(1)
	v_dual_add_f32 v11, v23, v29 :: v_dual_add_f32 v12, v24, v30
	v_dual_add_f32 v19, v25, v31 :: v_dual_add_f32 v20, v26, v32
	s_delay_alu instid0(VALU_DEP_1) | instskip(NEXT) | instid1(VALU_DEP_2)
	v_mul_f32_e32 v19, v28, v19
	v_mul_f32_e32 v20, v28, v20
	s_delay_alu instid0(VALU_DEP_4) | instskip(SKIP_1) | instid1(VALU_DEP_1)
	v_mul_f32_e32 v11, v28, v11
	s_waitcnt vmcnt(0)
	v_dual_mul_f32 v12, v28, v12 :: v_dual_mul_f32 v15, v15, v11
	s_delay_alu instid0(VALU_DEP_1) | instskip(SKIP_3) | instid1(VALU_DEP_4)
	v_mul_f32_e32 v16, v16, v12
	v_add_co_u32 v11, vcc_lo, s3, v13
	v_add_co_ci_u32_e32 v12, vcc_lo, s41, v14, vcc_lo
	v_dual_mul_f32 v13, v17, v19 :: v_dual_mul_f32 v14, v18, v20
	v_max3_f32 v4, v4, |v15|, |v16|
	s_delay_alu instid0(VALU_DEP_3) | instskip(SKIP_1) | instid1(VALU_DEP_1)
	v_cmp_ge_i64_e32 vcc_lo, v[11:12], v[9:10]
	v_add_co_u32 v21, s3, v21, s22
	v_add_co_ci_u32_e64 v22, s3, s23, v22, s3
	s_delay_alu instid0(VALU_DEP_4)
	v_max3_f32 v4, v4, |v13|, |v14|
	s_or_not1_b32 s3, vcc_lo, exec_lo
	s_branch .LBB18_18
.LBB18_25:
	s_or_b32 exec_lo, exec_lo, s36
.LBB18_26:
	s_delay_alu instid0(SALU_CYCLE_1)
	s_or_b32 exec_lo, exec_lo, s9
	s_lshr_b32 s9, s33, 5
	v_lshlrev_b32_e32 v29, 2, v0
	v_cvt_f32_u32_e32 v9, s9
	s_sub_i32 s13, 0, s9
	s_add_i32 s22, s12, s9
	s_delay_alu instid0(SALU_CYCLE_1) | instskip(NEXT) | instid1(VALU_DEP_1)
	s_add_i32 s22, s22, -1
	v_rcp_iflag_f32_e32 v9, v9
	s_abs_i32 s23, s22
	s_ashr_i32 s22, s22, 31
	ds_store_b32 v29, v4
	s_waitcnt lgkmcnt(0)
	s_barrier
	buffer_gl0_inv
	v_mul_f32_e32 v9, 0x4f7ffffe, v9
	s_delay_alu instid0(VALU_DEP_1) | instskip(NEXT) | instid1(VALU_DEP_1)
	v_cvt_u32_f32_e32 v9, v9
	v_readfirstlane_b32 s3, v9
	s_delay_alu instid0(VALU_DEP_1) | instskip(NEXT) | instid1(SALU_CYCLE_1)
	s_mul_i32 s13, s13, s3
	s_mul_hi_u32 s13, s3, s13
	s_delay_alu instid0(SALU_CYCLE_1) | instskip(NEXT) | instid1(SALU_CYCLE_1)
	s_add_i32 s3, s3, s13
	s_mul_hi_u32 s3, s23, s3
	s_delay_alu instid0(SALU_CYCLE_1) | instskip(NEXT) | instid1(SALU_CYCLE_1)
	s_mul_i32 s13, s3, s9
	s_sub_i32 s13, s23, s13
	s_add_i32 s23, s3, 1
	s_sub_i32 s24, s13, s9
	s_cmp_ge_u32 s13, s9
	s_cselect_b32 s3, s23, s3
	s_cselect_b32 s13, s24, s13
	s_add_i32 s23, s3, 1
	s_cmp_ge_u32 s13, s9
	s_cselect_b32 s3, s23, s3
	s_delay_alu instid0(SALU_CYCLE_1) | instskip(NEXT) | instid1(SALU_CYCLE_1)
	s_xor_b32 s3, s3, s22
	s_sub_i32 s22, s3, s22
	s_delay_alu instid0(SALU_CYCLE_1) | instskip(NEXT) | instid1(SALU_CYCLE_1)
	s_ashr_i32 s23, s22, 31
	v_cmp_lt_i64_e64 s3, s[22:23], 1
	s_delay_alu instid0(VALU_DEP_1)
	s_and_b32 vcc_lo, exec_lo, s3
	s_cbranch_vccnz .LBB18_46
; %bb.27:
	v_lshrrev_b32_e32 v9, 5, v0
	v_and_b32_e32 v4, 31, v0
	s_ashr_i32 s13, s12, 31
	s_mov_b64 s[24:25], 0
	s_mov_b64 s[26:27], src_shared_base
	v_mul_lo_u32 v19, s20, v9
	v_add_co_u32 v11, s3, v4, 16
	s_delay_alu instid0(VALU_DEP_1) | instskip(SKIP_1) | instid1(VALU_DEP_1)
	v_add_co_ci_u32_e64 v12, null, 0, 0, s3
	v_add_co_u32 v13, s3, v4, 8
	v_add_co_ci_u32_e64 v14, null, 0, 0, s3
	v_add_co_u32 v15, s3, v4, 4
	v_dual_mov_b32 v10, 0 :: v_dual_lshlrev_b32 v21, 2, v19
	v_lshlrev_b32_e32 v22, 2, v4
	v_add_co_ci_u32_e64 v16, null, 0, 0, s3
	v_add_co_u32 v17, s3, v4, 2
	s_delay_alu instid0(VALU_DEP_1) | instskip(SKIP_1) | instid1(VALU_DEP_1)
	v_add_co_ci_u32_e64 v18, null, 0, 0, s3
	v_add_co_u32 v19, s3, v4, 1
	v_add_co_ci_u32_e64 v20, null, 0, 0, s3
	v_add3_u32 v30, v21, v22, 0x80
	s_mul_i32 s3, s20, s9
	s_delay_alu instid0(SALU_CYCLE_1)
	s_lshl_b32 s35, s3, 2
	s_branch .LBB18_30
.LBB18_28:                              ;   in Loop: Header=BB18_30 Depth=1
	s_or_b32 exec_lo, exec_lo, s3
	v_mov_b32_e32 v22, s27
	flat_load_b32 v21, v[21:22] glc dlc
	s_waitcnt vmcnt(0)
.LBB18_29:                              ;   in Loop: Header=BB18_30 Depth=1
	s_or_b32 exec_lo, exec_lo, s26
	s_add_u32 s24, s24, 1
	v_add_nc_u32_e32 v30, s35, v30
	s_addc_u32 s25, s25, 0
	s_delay_alu instid0(SALU_CYCLE_1)
	s_cmp_eq_u64 s[24:25], s[22:23]
	s_cbranch_scc1 .LBB18_46
.LBB18_30:                              ; =>This Loop Header: Depth=1
                                        ;     Child Loop BB18_33 Depth 2
	s_waitcnt lgkmcnt(0)
	v_mad_u64_u32 v[21:22], null, s24, s9, v[9:10]
	s_mov_b32 s26, exec_lo
	s_delay_alu instid0(VALU_DEP_1) | instskip(NEXT) | instid1(VALU_DEP_1)
	v_mad_u64_u32 v[23:24], null, s25, s9, v[22:23]
	v_mov_b32_e32 v22, v23
	s_delay_alu instid0(VALU_DEP_1)
	v_cmpx_gt_i64_e64 s[12:13], v[21:22]
	s_cbranch_execz .LBB18_29
; %bb.31:                               ;   in Loop: Header=BB18_30 Depth=1
	v_mul_lo_u32 v24, v22, s20
	v_mul_lo_u32 v25, v21, s21
	v_mad_u64_u32 v[22:23], null, v21, s20, 0
	s_delay_alu instid0(VALU_DEP_1) | instskip(NEXT) | instid1(VALU_DEP_2)
	v_add3_u32 v23, v23, v25, v24
	v_add_co_u32 v24, vcc_lo, v22, s20
	v_add_co_u32 v31, s3, v22, v4
	s_delay_alu instid0(VALU_DEP_3) | instskip(SKIP_2) | instid1(VALU_DEP_2)
	v_add_co_ci_u32_e32 v25, vcc_lo, s21, v23, vcc_lo
	v_add_co_ci_u32_e64 v21, s3, 0, v23, s3
	s_mov_b32 s3, exec_lo
	v_cmp_gt_i64_e32 vcc_lo, s[18:19], v[24:25]
	v_cndmask_b32_e32 v25, s19, v25, vcc_lo
	v_cndmask_b32_e32 v24, s18, v24, vcc_lo
	v_add_co_u32 v26, vcc_lo, v31, 32
	v_add_co_ci_u32_e32 v27, vcc_lo, 0, v21, vcc_lo
	v_lshlrev_b32_e32 v21, 2, v31
	s_delay_alu instid0(VALU_DEP_2)
	v_cmpx_lt_i64_e64 v[26:27], v[24:25]
	s_cbranch_execz .LBB18_34
; %bb.32:                               ;   in Loop: Header=BB18_30 Depth=1
	ds_load_b32 v33, v21
	v_mov_b32_e32 v32, v30
	s_mov_b32 s36, 0
.LBB18_33:                              ;   Parent Loop BB18_30 Depth=1
                                        ; =>  This Inner Loop Header: Depth=2
	ds_load_b32 v34, v32
	v_add_co_u32 v26, vcc_lo, v26, 32
	v_add_co_ci_u32_e32 v27, vcc_lo, 0, v27, vcc_lo
	s_waitcnt lgkmcnt(1)
	v_dual_max_f32 v33, v33, v33 :: v_dual_add_nc_u32 v32, 0x80, v32
	s_delay_alu instid0(VALU_DEP_2) | instskip(SKIP_3) | instid1(VALU_DEP_1)
	v_cmp_ge_i64_e32 vcc_lo, v[26:27], v[24:25]
	s_or_b32 s36, vcc_lo, s36
	s_waitcnt lgkmcnt(0)
	v_max_f32_e32 v34, v34, v34
	v_max_f32_e32 v33, v33, v34
	ds_store_b32 v21, v33
	s_and_not1_b32 exec_lo, exec_lo, s36
	s_cbranch_execnz .LBB18_33
.LBB18_34:                              ;   in Loop: Header=BB18_30 Depth=1
	s_or_b32 exec_lo, exec_lo, s3
	v_sub_co_u32 v22, vcc_lo, v24, v22
	v_sub_co_ci_u32_e32 v23, vcc_lo, v25, v23, vcc_lo
	s_mov_b32 s3, exec_lo
	s_delay_alu instid0(VALU_DEP_1) | instskip(SKIP_1) | instid1(VALU_DEP_1)
	v_cmp_gt_i64_e32 vcc_lo, 32, v[22:23]
	v_dual_cndmask_b32 v24, 0, v23 :: v_dual_cndmask_b32 v23, 32, v22
	v_cmpx_lt_i64_e64 v[11:12], v[23:24]
	s_cbranch_execz .LBB18_36
; %bb.35:                               ;   in Loop: Header=BB18_30 Depth=1
	v_dual_mov_b32 v22, s27 :: v_dual_add_nc_u32 v25, 64, v21
	v_mov_b32_e32 v26, s27
	flat_load_b32 v27, v[21:22] glc dlc
	s_waitcnt vmcnt(0)
	flat_load_b32 v25, v[25:26] glc dlc
	s_waitcnt vmcnt(0) lgkmcnt(0)
	v_dual_max_f32 v26, v27, v27 :: v_dual_max_f32 v25, v25, v25
	s_delay_alu instid0(VALU_DEP_1)
	v_max_f32_e32 v25, v26, v25
	flat_store_b32 v[21:22], v25 dlc
	s_waitcnt_vscnt null, 0x0
.LBB18_36:                              ;   in Loop: Header=BB18_30 Depth=1
	s_or_b32 exec_lo, exec_lo, s3
	s_delay_alu instid0(SALU_CYCLE_1)
	s_mov_b32 s3, exec_lo
	v_cmpx_lt_i64_e64 v[13:14], v[23:24]
	s_cbranch_execz .LBB18_38
; %bb.37:                               ;   in Loop: Header=BB18_30 Depth=1
	v_dual_mov_b32 v22, s27 :: v_dual_add_nc_u32 v25, 32, v21
	v_mov_b32_e32 v26, s27
	flat_load_b32 v27, v[21:22] glc dlc
	s_waitcnt vmcnt(0)
	flat_load_b32 v25, v[25:26] glc dlc
	s_waitcnt vmcnt(0) lgkmcnt(0)
	v_dual_max_f32 v26, v27, v27 :: v_dual_max_f32 v25, v25, v25
	s_delay_alu instid0(VALU_DEP_1)
	v_max_f32_e32 v25, v26, v25
	flat_store_b32 v[21:22], v25 dlc
	s_waitcnt_vscnt null, 0x0
.LBB18_38:                              ;   in Loop: Header=BB18_30 Depth=1
	s_or_b32 exec_lo, exec_lo, s3
	s_delay_alu instid0(SALU_CYCLE_1)
	s_mov_b32 s3, exec_lo
	v_cmpx_ge_i64_e64 v[15:16], v[23:24]
	s_xor_b32 s3, exec_lo, s3
; %bb.39:                               ;   in Loop: Header=BB18_30 Depth=1
                                        ; implicit-def: $vgpr21
; %bb.40:                               ;   in Loop: Header=BB18_30 Depth=1
	s_delay_alu instid0(SALU_CYCLE_1)
	s_and_not1_saveexec_b32 s3, s3
	s_cbranch_execz .LBB18_42
; %bb.41:                               ;   in Loop: Header=BB18_30 Depth=1
	v_dual_mov_b32 v22, s27 :: v_dual_add_nc_u32 v25, 16, v21
	v_mov_b32_e32 v26, s27
	flat_load_b32 v27, v[21:22] glc dlc
	s_waitcnt vmcnt(0)
	flat_load_b32 v25, v[25:26] glc dlc
	s_waitcnt vmcnt(0) lgkmcnt(0)
	v_dual_max_f32 v26, v27, v27 :: v_dual_max_f32 v25, v25, v25
	s_delay_alu instid0(VALU_DEP_1)
	v_max_f32_e32 v25, v26, v25
	flat_store_b32 v[21:22], v25 dlc
	s_waitcnt_vscnt null, 0x0
.LBB18_42:                              ;   in Loop: Header=BB18_30 Depth=1
	s_or_b32 exec_lo, exec_lo, s3
	v_lshlrev_b32_e32 v21, 2, v31
	s_mov_b32 s3, exec_lo
	v_cmpx_lt_i64_e64 v[17:18], v[23:24]
	s_cbranch_execz .LBB18_44
; %bb.43:                               ;   in Loop: Header=BB18_30 Depth=1
	s_delay_alu instid0(VALU_DEP_2)
	v_dual_mov_b32 v22, s27 :: v_dual_add_nc_u32 v25, 8, v21
	v_mov_b32_e32 v26, s27
	flat_load_b32 v27, v[21:22] glc dlc
	s_waitcnt vmcnt(0)
	flat_load_b32 v25, v[25:26] glc dlc
	s_waitcnt vmcnt(0) lgkmcnt(0)
	v_dual_max_f32 v26, v27, v27 :: v_dual_max_f32 v25, v25, v25
	s_delay_alu instid0(VALU_DEP_1)
	v_max_f32_e32 v25, v26, v25
	flat_store_b32 v[21:22], v25 dlc
	s_waitcnt_vscnt null, 0x0
.LBB18_44:                              ;   in Loop: Header=BB18_30 Depth=1
	s_or_b32 exec_lo, exec_lo, s3
	s_delay_alu instid0(SALU_CYCLE_1)
	s_mov_b32 s3, exec_lo
	v_cmpx_lt_i64_e64 v[19:20], v[23:24]
	s_cbranch_execz .LBB18_28
; %bb.45:                               ;   in Loop: Header=BB18_30 Depth=1
	v_dual_mov_b32 v22, s27 :: v_dual_add_nc_u32 v23, 4, v21
	v_mov_b32_e32 v24, s27
	flat_load_b32 v25, v[21:22] glc dlc
	s_waitcnt vmcnt(0)
	flat_load_b32 v23, v[23:24] glc dlc
	s_waitcnt vmcnt(0) lgkmcnt(0)
	v_dual_max_f32 v24, v25, v25 :: v_dual_max_f32 v23, v23, v23
	s_delay_alu instid0(VALU_DEP_1)
	v_max_f32_e32 v23, v24, v23
	flat_store_b32 v[21:22], v23 dlc
	s_waitcnt_vscnt null, 0x0
	s_branch .LBB18_28
.LBB18_46:
	s_load_b64 s[12:13], s[0:1], 0x40
	v_cmp_lt_i64_e32 vcc_lo, v[7:8], v[5:6]
	v_cmp_eq_u32_e64 s3, 0, v3
	s_waitcnt lgkmcnt(0)
	s_barrier
	buffer_gl0_inv
	s_and_b32 s9, s3, vcc_lo
	s_delay_alu instid0(SALU_CYCLE_1)
	s_and_saveexec_b32 s3, s9
	s_cbranch_execz .LBB18_53
; %bb.47:
	s_load_b64 s[0:1], s[0:1], 0x20
	ds_load_b32 v5, v29
	s_waitcnt lgkmcnt(0)
	s_cmp_eq_u64 s[0:1], 0
	s_cbranch_scc1 .LBB18_49
; %bb.48:
	s_load_b32 s0, s[0:1], 0x0
	v_max_f32_e32 v3, v5, v5
	s_waitcnt lgkmcnt(0)
	v_max_f32_e64 v4, s0, s0
	s_delay_alu instid0(VALU_DEP_1)
	v_min_f32_e32 v5, v3, v4
.LBB18_49:
	s_add_u32 s0, s12, s34
	s_addc_u32 s1, s13, 0
	s_add_u32 s18, s0, -1
	s_addc_u32 s19, s1, -1
	s_delay_alu instid0(SALU_CYCLE_1) | instskip(SKIP_1) | instid1(SALU_CYCLE_1)
	s_or_b64 s[20:21], s[18:19], s[12:13]
	s_mov_b32 s20, 0
	s_cmp_lg_u64 s[20:21], 0
	s_cbranch_scc0 .LBB18_162
; %bb.50:
	s_ashr_i32 s0, s13, 31
	s_delay_alu instid0(SALU_CYCLE_1) | instskip(SKIP_2) | instid1(SALU_CYCLE_1)
	s_add_u32 s22, s12, s0
	s_mov_b32 s1, s0
	s_addc_u32 s23, s13, s0
	s_xor_b64 s[0:1], s[22:23], s[0:1]
	s_delay_alu instid0(SALU_CYCLE_1) | instskip(SKIP_3) | instid1(VALU_DEP_1)
	v_cvt_f32_u32_e32 v3, s0
	v_cvt_f32_u32_e32 v4, s1
	s_sub_u32 s22, 0, s0
	s_subb_u32 s23, 0, s1
	v_fmamk_f32 v3, v4, 0x4f800000, v3
	s_delay_alu instid0(VALU_DEP_1) | instskip(SKIP_2) | instid1(VALU_DEP_1)
	v_rcp_f32_e32 v3, v3
	s_waitcnt_depctr 0xfff
	v_mul_f32_e32 v3, 0x5f7ffffc, v3
	v_mul_f32_e32 v4, 0x2f800000, v3
	s_delay_alu instid0(VALU_DEP_1) | instskip(NEXT) | instid1(VALU_DEP_1)
	v_trunc_f32_e32 v4, v4
	v_fmamk_f32 v3, v4, 0xcf800000, v3
	v_cvt_u32_f32_e32 v4, v4
	s_delay_alu instid0(VALU_DEP_2) | instskip(NEXT) | instid1(VALU_DEP_2)
	v_cvt_u32_f32_e32 v3, v3
	v_readfirstlane_b32 s9, v4
	s_delay_alu instid0(VALU_DEP_2) | instskip(NEXT) | instid1(VALU_DEP_2)
	v_readfirstlane_b32 s21, v3
	s_mul_i32 s24, s22, s9
	s_delay_alu instid0(VALU_DEP_1)
	s_mul_hi_u32 s26, s22, s21
	s_mul_i32 s25, s23, s21
	s_add_i32 s24, s26, s24
	s_mul_i32 s27, s22, s21
	s_add_i32 s24, s24, s25
	s_mul_hi_u32 s26, s21, s27
	s_mul_hi_u32 s35, s9, s27
	s_mul_i32 s25, s9, s27
	s_mul_hi_u32 s27, s21, s24
	s_mul_i32 s21, s21, s24
	s_mul_hi_u32 s36, s9, s24
	s_add_u32 s21, s26, s21
	s_addc_u32 s26, 0, s27
	s_add_u32 s21, s21, s25
	s_mul_i32 s24, s9, s24
	s_addc_u32 s21, s26, s35
	s_addc_u32 s25, s36, 0
	s_add_u32 s21, s21, s24
	s_addc_u32 s24, 0, s25
	v_add_co_u32 v3, s21, v3, s21
	s_delay_alu instid0(VALU_DEP_1) | instskip(SKIP_1) | instid1(VALU_DEP_1)
	s_cmp_lg_u32 s21, 0
	s_addc_u32 s9, s9, s24
	v_readfirstlane_b32 s21, v3
	s_mul_i32 s24, s22, s9
	s_delay_alu instid0(VALU_DEP_1)
	s_mul_hi_u32 s25, s22, s21
	s_mul_i32 s23, s23, s21
	s_add_i32 s24, s25, s24
	s_mul_i32 s22, s22, s21
	s_add_i32 s24, s24, s23
	s_mul_hi_u32 s25, s9, s22
	s_mul_i32 s26, s9, s22
	s_mul_hi_u32 s22, s21, s22
	s_mul_hi_u32 s27, s21, s24
	s_mul_i32 s21, s21, s24
	s_mul_hi_u32 s23, s9, s24
	s_add_u32 s21, s22, s21
	s_addc_u32 s22, 0, s27
	s_add_u32 s21, s21, s26
	s_mul_i32 s24, s9, s24
	s_addc_u32 s21, s22, s25
	s_addc_u32 s22, s23, 0
	s_add_u32 s21, s21, s24
	s_addc_u32 s22, 0, s22
	v_add_co_u32 v3, s21, v3, s21
	s_delay_alu instid0(VALU_DEP_1) | instskip(SKIP_2) | instid1(VALU_DEP_1)
	s_cmp_lg_u32 s21, 0
	s_addc_u32 s9, s9, s22
	s_ashr_i32 s22, s19, 31
	v_readfirstlane_b32 s21, v3
	s_add_u32 s24, s18, s22
	s_mov_b32 s23, s22
	s_addc_u32 s25, s19, s22
	s_delay_alu instid0(SALU_CYCLE_1) | instskip(NEXT) | instid1(SALU_CYCLE_1)
	s_xor_b64 s[24:25], s[24:25], s[22:23]
	s_mul_i32 s26, s24, s9
	s_mul_hi_u32 s27, s24, s21
	s_mul_hi_u32 s23, s24, s9
	;; [unrolled: 1-line block ×3, first 2 shown]
	s_mul_i32 s21, s25, s21
	s_add_u32 s26, s27, s26
	s_addc_u32 s23, 0, s23
	s_mul_hi_u32 s35, s25, s9
	s_add_u32 s21, s26, s21
	s_mul_i32 s9, s25, s9
	s_addc_u32 s21, s23, s36
	s_addc_u32 s23, s35, 0
	s_add_u32 s9, s21, s9
	s_addc_u32 s21, 0, s23
	s_mul_hi_u32 s23, s0, s9
	s_mul_i32 s21, s0, s21
	s_mul_i32 s26, s1, s9
	;; [unrolled: 1-line block ×3, first 2 shown]
	s_add_i32 s21, s23, s21
	v_sub_co_u32 v3, s9, s24, s9
	s_add_i32 s21, s21, s26
	s_delay_alu instid0(SALU_CYCLE_1) | instskip(SKIP_1) | instid1(VALU_DEP_1)
	s_sub_i32 s23, s25, s21
	s_cmp_lg_u32 s9, 0
	v_sub_co_u32 v4, s24, v3, s0
	s_subb_u32 s23, s23, s1
	s_cmp_lg_u32 s24, 0
	s_subb_u32 s26, s23, 0
	s_delay_alu instid0(VALU_DEP_1)
	v_cmp_le_u32_e32 vcc_lo, s0, v4
	s_cmp_ge_u32 s26, s1
	s_cselect_b32 s27, -1, 0
	s_cmp_eq_u32 s26, s1
	v_cndmask_b32_e64 v6, 0, -1, vcc_lo
	s_cselect_b32 vcc_lo, -1, 0
	s_cmp_lg_u32 s24, 0
	v_sub_co_u32 v7, s24, v4, s0
	s_subb_u32 s23, s23, s1
	s_cmp_lg_u32 s24, 0
	v_cndmask_b32_e32 v6, s27, v6, vcc_lo
	s_subb_u32 s23, s23, 0
	s_cmp_lg_u32 s9, 0
	v_cmp_le_u32_e32 vcc_lo, s0, v3
	s_subb_u32 s9, s25, s21
	s_delay_alu instid0(SALU_CYCLE_1)
	s_cmp_ge_u32 s9, s1
	v_cndmask_b32_e64 v8, 0, -1, vcc_lo
	s_cselect_b32 s21, -1, 0
	s_cmp_eq_u32 s9, s1
	v_cmp_ne_u32_e32 vcc_lo, 0, v6
	v_mov_b32_e32 v6, s23
	s_cselect_b32 s0, -1, 0
	s_delay_alu instid0(SALU_CYCLE_1) | instskip(SKIP_1) | instid1(VALU_DEP_3)
	v_cndmask_b32_e64 v8, s21, v8, s0
	v_cndmask_b32_e32 v4, v4, v7, vcc_lo
	v_cndmask_b32_e32 v6, s26, v6, vcc_lo
	s_delay_alu instid0(VALU_DEP_3) | instskip(NEXT) | instid1(VALU_DEP_3)
	v_cmp_ne_u32_e32 vcc_lo, 0, v8
	v_cndmask_b32_e32 v3, v3, v4, vcc_lo
	s_delay_alu instid0(VALU_DEP_3) | instskip(NEXT) | instid1(VALU_DEP_2)
	v_cndmask_b32_e32 v6, s9, v6, vcc_lo
	v_xor_b32_e32 v3, s22, v3
	s_delay_alu instid0(VALU_DEP_2) | instskip(NEXT) | instid1(VALU_DEP_2)
	v_xor_b32_e32 v4, s22, v6
	v_sub_co_u32 v3, vcc_lo, v3, s22
	s_delay_alu instid0(VALU_DEP_2)
	v_subrev_co_ci_u32_e32 v4, vcc_lo, s22, v4, vcc_lo
	s_and_not1_b32 vcc_lo, exec_lo, s20
	s_cbranch_vccnz .LBB18_52
.LBB18_51:
	v_cvt_f32_u32_e32 v3, s12
	s_sub_i32 s0, 0, s12
	s_delay_alu instid0(VALU_DEP_1) | instskip(SKIP_2) | instid1(VALU_DEP_1)
	v_rcp_iflag_f32_e32 v3, v3
	s_waitcnt_depctr 0xfff
	v_mul_f32_e32 v3, 0x4f7ffffe, v3
	v_cvt_u32_f32_e32 v3, v3
	s_delay_alu instid0(VALU_DEP_1) | instskip(NEXT) | instid1(VALU_DEP_1)
	v_mul_lo_u32 v4, s0, v3
	v_mul_hi_u32 v4, v3, v4
	s_delay_alu instid0(VALU_DEP_1) | instskip(NEXT) | instid1(VALU_DEP_1)
	v_add_nc_u32_e32 v3, v3, v4
	v_mul_hi_u32 v3, s18, v3
	s_delay_alu instid0(VALU_DEP_1) | instskip(NEXT) | instid1(VALU_DEP_1)
	v_mul_lo_u32 v3, v3, s12
	v_sub_nc_u32_e32 v3, s18, v3
	s_delay_alu instid0(VALU_DEP_1) | instskip(SKIP_1) | instid1(VALU_DEP_2)
	v_subrev_nc_u32_e32 v4, s12, v3
	v_cmp_le_u32_e32 vcc_lo, s12, v3
	v_cndmask_b32_e32 v3, v3, v4, vcc_lo
	s_delay_alu instid0(VALU_DEP_1) | instskip(SKIP_1) | instid1(VALU_DEP_2)
	v_subrev_nc_u32_e32 v4, s12, v3
	v_cmp_le_u32_e32 vcc_lo, s12, v3
	v_dual_cndmask_b32 v3, v3, v4 :: v_dual_mov_b32 v4, 0
.LBB18_52:
	v_div_scale_f32 v6, null, 0x43e00000, 0x43e00000, v5
	v_div_scale_f32 v9, vcc_lo, v5, 0x43e00000, v5
	s_delay_alu instid0(VALU_DEP_3) | instskip(NEXT) | instid1(VALU_DEP_3)
	v_sub_co_u32 v10, s0, s18, v3
	v_rcp_f32_e32 v7, v6
	v_sub_co_ci_u32_e64 v3, s0, s19, v4, s0
	s_lshl_b64 s[0:1], s[16:17], 2
	s_delay_alu instid0(SALU_CYCLE_1) | instskip(NEXT) | instid1(VALU_DEP_1)
	s_add_u32 s0, s0, s6
	v_mul_lo_u32 v11, v3, v1
	s_addc_u32 s1, s1, s7
	s_waitcnt_depctr 0xfff
	v_fma_f32 v8, -v6, v7, 1.0
	s_delay_alu instid0(VALU_DEP_1) | instskip(NEXT) | instid1(VALU_DEP_1)
	v_fmac_f32_e32 v7, v8, v7
	v_mul_f32_e32 v8, v9, v7
	s_delay_alu instid0(VALU_DEP_1) | instskip(NEXT) | instid1(VALU_DEP_1)
	v_fma_f32 v4, -v6, v8, v9
	v_fmac_f32_e32 v8, v4, v7
	v_mul_lo_u32 v4, v10, v2
	v_mad_u64_u32 v[2:3], null, v10, v1, 0
	s_delay_alu instid0(VALU_DEP_3) | instskip(NEXT) | instid1(VALU_DEP_2)
	v_fma_f32 v1, -v6, v8, v9
	v_add3_u32 v3, v3, v4, v11
	s_delay_alu instid0(VALU_DEP_2) | instskip(NEXT) | instid1(VALU_DEP_1)
	v_div_fmas_f32 v1, v1, v7, v8
	v_div_fixup_f32 v4, v1, 0x43e00000, v5
	s_delay_alu instid0(VALU_DEP_3) | instskip(NEXT) | instid1(VALU_DEP_2)
	v_lshlrev_b64 v[1:2], 2, v[2:3]
	v_max_f32_e32 v3, 0x36924925, v4
	s_delay_alu instid0(VALU_DEP_2) | instskip(NEXT) | instid1(VALU_DEP_3)
	v_add_co_u32 v1, vcc_lo, s0, v1
	v_add_co_ci_u32_e32 v2, vcc_lo, s1, v2, vcc_lo
	global_store_b32 v[1:2], v3, off
.LBB18_53:
	s_or_b32 exec_lo, exec_lo, s3
	s_waitcnt_vscnt null, 0x0
	s_barrier
	buffer_gl0_inv
	s_and_saveexec_b32 s0, s2
	s_cbranch_execz .LBB18_161
; %bb.54:
	s_add_u32 s0, s12, s34
	s_addc_u32 s1, s13, 0
	s_add_u32 s2, s0, -1
	s_addc_u32 s3, s1, -1
	s_delay_alu instid0(SALU_CYCLE_1) | instskip(SKIP_1) | instid1(SALU_CYCLE_1)
	s_or_b64 s[18:19], s[2:3], s[12:13]
	s_mov_b32 s18, 0
	s_cmp_lg_u64 s[18:19], 0
	s_cbranch_scc0 .LBB18_163
; %bb.55:
	s_ashr_i32 s0, s13, 31
	s_delay_alu instid0(SALU_CYCLE_1) | instskip(SKIP_2) | instid1(SALU_CYCLE_1)
	s_add_u32 s20, s12, s0
	s_mov_b32 s1, s0
	s_addc_u32 s21, s13, s0
	s_xor_b64 s[0:1], s[20:21], s[0:1]
	s_delay_alu instid0(SALU_CYCLE_1) | instskip(SKIP_3) | instid1(VALU_DEP_1)
	v_cvt_f32_u32_e32 v1, s0
	v_cvt_f32_u32_e32 v2, s1
	s_sub_u32 s19, 0, s0
	s_subb_u32 s20, 0, s1
	v_fmamk_f32 v1, v2, 0x4f800000, v1
	s_delay_alu instid0(VALU_DEP_1) | instskip(SKIP_2) | instid1(VALU_DEP_1)
	v_rcp_f32_e32 v1, v1
	s_waitcnt_depctr 0xfff
	v_mul_f32_e32 v1, 0x5f7ffffc, v1
	v_mul_f32_e32 v2, 0x2f800000, v1
	s_delay_alu instid0(VALU_DEP_1) | instskip(NEXT) | instid1(VALU_DEP_1)
	v_trunc_f32_e32 v2, v2
	v_fmamk_f32 v1, v2, 0xcf800000, v1
	v_cvt_u32_f32_e32 v2, v2
	s_delay_alu instid0(VALU_DEP_2) | instskip(NEXT) | instid1(VALU_DEP_2)
	v_cvt_u32_f32_e32 v1, v1
	v_readfirstlane_b32 s9, v2
	s_delay_alu instid0(VALU_DEP_2) | instskip(NEXT) | instid1(VALU_DEP_2)
	v_readfirstlane_b32 s13, v1
	s_mul_i32 s21, s19, s9
	s_delay_alu instid0(VALU_DEP_1)
	s_mul_hi_u32 s23, s19, s13
	s_mul_i32 s22, s20, s13
	s_add_i32 s21, s23, s21
	s_mul_i32 s24, s19, s13
	s_add_i32 s21, s21, s22
	s_mul_hi_u32 s23, s13, s24
	s_mul_hi_u32 s25, s9, s24
	s_mul_i32 s22, s9, s24
	s_mul_hi_u32 s24, s13, s21
	s_mul_i32 s13, s13, s21
	s_mul_hi_u32 s26, s9, s21
	s_add_u32 s13, s23, s13
	s_addc_u32 s23, 0, s24
	s_add_u32 s13, s13, s22
	s_mul_i32 s21, s9, s21
	s_addc_u32 s13, s23, s25
	s_addc_u32 s22, s26, 0
	s_add_u32 s13, s13, s21
	s_addc_u32 s21, 0, s22
	v_add_co_u32 v1, s13, v1, s13
	s_delay_alu instid0(VALU_DEP_1) | instskip(SKIP_1) | instid1(VALU_DEP_1)
	s_cmp_lg_u32 s13, 0
	s_addc_u32 s9, s9, s21
	v_readfirstlane_b32 s13, v1
	s_mul_i32 s21, s19, s9
	s_delay_alu instid0(VALU_DEP_1)
	s_mul_hi_u32 s22, s19, s13
	s_mul_i32 s20, s20, s13
	s_add_i32 s21, s22, s21
	s_mul_i32 s19, s19, s13
	s_add_i32 s21, s21, s20
	s_mul_hi_u32 s22, s9, s19
	s_mul_i32 s23, s9, s19
	s_mul_hi_u32 s19, s13, s19
	s_mul_hi_u32 s24, s13, s21
	s_mul_i32 s13, s13, s21
	s_mul_hi_u32 s20, s9, s21
	s_add_u32 s13, s19, s13
	s_addc_u32 s19, 0, s24
	s_add_u32 s13, s13, s23
	s_mul_i32 s21, s9, s21
	s_addc_u32 s13, s19, s22
	s_addc_u32 s19, s20, 0
	s_add_u32 s13, s13, s21
	s_addc_u32 s19, 0, s19
	v_add_co_u32 v1, s13, v1, s13
	s_delay_alu instid0(VALU_DEP_1) | instskip(SKIP_2) | instid1(VALU_DEP_1)
	s_cmp_lg_u32 s13, 0
	s_addc_u32 s9, s9, s19
	s_ashr_i32 s20, s3, 31
	v_readfirstlane_b32 s13, v1
	s_add_u32 s22, s2, s20
	s_mov_b32 s21, s20
	s_addc_u32 s23, s3, s20
	s_delay_alu instid0(SALU_CYCLE_1) | instskip(NEXT) | instid1(SALU_CYCLE_1)
	s_xor_b64 s[22:23], s[22:23], s[20:21]
	s_mul_i32 s21, s22, s9
	s_mul_hi_u32 s24, s22, s13
	s_mul_hi_u32 s19, s22, s9
	;; [unrolled: 1-line block ×3, first 2 shown]
	s_mul_i32 s13, s23, s13
	s_add_u32 s21, s24, s21
	s_addc_u32 s19, 0, s19
	s_mul_hi_u32 s25, s23, s9
	s_add_u32 s13, s21, s13
	s_mul_i32 s9, s23, s9
	s_addc_u32 s13, s19, s26
	s_addc_u32 s19, s25, 0
	s_add_u32 s9, s13, s9
	s_addc_u32 s13, 0, s19
	s_mul_hi_u32 s19, s0, s9
	s_mul_i32 s13, s0, s13
	s_mul_i32 s21, s1, s9
	;; [unrolled: 1-line block ×3, first 2 shown]
	s_add_i32 s13, s19, s13
	v_sub_co_u32 v1, s9, s22, s9
	s_add_i32 s13, s13, s21
	s_delay_alu instid0(SALU_CYCLE_1) | instskip(SKIP_1) | instid1(VALU_DEP_1)
	s_sub_i32 s19, s23, s13
	s_cmp_lg_u32 s9, 0
	v_sub_co_u32 v2, s21, v1, s0
	s_subb_u32 s19, s19, s1
	s_cmp_lg_u32 s21, 0
	s_subb_u32 s22, s19, 0
	s_delay_alu instid0(VALU_DEP_1)
	v_cmp_le_u32_e32 vcc_lo, s0, v2
	s_cmp_ge_u32 s22, s1
	s_cselect_b32 s24, -1, 0
	s_cmp_eq_u32 s22, s1
	v_cndmask_b32_e64 v3, 0, -1, vcc_lo
	s_cselect_b32 vcc_lo, -1, 0
	s_cmp_lg_u32 s21, 0
	v_sub_co_u32 v4, s21, v2, s0
	s_subb_u32 s19, s19, s1
	s_cmp_lg_u32 s21, 0
	v_cndmask_b32_e32 v3, s24, v3, vcc_lo
	s_subb_u32 s19, s19, 0
	s_cmp_lg_u32 s9, 0
	v_cmp_le_u32_e32 vcc_lo, s0, v1
	s_subb_u32 s9, s23, s13
	s_delay_alu instid0(SALU_CYCLE_1)
	s_cmp_ge_u32 s9, s1
	v_cndmask_b32_e64 v5, 0, -1, vcc_lo
	s_cselect_b32 s13, -1, 0
	s_cmp_eq_u32 s9, s1
	v_cmp_ne_u32_e32 vcc_lo, 0, v3
	v_mov_b32_e32 v3, s19
	s_cselect_b32 s0, -1, 0
	s_delay_alu instid0(SALU_CYCLE_1) | instskip(SKIP_1) | instid1(VALU_DEP_3)
	v_cndmask_b32_e64 v5, s13, v5, s0
	v_cndmask_b32_e32 v2, v2, v4, vcc_lo
	v_cndmask_b32_e32 v3, s22, v3, vcc_lo
	s_delay_alu instid0(VALU_DEP_3) | instskip(NEXT) | instid1(VALU_DEP_3)
	v_cmp_ne_u32_e32 vcc_lo, 0, v5
	v_cndmask_b32_e32 v1, v1, v2, vcc_lo
	s_delay_alu instid0(VALU_DEP_3) | instskip(NEXT) | instid1(VALU_DEP_2)
	v_cndmask_b32_e32 v3, s9, v3, vcc_lo
	v_xor_b32_e32 v1, s20, v1
	s_delay_alu instid0(VALU_DEP_2) | instskip(NEXT) | instid1(VALU_DEP_2)
	v_xor_b32_e32 v2, s20, v3
	v_sub_co_u32 v1, vcc_lo, v1, s20
	s_delay_alu instid0(VALU_DEP_2)
	v_subrev_co_ci_u32_e32 v2, vcc_lo, s20, v2, vcc_lo
	s_and_not1_b32 vcc_lo, exec_lo, s18
	s_cbranch_vccnz .LBB18_57
.LBB18_56:
	v_cvt_f32_u32_e32 v1, s12
	s_sub_i32 s0, 0, s12
	s_delay_alu instid0(VALU_DEP_1) | instskip(SKIP_2) | instid1(VALU_DEP_1)
	v_rcp_iflag_f32_e32 v1, v1
	s_waitcnt_depctr 0xfff
	v_mul_f32_e32 v1, 0x4f7ffffe, v1
	v_cvt_u32_f32_e32 v1, v1
	s_delay_alu instid0(VALU_DEP_1) | instskip(NEXT) | instid1(VALU_DEP_1)
	v_mul_lo_u32 v2, s0, v1
	v_mul_hi_u32 v2, v1, v2
	s_delay_alu instid0(VALU_DEP_1) | instskip(NEXT) | instid1(VALU_DEP_1)
	v_add_nc_u32_e32 v1, v1, v2
	v_mul_hi_u32 v1, s2, v1
	s_delay_alu instid0(VALU_DEP_1) | instskip(NEXT) | instid1(VALU_DEP_1)
	v_mul_lo_u32 v1, v1, s12
	v_sub_nc_u32_e32 v1, s2, v1
	s_delay_alu instid0(VALU_DEP_1) | instskip(SKIP_1) | instid1(VALU_DEP_2)
	v_subrev_nc_u32_e32 v2, s12, v1
	v_cmp_le_u32_e32 vcc_lo, s12, v1
	v_cndmask_b32_e32 v1, v1, v2, vcc_lo
	s_delay_alu instid0(VALU_DEP_1) | instskip(SKIP_1) | instid1(VALU_DEP_2)
	v_subrev_nc_u32_e32 v2, s12, v1
	v_cmp_le_u32_e32 vcc_lo, s12, v1
	v_dual_cndmask_b32 v1, v1, v2 :: v_dual_mov_b32 v2, 0
.LBB18_57:
	s_delay_alu instid0(VALU_DEP_1)
	v_sub_co_u32 v13, vcc_lo, s2, v1
	s_add_u32 s0, s4, s14
	s_addc_u32 s1, s5, s15
	s_lshl_b64 s[4:5], s[16:17], 2
	v_sub_co_ci_u32_e32 v14, vcc_lo, s3, v2, vcc_lo
	v_mov_b32_e32 v1, 0
	s_add_u32 s4, s6, s4
	s_addc_u32 s5, s7, s5
	s_mul_i32 s2, s33, 3
	s_lshl_b32 s3, s33, 1
	s_mov_b32 s6, 0
	s_mov_b32 s7, 0x43e00000
	s_add_i32 s9, s33, s33
	s_branch .LBB18_63
.LBB18_58:                              ;   in Loop: Header=BB18_63 Depth=1
	s_or_b32 exec_lo, exec_lo, s16
.LBB18_59:                              ;   in Loop: Header=BB18_63 Depth=1
	s_delay_alu instid0(SALU_CYCLE_1)
	s_or_b32 exec_lo, exec_lo, s15
	v_lshrrev_b32_e32 v7, 24, v7
	v_lshrrev_b32_e32 v3, 24, v3
	;; [unrolled: 1-line block ×3, first 2 shown]
	v_lshlrev_b32_e32 v4, 24, v4
	v_and_b32_e32 v5, 0x80000000, v5
	v_and_b32_e32 v7, 0x80, v7
	;; [unrolled: 1-line block ×3, first 2 shown]
	s_delay_alu instid0(VALU_DEP_2) | instskip(NEXT) | instid1(VALU_DEP_2)
	v_and_or_b32 v6, 0xff, v6, v7
	v_and_or_b32 v9, 0xff, v2, v3
	v_lshlrev_b64 v[2:3], 2, v[0:1]
	v_and_b32_e32 v7, 0xff, v11
	v_add3_u32 v0, s9, s33, v10
	v_lshlrev_b32_e32 v6, 16, v6
	s_delay_alu instid0(VALU_DEP_3) | instskip(SKIP_1) | instid1(VALU_DEP_3)
	v_and_or_b32 v7, 0x80, v8, v7
	v_lshlrev_b32_e32 v8, 8, v9
	v_or3_b32 v4, v5, v4, v6
	v_add_co_u32 v2, vcc_lo, s0, v2
	v_add_co_ci_u32_e32 v3, vcc_lo, s1, v3, vcc_lo
	v_cmp_le_u32_e32 vcc_lo, s8, v0
	s_delay_alu instid0(VALU_DEP_4)
	v_or3_b32 v4, v4, v8, v7
	s_or_not1_b32 s15, vcc_lo, exec_lo
	global_store_b32 v[2:3], v4, off
.LBB18_60:                              ;   in Loop: Header=BB18_63 Depth=1
	s_or_b32 exec_lo, exec_lo, s14
	s_delay_alu instid0(SALU_CYCLE_1)
	s_or_not1_b32 s14, s15, exec_lo
.LBB18_61:                              ;   in Loop: Header=BB18_63 Depth=1
	s_or_b32 exec_lo, exec_lo, s13
	s_delay_alu instid0(SALU_CYCLE_1)
	s_or_not1_b32 s13, s14, exec_lo
.LBB18_62:                              ;   in Loop: Header=BB18_63 Depth=1
	s_or_b32 exec_lo, exec_lo, s12
	s_delay_alu instid0(SALU_CYCLE_1) | instskip(NEXT) | instid1(SALU_CYCLE_1)
	s_and_b32 s12, exec_lo, s13
	s_or_b32 s6, s12, s6
	s_delay_alu instid0(SALU_CYCLE_1)
	s_and_not1_b32 exec_lo, exec_lo, s6
	s_cbranch_execz .LBB18_161
.LBB18_63:                              ; =>This Inner Loop Header: Depth=1
	v_lshlrev_b64 v[4:5], 4, v[0:1]
	v_bfe_u32 v8, v0, 5, 25
	s_mov_b32 s12, exec_lo
	s_delay_alu instid0(VALU_DEP_1) | instskip(NEXT) | instid1(VALU_DEP_3)
	v_mad_u64_u32 v[2:3], null, v13, v8, 0
	v_add_co_u32 v6, vcc_lo, s28, v4
	s_delay_alu instid0(VALU_DEP_4)
	v_add_co_ci_u32_e32 v7, vcc_lo, s29, v5, vcc_lo
	v_add_co_u32 v19, vcc_lo, s30, v4
	v_add_co_ci_u32_e32 v20, vcc_lo, s31, v5, vcc_lo
	v_mad_u64_u32 v[10:11], null, v14, v8, v[3:4]
	global_load_b128 v[6:9], v[6:7], off
	global_load_b128 v[15:18], v[19:20], off
	v_add_co_u32 v4, vcc_lo, s10, v4
	v_add_co_ci_u32_e32 v5, vcc_lo, s11, v5, vcc_lo
	s_waitcnt vmcnt(0)
	v_dual_add_f32 v6, v6, v15 :: v_dual_add_f32 v7, v7, v16
	v_mov_b32_e32 v3, v10
	v_dual_add_f32 v9, v9, v18 :: v_dual_add_f32 v8, v8, v17
	s_delay_alu instid0(VALU_DEP_2)
	v_lshlrev_b64 v[10:11], 2, v[2:3]
	global_load_b128 v[2:5], v[4:5], off
	v_add_co_u32 v10, vcc_lo, s4, v10
	v_add_co_ci_u32_e32 v11, vcc_lo, s5, v11, vcc_lo
	global_load_b32 v12, v[10:11], off
	v_mul_f32_e32 v10, v28, v6
	s_waitcnt vmcnt(1)
	s_delay_alu instid0(VALU_DEP_1) | instskip(SKIP_1) | instid1(VALU_DEP_1)
	v_mul_f32_e32 v2, v2, v10
	s_waitcnt vmcnt(0)
	v_div_scale_f32 v10, null, v12, v12, v2
	s_delay_alu instid0(VALU_DEP_1) | instskip(SKIP_2) | instid1(VALU_DEP_1)
	v_rcp_f32_e32 v11, v10
	s_waitcnt_depctr 0xfff
	v_fma_f32 v15, -v10, v11, 1.0
	v_fmac_f32_e32 v11, v15, v11
	v_div_scale_f32 v21, vcc_lo, v2, v12, v2
	s_delay_alu instid0(VALU_DEP_1) | instskip(NEXT) | instid1(VALU_DEP_1)
	v_mul_f32_e32 v15, v21, v11
	v_fma_f32 v22, -v10, v15, v21
	s_delay_alu instid0(VALU_DEP_1) | instskip(NEXT) | instid1(VALU_DEP_1)
	v_fmac_f32_e32 v15, v22, v11
	v_fma_f32 v10, -v10, v15, v21
	s_delay_alu instid0(VALU_DEP_1) | instskip(NEXT) | instid1(VALU_DEP_1)
	v_div_fmas_f32 v10, v10, v11, v15
	v_div_fixup_f32 v2, v10, v12, v2
	v_mov_b32_e32 v10, 0x7f
	global_store_b128 v[19:20], v[6:9], off
	v_minmax_f32 v11, v2, s7, 0xc3e00000
	v_mov_b32_e32 v2, 0x7f
	s_delay_alu instid0(VALU_DEP_2) | instskip(NEXT) | instid1(VALU_DEP_1)
	v_and_b32_e32 v15, 0x7fffffff, v11
	v_cmpx_gt_u32_e32 0x43f00000, v15
	s_cbranch_execz .LBB18_69
; %bb.64:                               ;   in Loop: Header=BB18_63 Depth=1
	s_mov_b32 s13, exec_lo
                                        ; implicit-def: $vgpr10
	v_cmpx_lt_u32_e32 0x3c7fffff, v15
	s_xor_b32 s13, exec_lo, s13
; %bb.65:                               ;   in Loop: Header=BB18_63 Depth=1
	v_bfe_u32 v6, v11, 20, 1
	s_delay_alu instid0(VALU_DEP_1) | instskip(NEXT) | instid1(VALU_DEP_1)
	v_add3_u32 v6, v11, v6, 0x407ffff
	v_lshrrev_b32_e32 v10, 20, v6
; %bb.66:                               ;   in Loop: Header=BB18_63 Depth=1
	s_and_not1_saveexec_b32 s13, s13
; %bb.67:                               ;   in Loop: Header=BB18_63 Depth=1
	v_add_f32_e64 v10, 0x46800000, |v11|
; %bb.68:                               ;   in Loop: Header=BB18_63 Depth=1
	s_or_b32 exec_lo, exec_lo, s13
.LBB18_69:                              ;   in Loop: Header=BB18_63 Depth=1
	s_delay_alu instid0(SALU_CYCLE_1) | instskip(SKIP_2) | instid1(VALU_DEP_1)
	s_or_b32 exec_lo, exec_lo, s12
	v_mul_f32_e32 v6, v28, v7
	s_mov_b32 s12, exec_lo
	v_mul_f32_e32 v3, v3, v6
	s_delay_alu instid0(VALU_DEP_1) | instskip(NEXT) | instid1(VALU_DEP_1)
	v_div_scale_f32 v6, null, v12, v12, v3
	v_rcp_f32_e32 v7, v6
	s_waitcnt_depctr 0xfff
	v_fma_f32 v15, -v6, v7, 1.0
	s_delay_alu instid0(VALU_DEP_1) | instskip(SKIP_1) | instid1(VALU_DEP_1)
	v_fmac_f32_e32 v7, v15, v7
	v_div_scale_f32 v15, vcc_lo, v3, v12, v3
	v_mul_f32_e32 v16, v15, v7
	s_delay_alu instid0(VALU_DEP_1) | instskip(NEXT) | instid1(VALU_DEP_1)
	v_fma_f32 v17, -v6, v16, v15
	v_fmac_f32_e32 v16, v17, v7
	s_delay_alu instid0(VALU_DEP_1) | instskip(NEXT) | instid1(VALU_DEP_1)
	v_fma_f32 v6, -v6, v16, v15
	v_div_fmas_f32 v6, v6, v7, v16
	s_delay_alu instid0(VALU_DEP_1) | instskip(NEXT) | instid1(VALU_DEP_1)
	v_div_fixup_f32 v3, v6, v12, v3
	v_minmax_f32 v3, v3, s7, 0xc3e00000
	s_delay_alu instid0(VALU_DEP_1) | instskip(NEXT) | instid1(VALU_DEP_1)
	v_and_b32_e32 v6, 0x7fffffff, v3
	v_cmpx_gt_u32_e32 0x43f00000, v6
	s_cbranch_execz .LBB18_75
; %bb.70:                               ;   in Loop: Header=BB18_63 Depth=1
	s_mov_b32 s13, exec_lo
                                        ; implicit-def: $vgpr2
	v_cmpx_lt_u32_e32 0x3c7fffff, v6
	s_xor_b32 s13, exec_lo, s13
; %bb.71:                               ;   in Loop: Header=BB18_63 Depth=1
	v_bfe_u32 v2, v3, 20, 1
	s_delay_alu instid0(VALU_DEP_1) | instskip(NEXT) | instid1(VALU_DEP_1)
	v_add3_u32 v2, v3, v2, 0x407ffff
	v_lshrrev_b32_e32 v2, 20, v2
; %bb.72:                               ;   in Loop: Header=BB18_63 Depth=1
	s_and_not1_saveexec_b32 s13, s13
; %bb.73:                               ;   in Loop: Header=BB18_63 Depth=1
	v_add_f32_e64 v2, 0x46800000, |v3|
; %bb.74:                               ;   in Loop: Header=BB18_63 Depth=1
	s_or_b32 exec_lo, exec_lo, s13
.LBB18_75:                              ;   in Loop: Header=BB18_63 Depth=1
	s_delay_alu instid0(SALU_CYCLE_1) | instskip(SKIP_2) | instid1(VALU_DEP_1)
	s_or_b32 exec_lo, exec_lo, s12
	v_mul_f32_e32 v6, v28, v8
	s_mov_b32 s12, exec_lo
	v_mul_f32_e32 v4, v4, v6
	s_delay_alu instid0(VALU_DEP_1) | instskip(SKIP_1) | instid1(VALU_DEP_2)
	v_div_scale_f32 v6, null, v12, v12, v4
	v_div_scale_f32 v15, vcc_lo, v4, v12, v4
	v_rcp_f32_e32 v7, v6
	s_waitcnt_depctr 0xfff
	v_fma_f32 v8, -v6, v7, 1.0
	s_delay_alu instid0(VALU_DEP_1) | instskip(NEXT) | instid1(VALU_DEP_1)
	v_fmac_f32_e32 v7, v8, v7
	v_mul_f32_e32 v8, v15, v7
	s_delay_alu instid0(VALU_DEP_1) | instskip(NEXT) | instid1(VALU_DEP_1)
	v_fma_f32 v16, -v6, v8, v15
	v_fmac_f32_e32 v8, v16, v7
	s_delay_alu instid0(VALU_DEP_1) | instskip(NEXT) | instid1(VALU_DEP_1)
	v_fma_f32 v6, -v6, v8, v15
	v_div_fmas_f32 v6, v6, v7, v8
	s_delay_alu instid0(VALU_DEP_1) | instskip(SKIP_1) | instid1(VALU_DEP_2)
	v_div_fixup_f32 v4, v6, v12, v4
	v_mov_b32_e32 v6, 0x7f
	v_minmax_f32 v7, v4, s7, 0xc3e00000
	v_mov_b32_e32 v4, 0x7f
	s_delay_alu instid0(VALU_DEP_2) | instskip(NEXT) | instid1(VALU_DEP_1)
	v_and_b32_e32 v8, 0x7fffffff, v7
	v_cmpx_gt_u32_e32 0x43f00000, v8
	s_cbranch_execz .LBB18_81
; %bb.76:                               ;   in Loop: Header=BB18_63 Depth=1
	s_mov_b32 s13, exec_lo
                                        ; implicit-def: $vgpr6
	v_cmpx_lt_u32_e32 0x3c7fffff, v8
	s_xor_b32 s13, exec_lo, s13
; %bb.77:                               ;   in Loop: Header=BB18_63 Depth=1
	v_bfe_u32 v6, v7, 20, 1
	s_delay_alu instid0(VALU_DEP_1) | instskip(NEXT) | instid1(VALU_DEP_1)
	v_add3_u32 v6, v7, v6, 0x407ffff
	v_lshrrev_b32_e32 v6, 20, v6
; %bb.78:                               ;   in Loop: Header=BB18_63 Depth=1
	s_and_not1_saveexec_b32 s13, s13
; %bb.79:                               ;   in Loop: Header=BB18_63 Depth=1
	v_add_f32_e64 v6, 0x46800000, |v7|
; %bb.80:                               ;   in Loop: Header=BB18_63 Depth=1
	s_or_b32 exec_lo, exec_lo, s13
.LBB18_81:                              ;   in Loop: Header=BB18_63 Depth=1
	s_delay_alu instid0(SALU_CYCLE_1) | instskip(SKIP_2) | instid1(VALU_DEP_1)
	s_or_b32 exec_lo, exec_lo, s12
	v_mul_f32_e32 v8, v28, v9
	s_mov_b32 s12, exec_lo
	v_mul_f32_e32 v5, v5, v8
	s_delay_alu instid0(VALU_DEP_1) | instskip(NEXT) | instid1(VALU_DEP_1)
	v_div_scale_f32 v8, null, v12, v12, v5
	v_rcp_f32_e32 v9, v8
	s_waitcnt_depctr 0xfff
	v_fma_f32 v15, -v8, v9, 1.0
	s_delay_alu instid0(VALU_DEP_1) | instskip(SKIP_1) | instid1(VALU_DEP_1)
	v_fmac_f32_e32 v9, v15, v9
	v_div_scale_f32 v15, vcc_lo, v5, v12, v5
	v_mul_f32_e32 v16, v15, v9
	s_delay_alu instid0(VALU_DEP_1) | instskip(NEXT) | instid1(VALU_DEP_1)
	v_fma_f32 v17, -v8, v16, v15
	v_fmac_f32_e32 v16, v17, v9
	s_delay_alu instid0(VALU_DEP_1) | instskip(NEXT) | instid1(VALU_DEP_1)
	v_fma_f32 v8, -v8, v16, v15
	v_div_fmas_f32 v8, v8, v9, v16
	s_delay_alu instid0(VALU_DEP_1) | instskip(NEXT) | instid1(VALU_DEP_1)
	v_div_fixup_f32 v5, v8, v12, v5
	v_minmax_f32 v5, v5, s7, 0xc3e00000
	s_delay_alu instid0(VALU_DEP_1) | instskip(NEXT) | instid1(VALU_DEP_1)
	v_and_b32_e32 v8, 0x7fffffff, v5
	v_cmpx_gt_u32_e32 0x43f00000, v8
	s_cbranch_execz .LBB18_87
; %bb.82:                               ;   in Loop: Header=BB18_63 Depth=1
	s_mov_b32 s13, exec_lo
                                        ; implicit-def: $vgpr4
	v_cmpx_lt_u32_e32 0x3c7fffff, v8
	s_xor_b32 s13, exec_lo, s13
; %bb.83:                               ;   in Loop: Header=BB18_63 Depth=1
	v_bfe_u32 v4, v5, 20, 1
	s_delay_alu instid0(VALU_DEP_1) | instskip(NEXT) | instid1(VALU_DEP_1)
	v_add3_u32 v4, v5, v4, 0x407ffff
	v_lshrrev_b32_e32 v4, 20, v4
; %bb.84:                               ;   in Loop: Header=BB18_63 Depth=1
	s_and_not1_saveexec_b32 s13, s13
; %bb.85:                               ;   in Loop: Header=BB18_63 Depth=1
	v_add_f32_e64 v4, 0x46800000, |v5|
; %bb.86:                               ;   in Loop: Header=BB18_63 Depth=1
	s_or_b32 exec_lo, exec_lo, s13
.LBB18_87:                              ;   in Loop: Header=BB18_63 Depth=1
	s_delay_alu instid0(SALU_CYCLE_1)
	s_or_b32 exec_lo, exec_lo, s12
	v_lshrrev_b32_e32 v7, 24, v7
	v_lshrrev_b32_e32 v3, 24, v3
	;; [unrolled: 1-line block ×3, first 2 shown]
	v_lshlrev_b32_e32 v4, 24, v4
	v_and_b32_e32 v5, 0x80000000, v5
	v_and_b32_e32 v7, 0x80, v7
	;; [unrolled: 1-line block ×3, first 2 shown]
	s_mov_b32 s13, -1
	s_mov_b32 s12, exec_lo
	s_delay_alu instid0(VALU_DEP_2)
	v_and_or_b32 v6, 0xff, v6, v7
	v_and_b32_e32 v7, 0xff, v10
	v_and_or_b32 v9, 0xff, v2, v3
	v_lshlrev_b64 v[2:3], 2, v[0:1]
	v_add_nc_u32_e32 v10, s33, v0
	v_lshlrev_b32_e32 v6, 16, v6
	v_and_or_b32 v7, 0x80, v8, v7
	v_lshlrev_b32_e32 v8, 8, v9
	v_add_co_u32 v2, vcc_lo, s0, v2
	s_delay_alu instid0(VALU_DEP_4) | instskip(SKIP_1) | instid1(VALU_DEP_2)
	v_or3_b32 v4, v5, v4, v6
	v_add_co_ci_u32_e32 v3, vcc_lo, s1, v3, vcc_lo
	v_or3_b32 v4, v4, v8, v7
	global_store_b32 v[2:3], v4, off
	v_cmpx_gt_u32_e64 s8, v10
	s_cbranch_execz .LBB18_62
; %bb.88:                               ;   in Loop: Header=BB18_63 Depth=1
	v_mov_b32_e32 v11, v1
	v_bfe_u32 v8, v10, 5, 25
	s_mov_b32 s13, exec_lo
	s_delay_alu instid0(VALU_DEP_2) | instskip(NEXT) | instid1(VALU_DEP_2)
	v_lshlrev_b64 v[4:5], 4, v[10:11]
	v_mad_u64_u32 v[2:3], null, v13, v8, 0
	s_delay_alu instid0(VALU_DEP_2) | instskip(NEXT) | instid1(VALU_DEP_3)
	v_add_co_u32 v6, vcc_lo, s28, v4
	v_add_co_ci_u32_e32 v7, vcc_lo, s29, v5, vcc_lo
	v_add_co_u32 v21, vcc_lo, s30, v4
	v_add_co_ci_u32_e32 v22, vcc_lo, s31, v5, vcc_lo
	v_mad_u64_u32 v[15:16], null, v14, v8, v[3:4]
	global_load_b128 v[6:9], v[6:7], off
	global_load_b128 v[17:20], v[21:22], off
	v_add_co_u32 v4, vcc_lo, s10, v4
	v_add_co_ci_u32_e32 v5, vcc_lo, s11, v5, vcc_lo
	s_waitcnt vmcnt(0)
	v_dual_add_f32 v6, v6, v17 :: v_dual_mov_b32 v3, v15
	v_dual_add_f32 v7, v7, v18 :: v_dual_add_f32 v8, v8, v19
	s_delay_alu instid0(VALU_DEP_2) | instskip(NEXT) | instid1(VALU_DEP_3)
	v_dual_add_f32 v9, v9, v20 :: v_dual_mul_f32 v12, v28, v6
	v_lshlrev_b64 v[15:16], 2, v[2:3]
	global_load_b128 v[2:5], v[4:5], off
	global_store_b128 v[21:22], v[6:9], off
	v_add_co_u32 v15, vcc_lo, s4, v15
	v_add_co_ci_u32_e32 v16, vcc_lo, s5, v16, vcc_lo
	global_load_b32 v16, v[15:16], off
	s_waitcnt vmcnt(1)
	v_mul_f32_e32 v2, v2, v12
	s_waitcnt vmcnt(0)
	s_delay_alu instid0(VALU_DEP_1) | instskip(NEXT) | instid1(VALU_DEP_1)
	v_div_scale_f32 v12, null, v16, v16, v2
	v_rcp_f32_e32 v15, v12
	s_waitcnt_depctr 0xfff
	v_fma_f32 v17, -v12, v15, 1.0
	s_delay_alu instid0(VALU_DEP_1) | instskip(SKIP_1) | instid1(VALU_DEP_1)
	v_fmac_f32_e32 v15, v17, v15
	v_div_scale_f32 v23, vcc_lo, v2, v16, v2
	v_mul_f32_e32 v17, v23, v15
	s_delay_alu instid0(VALU_DEP_1) | instskip(NEXT) | instid1(VALU_DEP_1)
	v_fma_f32 v24, -v12, v17, v23
	v_fmac_f32_e32 v17, v24, v15
	s_delay_alu instid0(VALU_DEP_1) | instskip(NEXT) | instid1(VALU_DEP_1)
	v_fma_f32 v12, -v12, v17, v23
	v_div_fmas_f32 v12, v12, v15, v17
	s_delay_alu instid0(VALU_DEP_1) | instskip(SKIP_1) | instid1(VALU_DEP_2)
	v_div_fixup_f32 v2, v12, v16, v2
	v_mov_b32_e32 v12, 0x7f
	v_minmax_f32 v15, v2, s7, 0xc3e00000
	v_mov_b32_e32 v2, 0x7f
	s_delay_alu instid0(VALU_DEP_2) | instskip(NEXT) | instid1(VALU_DEP_1)
	v_and_b32_e32 v17, 0x7fffffff, v15
	v_cmpx_gt_u32_e32 0x43f00000, v17
	s_cbranch_execz .LBB18_94
; %bb.89:                               ;   in Loop: Header=BB18_63 Depth=1
	s_mov_b32 s14, exec_lo
                                        ; implicit-def: $vgpr12
	v_cmpx_lt_u32_e32 0x3c7fffff, v17
	s_xor_b32 s14, exec_lo, s14
; %bb.90:                               ;   in Loop: Header=BB18_63 Depth=1
	v_bfe_u32 v6, v15, 20, 1
	s_delay_alu instid0(VALU_DEP_1) | instskip(NEXT) | instid1(VALU_DEP_1)
	v_add3_u32 v6, v15, v6, 0x407ffff
	v_lshrrev_b32_e32 v12, 20, v6
; %bb.91:                               ;   in Loop: Header=BB18_63 Depth=1
	s_and_not1_saveexec_b32 s14, s14
; %bb.92:                               ;   in Loop: Header=BB18_63 Depth=1
	v_add_f32_e64 v12, 0x46800000, |v15|
; %bb.93:                               ;   in Loop: Header=BB18_63 Depth=1
	s_or_b32 exec_lo, exec_lo, s14
.LBB18_94:                              ;   in Loop: Header=BB18_63 Depth=1
	s_delay_alu instid0(SALU_CYCLE_1) | instskip(SKIP_2) | instid1(VALU_DEP_1)
	s_or_b32 exec_lo, exec_lo, s13
	v_mul_f32_e32 v6, v28, v7
	s_mov_b32 s13, exec_lo
	v_mul_f32_e32 v3, v3, v6
	s_delay_alu instid0(VALU_DEP_1) | instskip(NEXT) | instid1(VALU_DEP_1)
	v_div_scale_f32 v6, null, v16, v16, v3
	v_rcp_f32_e32 v7, v6
	s_waitcnt_depctr 0xfff
	v_fma_f32 v17, -v6, v7, 1.0
	s_delay_alu instid0(VALU_DEP_1) | instskip(SKIP_1) | instid1(VALU_DEP_1)
	v_fmac_f32_e32 v7, v17, v7
	v_div_scale_f32 v17, vcc_lo, v3, v16, v3
	v_mul_f32_e32 v18, v17, v7
	s_delay_alu instid0(VALU_DEP_1) | instskip(NEXT) | instid1(VALU_DEP_1)
	v_fma_f32 v19, -v6, v18, v17
	v_fmac_f32_e32 v18, v19, v7
	s_delay_alu instid0(VALU_DEP_1) | instskip(NEXT) | instid1(VALU_DEP_1)
	v_fma_f32 v6, -v6, v18, v17
	v_div_fmas_f32 v6, v6, v7, v18
	s_delay_alu instid0(VALU_DEP_1) | instskip(NEXT) | instid1(VALU_DEP_1)
	v_div_fixup_f32 v3, v6, v16, v3
	v_minmax_f32 v3, v3, s7, 0xc3e00000
	s_delay_alu instid0(VALU_DEP_1) | instskip(NEXT) | instid1(VALU_DEP_1)
	v_and_b32_e32 v6, 0x7fffffff, v3
	v_cmpx_gt_u32_e32 0x43f00000, v6
	s_cbranch_execz .LBB18_100
; %bb.95:                               ;   in Loop: Header=BB18_63 Depth=1
	s_mov_b32 s14, exec_lo
                                        ; implicit-def: $vgpr2
	v_cmpx_lt_u32_e32 0x3c7fffff, v6
	s_xor_b32 s14, exec_lo, s14
; %bb.96:                               ;   in Loop: Header=BB18_63 Depth=1
	v_bfe_u32 v2, v3, 20, 1
	s_delay_alu instid0(VALU_DEP_1) | instskip(NEXT) | instid1(VALU_DEP_1)
	v_add3_u32 v2, v3, v2, 0x407ffff
	v_lshrrev_b32_e32 v2, 20, v2
; %bb.97:                               ;   in Loop: Header=BB18_63 Depth=1
	s_and_not1_saveexec_b32 s14, s14
; %bb.98:                               ;   in Loop: Header=BB18_63 Depth=1
	v_add_f32_e64 v2, 0x46800000, |v3|
; %bb.99:                               ;   in Loop: Header=BB18_63 Depth=1
	s_or_b32 exec_lo, exec_lo, s14
.LBB18_100:                             ;   in Loop: Header=BB18_63 Depth=1
	s_delay_alu instid0(SALU_CYCLE_1) | instskip(SKIP_2) | instid1(VALU_DEP_1)
	s_or_b32 exec_lo, exec_lo, s13
	v_mul_f32_e32 v6, v28, v8
	s_mov_b32 s13, exec_lo
	v_mul_f32_e32 v4, v4, v6
	s_delay_alu instid0(VALU_DEP_1) | instskip(SKIP_1) | instid1(VALU_DEP_2)
	v_div_scale_f32 v6, null, v16, v16, v4
	v_div_scale_f32 v17, vcc_lo, v4, v16, v4
	v_rcp_f32_e32 v7, v6
	s_waitcnt_depctr 0xfff
	v_fma_f32 v8, -v6, v7, 1.0
	s_delay_alu instid0(VALU_DEP_1) | instskip(NEXT) | instid1(VALU_DEP_1)
	v_fmac_f32_e32 v7, v8, v7
	v_mul_f32_e32 v8, v17, v7
	s_delay_alu instid0(VALU_DEP_1) | instskip(NEXT) | instid1(VALU_DEP_1)
	v_fma_f32 v18, -v6, v8, v17
	v_fmac_f32_e32 v8, v18, v7
	s_delay_alu instid0(VALU_DEP_1) | instskip(NEXT) | instid1(VALU_DEP_1)
	v_fma_f32 v6, -v6, v8, v17
	v_div_fmas_f32 v6, v6, v7, v8
	s_delay_alu instid0(VALU_DEP_1) | instskip(SKIP_1) | instid1(VALU_DEP_2)
	v_div_fixup_f32 v4, v6, v16, v4
	v_mov_b32_e32 v6, 0x7f
	v_minmax_f32 v7, v4, s7, 0xc3e00000
	v_mov_b32_e32 v4, 0x7f
	s_delay_alu instid0(VALU_DEP_2) | instskip(NEXT) | instid1(VALU_DEP_1)
	v_and_b32_e32 v8, 0x7fffffff, v7
	v_cmpx_gt_u32_e32 0x43f00000, v8
	s_cbranch_execz .LBB18_106
; %bb.101:                              ;   in Loop: Header=BB18_63 Depth=1
	s_mov_b32 s14, exec_lo
                                        ; implicit-def: $vgpr6
	v_cmpx_lt_u32_e32 0x3c7fffff, v8
	s_xor_b32 s14, exec_lo, s14
; %bb.102:                              ;   in Loop: Header=BB18_63 Depth=1
	v_bfe_u32 v6, v7, 20, 1
	s_delay_alu instid0(VALU_DEP_1) | instskip(NEXT) | instid1(VALU_DEP_1)
	v_add3_u32 v6, v7, v6, 0x407ffff
	v_lshrrev_b32_e32 v6, 20, v6
; %bb.103:                              ;   in Loop: Header=BB18_63 Depth=1
	s_and_not1_saveexec_b32 s14, s14
; %bb.104:                              ;   in Loop: Header=BB18_63 Depth=1
	v_add_f32_e64 v6, 0x46800000, |v7|
; %bb.105:                              ;   in Loop: Header=BB18_63 Depth=1
	s_or_b32 exec_lo, exec_lo, s14
.LBB18_106:                             ;   in Loop: Header=BB18_63 Depth=1
	s_delay_alu instid0(SALU_CYCLE_1) | instskip(SKIP_2) | instid1(VALU_DEP_1)
	s_or_b32 exec_lo, exec_lo, s13
	v_mul_f32_e32 v8, v28, v9
	s_mov_b32 s13, exec_lo
	v_mul_f32_e32 v5, v5, v8
	s_delay_alu instid0(VALU_DEP_1) | instskip(NEXT) | instid1(VALU_DEP_1)
	v_div_scale_f32 v8, null, v16, v16, v5
	v_rcp_f32_e32 v9, v8
	s_waitcnt_depctr 0xfff
	v_fma_f32 v17, -v8, v9, 1.0
	s_delay_alu instid0(VALU_DEP_1) | instskip(SKIP_1) | instid1(VALU_DEP_1)
	v_fmac_f32_e32 v9, v17, v9
	v_div_scale_f32 v17, vcc_lo, v5, v16, v5
	v_mul_f32_e32 v18, v17, v9
	s_delay_alu instid0(VALU_DEP_1) | instskip(NEXT) | instid1(VALU_DEP_1)
	v_fma_f32 v19, -v8, v18, v17
	v_fmac_f32_e32 v18, v19, v9
	s_delay_alu instid0(VALU_DEP_1) | instskip(NEXT) | instid1(VALU_DEP_1)
	v_fma_f32 v8, -v8, v18, v17
	v_div_fmas_f32 v8, v8, v9, v18
	s_delay_alu instid0(VALU_DEP_1) | instskip(NEXT) | instid1(VALU_DEP_1)
	v_div_fixup_f32 v5, v8, v16, v5
	v_minmax_f32 v5, v5, s7, 0xc3e00000
	s_delay_alu instid0(VALU_DEP_1) | instskip(NEXT) | instid1(VALU_DEP_1)
	v_and_b32_e32 v8, 0x7fffffff, v5
	v_cmpx_gt_u32_e32 0x43f00000, v8
	s_cbranch_execz .LBB18_112
; %bb.107:                              ;   in Loop: Header=BB18_63 Depth=1
	s_mov_b32 s14, exec_lo
                                        ; implicit-def: $vgpr4
	v_cmpx_lt_u32_e32 0x3c7fffff, v8
	s_xor_b32 s14, exec_lo, s14
; %bb.108:                              ;   in Loop: Header=BB18_63 Depth=1
	v_bfe_u32 v4, v5, 20, 1
	s_delay_alu instid0(VALU_DEP_1) | instskip(NEXT) | instid1(VALU_DEP_1)
	v_add3_u32 v4, v5, v4, 0x407ffff
	v_lshrrev_b32_e32 v4, 20, v4
; %bb.109:                              ;   in Loop: Header=BB18_63 Depth=1
	s_and_not1_saveexec_b32 s14, s14
; %bb.110:                              ;   in Loop: Header=BB18_63 Depth=1
	v_add_f32_e64 v4, 0x46800000, |v5|
; %bb.111:                              ;   in Loop: Header=BB18_63 Depth=1
	s_or_b32 exec_lo, exec_lo, s14
.LBB18_112:                             ;   in Loop: Header=BB18_63 Depth=1
	s_delay_alu instid0(SALU_CYCLE_1)
	s_or_b32 exec_lo, exec_lo, s13
	v_lshrrev_b32_e32 v7, 24, v7
	v_lshrrev_b32_e32 v3, 24, v3
	v_lshrrev_b32_e32 v8, 24, v15
	v_lshlrev_b32_e32 v4, 24, v4
	v_and_b32_e32 v5, 0x80000000, v5
	v_and_b32_e32 v7, 0x80, v7
	;; [unrolled: 1-line block ×3, first 2 shown]
	s_mov_b32 s14, -1
	s_mov_b32 s13, exec_lo
	s_delay_alu instid0(VALU_DEP_2)
	v_and_or_b32 v6, 0xff, v6, v7
	v_and_b32_e32 v7, 0xff, v12
	v_and_or_b32 v9, 0xff, v2, v3
	v_lshlrev_b64 v[2:3], 2, v[10:11]
	v_add_nc_u32_e32 v11, s3, v0
	v_lshlrev_b32_e32 v6, 16, v6
	v_and_or_b32 v7, 0x80, v8, v7
	v_lshlrev_b32_e32 v8, 8, v9
	v_add_co_u32 v2, vcc_lo, s0, v2
	s_delay_alu instid0(VALU_DEP_4) | instskip(SKIP_1) | instid1(VALU_DEP_2)
	v_or3_b32 v4, v5, v4, v6
	v_add_co_ci_u32_e32 v3, vcc_lo, s1, v3, vcc_lo
	v_or3_b32 v4, v4, v8, v7
	global_store_b32 v[2:3], v4, off
	v_cmpx_gt_u32_e64 s8, v11
	s_cbranch_execz .LBB18_61
; %bb.113:                              ;   in Loop: Header=BB18_63 Depth=1
	v_bfe_u32 v8, v11, 5, 25
	v_mov_b32_e32 v12, v1
	s_mov_b32 s14, exec_lo
	s_delay_alu instid0(VALU_DEP_2) | instskip(NEXT) | instid1(VALU_DEP_2)
	v_mad_u64_u32 v[2:3], null, v13, v8, 0
	v_lshlrev_b64 v[4:5], 4, v[11:12]
	s_delay_alu instid0(VALU_DEP_1) | instskip(NEXT) | instid1(VALU_DEP_3)
	v_add_co_u32 v6, vcc_lo, s28, v4
	v_mad_u64_u32 v[15:16], null, v14, v8, v[3:4]
	s_delay_alu instid0(VALU_DEP_3) | instskip(SKIP_2) | instid1(VALU_DEP_4)
	v_add_co_ci_u32_e32 v7, vcc_lo, s29, v5, vcc_lo
	v_add_co_u32 v22, vcc_lo, s30, v4
	v_add_co_ci_u32_e32 v23, vcc_lo, s31, v5, vcc_lo
	v_mov_b32_e32 v3, v15
	global_load_b128 v[6:9], v[6:7], off
	global_load_b128 v[18:21], v[22:23], off
	v_add_co_u32 v4, vcc_lo, s10, v4
	v_lshlrev_b64 v[15:16], 2, v[2:3]
	v_add_co_ci_u32_e32 v5, vcc_lo, s11, v5, vcc_lo
	global_load_b128 v[2:5], v[4:5], off
	v_add_co_u32 v15, vcc_lo, s4, v15
	v_add_co_ci_u32_e32 v16, vcc_lo, s5, v16, vcc_lo
	global_load_b32 v17, v[15:16], off
	s_waitcnt vmcnt(2)
	v_dual_add_f32 v6, v6, v18 :: v_dual_add_f32 v7, v7, v19
	v_dual_add_f32 v8, v8, v20 :: v_dual_add_f32 v9, v9, v21
	s_delay_alu instid0(VALU_DEP_2) | instskip(SKIP_4) | instid1(VALU_DEP_1)
	v_mul_f32_e32 v15, v28, v6
	global_store_b128 v[22:23], v[6:9], off
	s_waitcnt vmcnt(1)
	v_mul_f32_e32 v2, v2, v15
	s_waitcnt vmcnt(0)
	v_div_scale_f32 v15, null, v17, v17, v2
	v_div_scale_f32 v24, vcc_lo, v2, v17, v2
	s_delay_alu instid0(VALU_DEP_2) | instskip(SKIP_2) | instid1(VALU_DEP_1)
	v_rcp_f32_e32 v16, v15
	s_waitcnt_depctr 0xfff
	v_fma_f32 v18, -v15, v16, 1.0
	v_fmac_f32_e32 v16, v18, v16
	s_delay_alu instid0(VALU_DEP_1) | instskip(NEXT) | instid1(VALU_DEP_1)
	v_mul_f32_e32 v18, v24, v16
	v_fma_f32 v25, -v15, v18, v24
	s_delay_alu instid0(VALU_DEP_1) | instskip(NEXT) | instid1(VALU_DEP_1)
	v_fmac_f32_e32 v18, v25, v16
	v_fma_f32 v15, -v15, v18, v24
	s_delay_alu instid0(VALU_DEP_1) | instskip(NEXT) | instid1(VALU_DEP_1)
	v_div_fmas_f32 v15, v15, v16, v18
	v_div_fixup_f32 v2, v15, v17, v2
	v_mov_b32_e32 v15, 0x7f
	s_delay_alu instid0(VALU_DEP_2) | instskip(SKIP_1) | instid1(VALU_DEP_2)
	v_minmax_f32 v16, v2, s7, 0xc3e00000
	v_mov_b32_e32 v2, 0x7f
	v_and_b32_e32 v18, 0x7fffffff, v16
	s_delay_alu instid0(VALU_DEP_1)
	v_cmpx_gt_u32_e32 0x43f00000, v18
	s_cbranch_execz .LBB18_119
; %bb.114:                              ;   in Loop: Header=BB18_63 Depth=1
	s_mov_b32 s15, exec_lo
                                        ; implicit-def: $vgpr15
	v_cmpx_lt_u32_e32 0x3c7fffff, v18
	s_xor_b32 s15, exec_lo, s15
; %bb.115:                              ;   in Loop: Header=BB18_63 Depth=1
	v_bfe_u32 v6, v16, 20, 1
	s_delay_alu instid0(VALU_DEP_1) | instskip(NEXT) | instid1(VALU_DEP_1)
	v_add3_u32 v6, v16, v6, 0x407ffff
	v_lshrrev_b32_e32 v15, 20, v6
; %bb.116:                              ;   in Loop: Header=BB18_63 Depth=1
	s_and_not1_saveexec_b32 s15, s15
; %bb.117:                              ;   in Loop: Header=BB18_63 Depth=1
	v_add_f32_e64 v15, 0x46800000, |v16|
; %bb.118:                              ;   in Loop: Header=BB18_63 Depth=1
	s_or_b32 exec_lo, exec_lo, s15
.LBB18_119:                             ;   in Loop: Header=BB18_63 Depth=1
	s_delay_alu instid0(SALU_CYCLE_1) | instskip(SKIP_2) | instid1(VALU_DEP_1)
	s_or_b32 exec_lo, exec_lo, s14
	v_mul_f32_e32 v6, v28, v7
	s_mov_b32 s14, exec_lo
	v_mul_f32_e32 v3, v3, v6
	s_delay_alu instid0(VALU_DEP_1) | instskip(NEXT) | instid1(VALU_DEP_1)
	v_div_scale_f32 v6, null, v17, v17, v3
	v_rcp_f32_e32 v7, v6
	s_waitcnt_depctr 0xfff
	v_fma_f32 v18, -v6, v7, 1.0
	s_delay_alu instid0(VALU_DEP_1) | instskip(SKIP_1) | instid1(VALU_DEP_1)
	v_fmac_f32_e32 v7, v18, v7
	v_div_scale_f32 v18, vcc_lo, v3, v17, v3
	v_mul_f32_e32 v19, v18, v7
	s_delay_alu instid0(VALU_DEP_1) | instskip(NEXT) | instid1(VALU_DEP_1)
	v_fma_f32 v20, -v6, v19, v18
	v_fmac_f32_e32 v19, v20, v7
	s_delay_alu instid0(VALU_DEP_1) | instskip(NEXT) | instid1(VALU_DEP_1)
	v_fma_f32 v6, -v6, v19, v18
	v_div_fmas_f32 v6, v6, v7, v19
	s_delay_alu instid0(VALU_DEP_1) | instskip(NEXT) | instid1(VALU_DEP_1)
	v_div_fixup_f32 v3, v6, v17, v3
	v_minmax_f32 v3, v3, s7, 0xc3e00000
	s_delay_alu instid0(VALU_DEP_1) | instskip(NEXT) | instid1(VALU_DEP_1)
	v_and_b32_e32 v6, 0x7fffffff, v3
	v_cmpx_gt_u32_e32 0x43f00000, v6
	s_cbranch_execz .LBB18_125
; %bb.120:                              ;   in Loop: Header=BB18_63 Depth=1
	s_mov_b32 s15, exec_lo
                                        ; implicit-def: $vgpr2
	v_cmpx_lt_u32_e32 0x3c7fffff, v6
	s_xor_b32 s15, exec_lo, s15
; %bb.121:                              ;   in Loop: Header=BB18_63 Depth=1
	v_bfe_u32 v2, v3, 20, 1
	s_delay_alu instid0(VALU_DEP_1) | instskip(NEXT) | instid1(VALU_DEP_1)
	v_add3_u32 v2, v3, v2, 0x407ffff
	v_lshrrev_b32_e32 v2, 20, v2
; %bb.122:                              ;   in Loop: Header=BB18_63 Depth=1
	s_and_not1_saveexec_b32 s15, s15
; %bb.123:                              ;   in Loop: Header=BB18_63 Depth=1
	v_add_f32_e64 v2, 0x46800000, |v3|
; %bb.124:                              ;   in Loop: Header=BB18_63 Depth=1
	s_or_b32 exec_lo, exec_lo, s15
.LBB18_125:                             ;   in Loop: Header=BB18_63 Depth=1
	s_delay_alu instid0(SALU_CYCLE_1) | instskip(SKIP_2) | instid1(VALU_DEP_1)
	s_or_b32 exec_lo, exec_lo, s14
	v_mul_f32_e32 v6, v28, v8
	s_mov_b32 s14, exec_lo
	v_mul_f32_e32 v4, v4, v6
	s_delay_alu instid0(VALU_DEP_1) | instskip(SKIP_1) | instid1(VALU_DEP_2)
	v_div_scale_f32 v6, null, v17, v17, v4
	v_div_scale_f32 v18, vcc_lo, v4, v17, v4
	v_rcp_f32_e32 v7, v6
	s_waitcnt_depctr 0xfff
	v_fma_f32 v8, -v6, v7, 1.0
	s_delay_alu instid0(VALU_DEP_1) | instskip(NEXT) | instid1(VALU_DEP_1)
	v_fmac_f32_e32 v7, v8, v7
	v_mul_f32_e32 v8, v18, v7
	s_delay_alu instid0(VALU_DEP_1) | instskip(NEXT) | instid1(VALU_DEP_1)
	v_fma_f32 v19, -v6, v8, v18
	v_fmac_f32_e32 v8, v19, v7
	s_delay_alu instid0(VALU_DEP_1) | instskip(NEXT) | instid1(VALU_DEP_1)
	v_fma_f32 v6, -v6, v8, v18
	v_div_fmas_f32 v6, v6, v7, v8
	s_delay_alu instid0(VALU_DEP_1) | instskip(SKIP_1) | instid1(VALU_DEP_2)
	v_div_fixup_f32 v4, v6, v17, v4
	v_mov_b32_e32 v6, 0x7f
	v_minmax_f32 v7, v4, s7, 0xc3e00000
	v_mov_b32_e32 v4, 0x7f
	s_delay_alu instid0(VALU_DEP_2) | instskip(NEXT) | instid1(VALU_DEP_1)
	v_and_b32_e32 v8, 0x7fffffff, v7
	v_cmpx_gt_u32_e32 0x43f00000, v8
	s_cbranch_execz .LBB18_131
; %bb.126:                              ;   in Loop: Header=BB18_63 Depth=1
	s_mov_b32 s15, exec_lo
                                        ; implicit-def: $vgpr6
	v_cmpx_lt_u32_e32 0x3c7fffff, v8
	s_xor_b32 s15, exec_lo, s15
; %bb.127:                              ;   in Loop: Header=BB18_63 Depth=1
	v_bfe_u32 v6, v7, 20, 1
	s_delay_alu instid0(VALU_DEP_1) | instskip(NEXT) | instid1(VALU_DEP_1)
	v_add3_u32 v6, v7, v6, 0x407ffff
	v_lshrrev_b32_e32 v6, 20, v6
; %bb.128:                              ;   in Loop: Header=BB18_63 Depth=1
	s_and_not1_saveexec_b32 s15, s15
; %bb.129:                              ;   in Loop: Header=BB18_63 Depth=1
	v_add_f32_e64 v6, 0x46800000, |v7|
; %bb.130:                              ;   in Loop: Header=BB18_63 Depth=1
	s_or_b32 exec_lo, exec_lo, s15
.LBB18_131:                             ;   in Loop: Header=BB18_63 Depth=1
	s_delay_alu instid0(SALU_CYCLE_1) | instskip(SKIP_2) | instid1(VALU_DEP_1)
	s_or_b32 exec_lo, exec_lo, s14
	v_mul_f32_e32 v8, v28, v9
	s_mov_b32 s14, exec_lo
	v_mul_f32_e32 v5, v5, v8
	s_delay_alu instid0(VALU_DEP_1) | instskip(NEXT) | instid1(VALU_DEP_1)
	v_div_scale_f32 v8, null, v17, v17, v5
	v_rcp_f32_e32 v9, v8
	s_waitcnt_depctr 0xfff
	v_fma_f32 v18, -v8, v9, 1.0
	s_delay_alu instid0(VALU_DEP_1) | instskip(SKIP_1) | instid1(VALU_DEP_1)
	v_fmac_f32_e32 v9, v18, v9
	v_div_scale_f32 v18, vcc_lo, v5, v17, v5
	v_mul_f32_e32 v19, v18, v9
	s_delay_alu instid0(VALU_DEP_1) | instskip(NEXT) | instid1(VALU_DEP_1)
	v_fma_f32 v20, -v8, v19, v18
	v_fmac_f32_e32 v19, v20, v9
	s_delay_alu instid0(VALU_DEP_1) | instskip(NEXT) | instid1(VALU_DEP_1)
	v_fma_f32 v8, -v8, v19, v18
	v_div_fmas_f32 v8, v8, v9, v19
	s_delay_alu instid0(VALU_DEP_1) | instskip(NEXT) | instid1(VALU_DEP_1)
	v_div_fixup_f32 v5, v8, v17, v5
	v_minmax_f32 v5, v5, s7, 0xc3e00000
	s_delay_alu instid0(VALU_DEP_1) | instskip(NEXT) | instid1(VALU_DEP_1)
	v_and_b32_e32 v8, 0x7fffffff, v5
	v_cmpx_gt_u32_e32 0x43f00000, v8
	s_cbranch_execz .LBB18_137
; %bb.132:                              ;   in Loop: Header=BB18_63 Depth=1
	s_mov_b32 s15, exec_lo
                                        ; implicit-def: $vgpr4
	v_cmpx_lt_u32_e32 0x3c7fffff, v8
	s_xor_b32 s15, exec_lo, s15
; %bb.133:                              ;   in Loop: Header=BB18_63 Depth=1
	v_bfe_u32 v4, v5, 20, 1
	s_delay_alu instid0(VALU_DEP_1) | instskip(NEXT) | instid1(VALU_DEP_1)
	v_add3_u32 v4, v5, v4, 0x407ffff
	v_lshrrev_b32_e32 v4, 20, v4
; %bb.134:                              ;   in Loop: Header=BB18_63 Depth=1
	s_and_not1_saveexec_b32 s15, s15
; %bb.135:                              ;   in Loop: Header=BB18_63 Depth=1
	v_add_f32_e64 v4, 0x46800000, |v5|
; %bb.136:                              ;   in Loop: Header=BB18_63 Depth=1
	s_or_b32 exec_lo, exec_lo, s15
.LBB18_137:                             ;   in Loop: Header=BB18_63 Depth=1
	s_delay_alu instid0(SALU_CYCLE_1)
	s_or_b32 exec_lo, exec_lo, s14
	v_lshrrev_b32_e32 v7, 24, v7
	v_lshrrev_b32_e32 v3, 24, v3
	;; [unrolled: 1-line block ×3, first 2 shown]
	v_lshlrev_b32_e32 v4, 24, v4
	v_and_b32_e32 v5, 0x80000000, v5
	v_and_b32_e32 v7, 0x80, v7
	;; [unrolled: 1-line block ×3, first 2 shown]
	v_add_nc_u32_e32 v0, s2, v0
	s_mov_b32 s15, -1
	s_mov_b32 s14, exec_lo
	v_and_or_b32 v6, 0xff, v6, v7
	v_and_b32_e32 v7, 0xff, v15
	v_and_or_b32 v9, 0xff, v2, v3
	v_lshlrev_b64 v[2:3], 2, v[11:12]
	s_delay_alu instid0(VALU_DEP_4) | instskip(NEXT) | instid1(VALU_DEP_4)
	v_lshlrev_b32_e32 v6, 16, v6
	v_and_or_b32 v7, 0x80, v8, v7
	s_delay_alu instid0(VALU_DEP_4) | instskip(NEXT) | instid1(VALU_DEP_4)
	v_lshlrev_b32_e32 v8, 8, v9
	v_add_co_u32 v2, vcc_lo, s0, v2
	s_delay_alu instid0(VALU_DEP_4) | instskip(SKIP_1) | instid1(VALU_DEP_2)
	v_or3_b32 v4, v5, v4, v6
	v_add_co_ci_u32_e32 v3, vcc_lo, s1, v3, vcc_lo
	v_or3_b32 v4, v4, v8, v7
	global_store_b32 v[2:3], v4, off
	v_cmpx_gt_u32_e64 s8, v0
	s_cbranch_execz .LBB18_60
; %bb.138:                              ;   in Loop: Header=BB18_63 Depth=1
	v_lshlrev_b64 v[4:5], 4, v[0:1]
	v_bfe_u32 v8, v0, 5, 25
	s_mov_b32 s15, exec_lo
	s_delay_alu instid0(VALU_DEP_1) | instskip(NEXT) | instid1(VALU_DEP_3)
	v_mad_u64_u32 v[2:3], null, v13, v8, 0
	v_add_co_u32 v6, vcc_lo, s28, v4
	s_delay_alu instid0(VALU_DEP_4)
	v_add_co_ci_u32_e32 v7, vcc_lo, s29, v5, vcc_lo
	v_add_co_u32 v20, vcc_lo, s30, v4
	v_add_co_ci_u32_e32 v21, vcc_lo, s31, v5, vcc_lo
	v_mad_u64_u32 v[11:12], null, v14, v8, v[3:4]
	global_load_b128 v[6:9], v[6:7], off
	global_load_b128 v[16:19], v[20:21], off
	v_add_co_u32 v4, vcc_lo, s10, v4
	v_add_co_ci_u32_e32 v5, vcc_lo, s11, v5, vcc_lo
	s_waitcnt vmcnt(0)
	v_dual_mov_b32 v3, v11 :: v_dual_add_f32 v6, v6, v16
	s_delay_alu instid0(VALU_DEP_1)
	v_lshlrev_b64 v[11:12], 2, v[2:3]
	global_load_b128 v[2:5], v[4:5], off
	v_dual_add_f32 v8, v8, v18 :: v_dual_add_f32 v7, v7, v17
	v_add_f32_e32 v9, v9, v19
	v_add_co_u32 v11, vcc_lo, s4, v11
	v_add_co_ci_u32_e32 v12, vcc_lo, s5, v12, vcc_lo
	global_store_b128 v[20:21], v[6:9], off
	global_load_b32 v15, v[11:12], off
	v_mul_f32_e32 v11, v28, v6
	s_waitcnt vmcnt(1)
	s_delay_alu instid0(VALU_DEP_1) | instskip(SKIP_1) | instid1(VALU_DEP_1)
	v_mul_f32_e32 v2, v2, v11
	s_waitcnt vmcnt(0)
	v_div_scale_f32 v11, null, v15, v15, v2
	v_div_scale_f32 v22, vcc_lo, v2, v15, v2
	s_delay_alu instid0(VALU_DEP_2) | instskip(SKIP_2) | instid1(VALU_DEP_1)
	v_rcp_f32_e32 v12, v11
	s_waitcnt_depctr 0xfff
	v_fma_f32 v16, -v11, v12, 1.0
	v_fmac_f32_e32 v12, v16, v12
	s_delay_alu instid0(VALU_DEP_1) | instskip(NEXT) | instid1(VALU_DEP_1)
	v_mul_f32_e32 v16, v22, v12
	v_fma_f32 v23, -v11, v16, v22
	s_delay_alu instid0(VALU_DEP_1) | instskip(NEXT) | instid1(VALU_DEP_1)
	v_fmac_f32_e32 v16, v23, v12
	v_fma_f32 v11, -v11, v16, v22
	s_delay_alu instid0(VALU_DEP_1) | instskip(NEXT) | instid1(VALU_DEP_1)
	v_div_fmas_f32 v11, v11, v12, v16
	v_div_fixup_f32 v2, v11, v15, v2
	v_mov_b32_e32 v11, 0x7f
	s_delay_alu instid0(VALU_DEP_2) | instskip(SKIP_1) | instid1(VALU_DEP_2)
	v_minmax_f32 v12, v2, s7, 0xc3e00000
	v_mov_b32_e32 v2, 0x7f
	v_and_b32_e32 v16, 0x7fffffff, v12
	s_delay_alu instid0(VALU_DEP_1)
	v_cmpx_gt_u32_e32 0x43f00000, v16
	s_cbranch_execz .LBB18_144
; %bb.139:                              ;   in Loop: Header=BB18_63 Depth=1
	s_mov_b32 s16, exec_lo
                                        ; implicit-def: $vgpr11
	v_cmpx_lt_u32_e32 0x3c7fffff, v16
	s_xor_b32 s16, exec_lo, s16
; %bb.140:                              ;   in Loop: Header=BB18_63 Depth=1
	v_bfe_u32 v6, v12, 20, 1
	s_delay_alu instid0(VALU_DEP_1) | instskip(NEXT) | instid1(VALU_DEP_1)
	v_add3_u32 v6, v12, v6, 0x407ffff
	v_lshrrev_b32_e32 v11, 20, v6
; %bb.141:                              ;   in Loop: Header=BB18_63 Depth=1
	s_and_not1_saveexec_b32 s16, s16
; %bb.142:                              ;   in Loop: Header=BB18_63 Depth=1
	v_add_f32_e64 v11, 0x46800000, |v12|
; %bb.143:                              ;   in Loop: Header=BB18_63 Depth=1
	s_or_b32 exec_lo, exec_lo, s16
.LBB18_144:                             ;   in Loop: Header=BB18_63 Depth=1
	s_delay_alu instid0(SALU_CYCLE_1) | instskip(SKIP_2) | instid1(VALU_DEP_1)
	s_or_b32 exec_lo, exec_lo, s15
	v_mul_f32_e32 v6, v28, v7
	s_mov_b32 s15, exec_lo
	v_mul_f32_e32 v3, v3, v6
	s_delay_alu instid0(VALU_DEP_1) | instskip(NEXT) | instid1(VALU_DEP_1)
	v_div_scale_f32 v6, null, v15, v15, v3
	v_rcp_f32_e32 v7, v6
	s_waitcnt_depctr 0xfff
	v_fma_f32 v16, -v6, v7, 1.0
	s_delay_alu instid0(VALU_DEP_1) | instskip(SKIP_1) | instid1(VALU_DEP_1)
	v_fmac_f32_e32 v7, v16, v7
	v_div_scale_f32 v16, vcc_lo, v3, v15, v3
	v_mul_f32_e32 v17, v16, v7
	s_delay_alu instid0(VALU_DEP_1) | instskip(NEXT) | instid1(VALU_DEP_1)
	v_fma_f32 v18, -v6, v17, v16
	v_fmac_f32_e32 v17, v18, v7
	s_delay_alu instid0(VALU_DEP_1) | instskip(NEXT) | instid1(VALU_DEP_1)
	v_fma_f32 v6, -v6, v17, v16
	v_div_fmas_f32 v6, v6, v7, v17
	s_delay_alu instid0(VALU_DEP_1) | instskip(NEXT) | instid1(VALU_DEP_1)
	v_div_fixup_f32 v3, v6, v15, v3
	v_minmax_f32 v3, v3, s7, 0xc3e00000
	s_delay_alu instid0(VALU_DEP_1) | instskip(NEXT) | instid1(VALU_DEP_1)
	v_and_b32_e32 v6, 0x7fffffff, v3
	v_cmpx_gt_u32_e32 0x43f00000, v6
	s_cbranch_execz .LBB18_150
; %bb.145:                              ;   in Loop: Header=BB18_63 Depth=1
	s_mov_b32 s16, exec_lo
                                        ; implicit-def: $vgpr2
	v_cmpx_lt_u32_e32 0x3c7fffff, v6
	s_xor_b32 s16, exec_lo, s16
; %bb.146:                              ;   in Loop: Header=BB18_63 Depth=1
	v_bfe_u32 v2, v3, 20, 1
	s_delay_alu instid0(VALU_DEP_1) | instskip(NEXT) | instid1(VALU_DEP_1)
	v_add3_u32 v2, v3, v2, 0x407ffff
	v_lshrrev_b32_e32 v2, 20, v2
; %bb.147:                              ;   in Loop: Header=BB18_63 Depth=1
	s_and_not1_saveexec_b32 s16, s16
; %bb.148:                              ;   in Loop: Header=BB18_63 Depth=1
	v_add_f32_e64 v2, 0x46800000, |v3|
; %bb.149:                              ;   in Loop: Header=BB18_63 Depth=1
	s_or_b32 exec_lo, exec_lo, s16
.LBB18_150:                             ;   in Loop: Header=BB18_63 Depth=1
	s_delay_alu instid0(SALU_CYCLE_1) | instskip(SKIP_2) | instid1(VALU_DEP_1)
	s_or_b32 exec_lo, exec_lo, s15
	v_mul_f32_e32 v6, v28, v8
	s_mov_b32 s15, exec_lo
	v_mul_f32_e32 v4, v4, v6
	s_delay_alu instid0(VALU_DEP_1) | instskip(SKIP_1) | instid1(VALU_DEP_2)
	v_div_scale_f32 v6, null, v15, v15, v4
	v_div_scale_f32 v16, vcc_lo, v4, v15, v4
	v_rcp_f32_e32 v7, v6
	s_waitcnt_depctr 0xfff
	v_fma_f32 v8, -v6, v7, 1.0
	s_delay_alu instid0(VALU_DEP_1) | instskip(NEXT) | instid1(VALU_DEP_1)
	v_fmac_f32_e32 v7, v8, v7
	v_mul_f32_e32 v8, v16, v7
	s_delay_alu instid0(VALU_DEP_1) | instskip(NEXT) | instid1(VALU_DEP_1)
	v_fma_f32 v17, -v6, v8, v16
	v_fmac_f32_e32 v8, v17, v7
	s_delay_alu instid0(VALU_DEP_1) | instskip(NEXT) | instid1(VALU_DEP_1)
	v_fma_f32 v6, -v6, v8, v16
	v_div_fmas_f32 v6, v6, v7, v8
	s_delay_alu instid0(VALU_DEP_1) | instskip(SKIP_1) | instid1(VALU_DEP_2)
	v_div_fixup_f32 v4, v6, v15, v4
	v_mov_b32_e32 v6, 0x7f
	v_minmax_f32 v7, v4, s7, 0xc3e00000
	v_mov_b32_e32 v4, 0x7f
	s_delay_alu instid0(VALU_DEP_2) | instskip(NEXT) | instid1(VALU_DEP_1)
	v_and_b32_e32 v8, 0x7fffffff, v7
	v_cmpx_gt_u32_e32 0x43f00000, v8
	s_cbranch_execz .LBB18_156
; %bb.151:                              ;   in Loop: Header=BB18_63 Depth=1
	s_mov_b32 s16, exec_lo
                                        ; implicit-def: $vgpr6
	v_cmpx_lt_u32_e32 0x3c7fffff, v8
	s_xor_b32 s16, exec_lo, s16
; %bb.152:                              ;   in Loop: Header=BB18_63 Depth=1
	v_bfe_u32 v6, v7, 20, 1
	s_delay_alu instid0(VALU_DEP_1) | instskip(NEXT) | instid1(VALU_DEP_1)
	v_add3_u32 v6, v7, v6, 0x407ffff
	v_lshrrev_b32_e32 v6, 20, v6
; %bb.153:                              ;   in Loop: Header=BB18_63 Depth=1
	s_and_not1_saveexec_b32 s16, s16
; %bb.154:                              ;   in Loop: Header=BB18_63 Depth=1
	v_add_f32_e64 v6, 0x46800000, |v7|
; %bb.155:                              ;   in Loop: Header=BB18_63 Depth=1
	s_or_b32 exec_lo, exec_lo, s16
.LBB18_156:                             ;   in Loop: Header=BB18_63 Depth=1
	s_delay_alu instid0(SALU_CYCLE_1) | instskip(SKIP_2) | instid1(VALU_DEP_1)
	s_or_b32 exec_lo, exec_lo, s15
	v_mul_f32_e32 v8, v28, v9
	s_mov_b32 s15, exec_lo
	v_mul_f32_e32 v5, v5, v8
	s_delay_alu instid0(VALU_DEP_1) | instskip(NEXT) | instid1(VALU_DEP_1)
	v_div_scale_f32 v8, null, v15, v15, v5
	v_rcp_f32_e32 v9, v8
	s_waitcnt_depctr 0xfff
	v_fma_f32 v16, -v8, v9, 1.0
	s_delay_alu instid0(VALU_DEP_1) | instskip(SKIP_1) | instid1(VALU_DEP_1)
	v_fmac_f32_e32 v9, v16, v9
	v_div_scale_f32 v16, vcc_lo, v5, v15, v5
	v_mul_f32_e32 v17, v16, v9
	s_delay_alu instid0(VALU_DEP_1) | instskip(NEXT) | instid1(VALU_DEP_1)
	v_fma_f32 v18, -v8, v17, v16
	v_fmac_f32_e32 v17, v18, v9
	s_delay_alu instid0(VALU_DEP_1) | instskip(NEXT) | instid1(VALU_DEP_1)
	v_fma_f32 v8, -v8, v17, v16
	v_div_fmas_f32 v8, v8, v9, v17
	s_delay_alu instid0(VALU_DEP_1) | instskip(NEXT) | instid1(VALU_DEP_1)
	v_div_fixup_f32 v5, v8, v15, v5
	v_minmax_f32 v5, v5, s7, 0xc3e00000
	s_delay_alu instid0(VALU_DEP_1) | instskip(NEXT) | instid1(VALU_DEP_1)
	v_and_b32_e32 v8, 0x7fffffff, v5
	v_cmpx_gt_u32_e32 0x43f00000, v8
	s_cbranch_execz .LBB18_59
; %bb.157:                              ;   in Loop: Header=BB18_63 Depth=1
	s_mov_b32 s16, exec_lo
                                        ; implicit-def: $vgpr4
	v_cmpx_lt_u32_e32 0x3c7fffff, v8
	s_xor_b32 s16, exec_lo, s16
; %bb.158:                              ;   in Loop: Header=BB18_63 Depth=1
	v_bfe_u32 v4, v5, 20, 1
	s_delay_alu instid0(VALU_DEP_1) | instskip(NEXT) | instid1(VALU_DEP_1)
	v_add3_u32 v4, v5, v4, 0x407ffff
	v_lshrrev_b32_e32 v4, 20, v4
; %bb.159:                              ;   in Loop: Header=BB18_63 Depth=1
	s_and_not1_saveexec_b32 s16, s16
	s_cbranch_execz .LBB18_58
; %bb.160:                              ;   in Loop: Header=BB18_63 Depth=1
	v_add_f32_e64 v4, 0x46800000, |v5|
	s_branch .LBB18_58
.LBB18_161:
	s_nop 0
	s_sendmsg sendmsg(MSG_DEALLOC_VGPRS)
	s_endpgm
.LBB18_162:
                                        ; implicit-def: $vgpr3_vgpr4
	s_branch .LBB18_51
.LBB18_163:
                                        ; implicit-def: $vgpr1_vgpr2
	s_branch .LBB18_56
	.section	.rodata,"a",@progbits
	.p2align	6, 0x0
	.amdhsa_kernel _ZN4vllm31rms_norm_per_block_quant_kernelIfN3c1013Float8_e4m3fnELb1ELb1ELi128EEEvPT0_PfPKT_S8_PKffiiPS6_l
		.amdhsa_group_segment_fixed_size 4228
		.amdhsa_private_segment_fixed_size 0
		.amdhsa_kernarg_size 328
		.amdhsa_user_sgpr_count 15
		.amdhsa_user_sgpr_dispatch_ptr 0
		.amdhsa_user_sgpr_queue_ptr 0
		.amdhsa_user_sgpr_kernarg_segment_ptr 1
		.amdhsa_user_sgpr_dispatch_id 0
		.amdhsa_user_sgpr_private_segment_size 0
		.amdhsa_wavefront_size32 1
		.amdhsa_uses_dynamic_stack 0
		.amdhsa_enable_private_segment 0
		.amdhsa_system_sgpr_workgroup_id_x 1
		.amdhsa_system_sgpr_workgroup_id_y 0
		.amdhsa_system_sgpr_workgroup_id_z 0
		.amdhsa_system_sgpr_workgroup_info 0
		.amdhsa_system_vgpr_workitem_id 0
		.amdhsa_next_free_vgpr 37
		.amdhsa_next_free_sgpr 42
		.amdhsa_reserve_vcc 1
		.amdhsa_float_round_mode_32 0
		.amdhsa_float_round_mode_16_64 0
		.amdhsa_float_denorm_mode_32 3
		.amdhsa_float_denorm_mode_16_64 3
		.amdhsa_dx10_clamp 1
		.amdhsa_ieee_mode 1
		.amdhsa_fp16_overflow 0
		.amdhsa_workgroup_processor_mode 1
		.amdhsa_memory_ordered 1
		.amdhsa_forward_progress 0
		.amdhsa_shared_vgpr_count 0
		.amdhsa_exception_fp_ieee_invalid_op 0
		.amdhsa_exception_fp_denorm_src 0
		.amdhsa_exception_fp_ieee_div_zero 0
		.amdhsa_exception_fp_ieee_overflow 0
		.amdhsa_exception_fp_ieee_underflow 0
		.amdhsa_exception_fp_ieee_inexact 0
		.amdhsa_exception_int_div_zero 0
	.end_amdhsa_kernel
	.section	.text._ZN4vllm31rms_norm_per_block_quant_kernelIfN3c1013Float8_e4m3fnELb1ELb1ELi128EEEvPT0_PfPKT_S8_PKffiiPS6_l,"axG",@progbits,_ZN4vllm31rms_norm_per_block_quant_kernelIfN3c1013Float8_e4m3fnELb1ELb1ELi128EEEvPT0_PfPKT_S8_PKffiiPS6_l,comdat
.Lfunc_end18:
	.size	_ZN4vllm31rms_norm_per_block_quant_kernelIfN3c1013Float8_e4m3fnELb1ELb1ELi128EEEvPT0_PfPKT_S8_PKffiiPS6_l, .Lfunc_end18-_ZN4vllm31rms_norm_per_block_quant_kernelIfN3c1013Float8_e4m3fnELb1ELb1ELi128EEEvPT0_PfPKT_S8_PKffiiPS6_l
                                        ; -- End function
	.section	.AMDGPU.csdata,"",@progbits
; Kernel info:
; codeLenInByte = 11132
; NumSgprs: 44
; NumVgprs: 37
; ScratchSize: 0
; MemoryBound: 0
; FloatMode: 240
; IeeeMode: 1
; LDSByteSize: 4228 bytes/workgroup (compile time only)
; SGPRBlocks: 5
; VGPRBlocks: 4
; NumSGPRsForWavesPerEU: 44
; NumVGPRsForWavesPerEU: 37
; Occupancy: 16
; WaveLimiterHint : 0
; COMPUTE_PGM_RSRC2:SCRATCH_EN: 0
; COMPUTE_PGM_RSRC2:USER_SGPR: 15
; COMPUTE_PGM_RSRC2:TRAP_HANDLER: 0
; COMPUTE_PGM_RSRC2:TGID_X_EN: 1
; COMPUTE_PGM_RSRC2:TGID_Y_EN: 0
; COMPUTE_PGM_RSRC2:TGID_Z_EN: 0
; COMPUTE_PGM_RSRC2:TIDIG_COMP_CNT: 0
	.section	.text._ZN4vllm31rms_norm_per_block_quant_kernelIfN3c1015Float8_e4m3fnuzELb1ELb1ELi128EEEvPT0_PfPKT_S8_PKffiiPS6_l,"axG",@progbits,_ZN4vllm31rms_norm_per_block_quant_kernelIfN3c1015Float8_e4m3fnuzELb1ELb1ELi128EEEvPT0_PfPKT_S8_PKffiiPS6_l,comdat
	.protected	_ZN4vllm31rms_norm_per_block_quant_kernelIfN3c1015Float8_e4m3fnuzELb1ELb1ELi128EEEvPT0_PfPKT_S8_PKffiiPS6_l ; -- Begin function _ZN4vllm31rms_norm_per_block_quant_kernelIfN3c1015Float8_e4m3fnuzELb1ELb1ELi128EEEvPT0_PfPKT_S8_PKffiiPS6_l
	.globl	_ZN4vllm31rms_norm_per_block_quant_kernelIfN3c1015Float8_e4m3fnuzELb1ELb1ELi128EEEvPT0_PfPKT_S8_PKffiiPS6_l
	.p2align	8
	.type	_ZN4vllm31rms_norm_per_block_quant_kernelIfN3c1015Float8_e4m3fnuzELb1ELb1ELi128EEEvPT0_PfPKT_S8_PKffiiPS6_l,@function
_ZN4vllm31rms_norm_per_block_quant_kernelIfN3c1015Float8_e4m3fnuzELb1ELb1ELi128EEEvPT0_PfPKT_S8_PKffiiPS6_l: ; @_ZN4vllm31rms_norm_per_block_quant_kernelIfN3c1015Float8_e4m3fnuzELb1ELb1ELi128EEEvPT0_PfPKT_S8_PKffiiPS6_l
; %bb.0:
	s_mov_b32 s16, s15
	s_clause 0x3
	s_load_b128 s[12:15], s[0:1], 0x28
	s_load_b256 s[4:11], s[0:1], 0x0
	s_load_b64 s[2:3], s[0:1], 0x38
	s_load_b32 s34, s[0:1], 0x48
	v_mov_b32_e32 v6, 0
	s_waitcnt lgkmcnt(0)
	s_ashr_i32 s15, s14, 31
	s_mul_hi_u32 s17, s14, s16
	s_mul_i32 s15, s15, s16
	s_ashr_i32 s19, s13, 31
	s_mul_i32 s20, s14, s16
	s_add_i32 s21, s17, s15
	s_mul_hi_u32 s18, s13, s16
	s_mul_i32 s15, s19, s16
	s_lshl_b64 s[20:21], s[20:21], 2
	s_mul_i32 s14, s13, s16
	s_add_i32 s15, s18, s15
	s_add_u32 s28, s8, s20
	s_addc_u32 s29, s9, s21
	s_lshl_b64 s[8:9], s[14:15], 2
	s_mov_b32 s17, 0
	s_add_u32 s30, s2, s8
	s_addc_u32 s31, s3, s9
	s_ashr_i32 s8, s13, 2
	s_add_u32 s20, s0, 0x48
	v_cmp_gt_u32_e64 s2, s8, v0
	s_mov_b32 s18, s13
	s_addc_u32 s21, s1, 0
	s_delay_alu instid0(VALU_DEP_1)
	s_and_saveexec_b32 s3, s2
	s_cbranch_execz .LBB19_10
; %bb.1:
	s_cmp_lt_u32 s16, s34
	v_mov_b32_e32 v2, 0
	s_cselect_b32 s9, 12, 18
                                        ; implicit-def: $sgpr13
	v_mov_b32_e32 v1, v0
	s_add_u32 s22, s20, s9
	s_addc_u32 s23, s21, 0
	s_mov_b32 s9, s17
	global_load_u16 v7, v2, s[22:23]
	s_waitcnt vmcnt(0)
	v_lshlrev_b32_e32 v9, 1, v7
	v_mul_lo_u32 v8, v7, 3
	v_add_nc_u32_e32 v10, v7, v7
	v_mov_b32_e32 v6, v2
	s_branch .LBB19_5
.LBB19_2:                               ;   in Loop: Header=BB19_5 Depth=1
	s_or_b32 exec_lo, exec_lo, s24
	s_delay_alu instid0(SALU_CYCLE_1)
	s_or_not1_b32 s24, s25, exec_lo
.LBB19_3:                               ;   in Loop: Header=BB19_5 Depth=1
	s_or_b32 exec_lo, exec_lo, s23
	s_delay_alu instid0(SALU_CYCLE_1) | instskip(SKIP_1) | instid1(SALU_CYCLE_1)
	s_and_not1_b32 s13, s13, exec_lo
	s_and_b32 s23, s24, exec_lo
	s_or_b32 s13, s13, s23
.LBB19_4:                               ;   in Loop: Header=BB19_5 Depth=1
	s_or_b32 exec_lo, exec_lo, s22
	s_delay_alu instid0(SALU_CYCLE_1) | instskip(NEXT) | instid1(SALU_CYCLE_1)
	s_and_b32 s22, exec_lo, s13
	s_or_b32 s9, s22, s9
	s_delay_alu instid0(SALU_CYCLE_1)
	s_and_not1_b32 exec_lo, exec_lo, s9
	s_cbranch_execz .LBB19_9
.LBB19_5:                               ; =>This Inner Loop Header: Depth=1
	v_lshlrev_b64 v[3:4], 4, v[1:2]
	s_or_b32 s13, s13, exec_lo
	s_mov_b32 s22, exec_lo
	s_delay_alu instid0(VALU_DEP_1) | instskip(NEXT) | instid1(VALU_DEP_2)
	v_add_co_u32 v11, vcc_lo, s28, v3
	v_add_co_ci_u32_e32 v12, vcc_lo, s29, v4, vcc_lo
	v_add_co_u32 v3, vcc_lo, s30, v3
	v_add_co_ci_u32_e32 v4, vcc_lo, s31, v4, vcc_lo
	global_load_b128 v[11:14], v[11:12], off
	global_load_b128 v[15:18], v[3:4], off
	s_waitcnt vmcnt(0)
	v_dual_add_f32 v3, v11, v15 :: v_dual_add_f32 v4, v12, v16
	s_delay_alu instid0(VALU_DEP_1) | instskip(NEXT) | instid1(VALU_DEP_1)
	v_dual_fmac_f32 v6, v3, v3 :: v_dual_add_f32 v3, v13, v17
	v_fmac_f32_e32 v6, v4, v4
	v_add_f32_e32 v4, v14, v18
	s_delay_alu instid0(VALU_DEP_2) | instskip(NEXT) | instid1(VALU_DEP_1)
	v_fmac_f32_e32 v6, v3, v3
	v_dual_fmac_f32 v6, v4, v4 :: v_dual_add_nc_u32 v3, v1, v7
	s_delay_alu instid0(VALU_DEP_1)
	v_cmpx_gt_u32_e64 s8, v3
	s_cbranch_execz .LBB19_4
; %bb.6:                                ;   in Loop: Header=BB19_5 Depth=1
	v_mov_b32_e32 v4, v2
	s_mov_b32 s24, -1
	s_mov_b32 s23, exec_lo
	s_delay_alu instid0(VALU_DEP_1) | instskip(NEXT) | instid1(VALU_DEP_1)
	v_lshlrev_b64 v[4:5], 4, v[3:4]
	v_add_co_u32 v11, vcc_lo, s28, v4
	s_delay_alu instid0(VALU_DEP_2)
	v_add_co_ci_u32_e32 v12, vcc_lo, s29, v5, vcc_lo
	v_add_co_u32 v4, vcc_lo, s30, v4
	v_add_co_ci_u32_e32 v5, vcc_lo, s31, v5, vcc_lo
	global_load_b128 v[11:14], v[11:12], off
	global_load_b128 v[15:18], v[4:5], off
	s_waitcnt vmcnt(0)
	v_dual_add_f32 v5, v12, v16 :: v_dual_add_f32 v4, v11, v15
	s_delay_alu instid0(VALU_DEP_1) | instskip(SKIP_1) | instid1(VALU_DEP_2)
	v_fmac_f32_e32 v6, v4, v4
	v_add_f32_e32 v4, v13, v17
	v_dual_fmac_f32 v6, v5, v5 :: v_dual_add_f32 v5, v14, v18
	s_delay_alu instid0(VALU_DEP_1) | instskip(SKIP_1) | instid1(VALU_DEP_2)
	v_fmac_f32_e32 v6, v4, v4
	v_add_nc_u32_e32 v4, v9, v1
	v_fmac_f32_e32 v6, v5, v5
	s_delay_alu instid0(VALU_DEP_2)
	v_cmpx_gt_u32_e64 s8, v4
	s_cbranch_execz .LBB19_3
; %bb.7:                                ;   in Loop: Header=BB19_5 Depth=1
	v_mov_b32_e32 v5, v2
	v_add_nc_u32_e32 v1, v8, v1
	s_mov_b32 s25, -1
	s_mov_b32 s24, exec_lo
	s_delay_alu instid0(VALU_DEP_2) | instskip(NEXT) | instid1(VALU_DEP_1)
	v_lshlrev_b64 v[4:5], 4, v[4:5]
	v_add_co_u32 v11, vcc_lo, s28, v4
	s_delay_alu instid0(VALU_DEP_2)
	v_add_co_ci_u32_e32 v12, vcc_lo, s29, v5, vcc_lo
	v_add_co_u32 v4, vcc_lo, s30, v4
	v_add_co_ci_u32_e32 v5, vcc_lo, s31, v5, vcc_lo
	global_load_b128 v[11:14], v[11:12], off
	global_load_b128 v[15:18], v[4:5], off
	s_waitcnt vmcnt(0)
	v_dual_add_f32 v4, v11, v15 :: v_dual_add_f32 v5, v12, v16
	s_delay_alu instid0(VALU_DEP_1) | instskip(SKIP_1) | instid1(VALU_DEP_2)
	v_fmac_f32_e32 v6, v4, v4
	v_add_f32_e32 v4, v13, v17
	v_dual_fmac_f32 v6, v5, v5 :: v_dual_add_f32 v5, v14, v18
	s_delay_alu instid0(VALU_DEP_1) | instskip(NEXT) | instid1(VALU_DEP_1)
	v_fmac_f32_e32 v6, v4, v4
	v_fmac_f32_e32 v6, v5, v5
	v_cmpx_gt_u32_e64 s8, v1
	s_xor_b32 s24, exec_lo, s24
	s_cbranch_execz .LBB19_2
; %bb.8:                                ;   in Loop: Header=BB19_5 Depth=1
	v_lshlrev_b64 v[4:5], 4, v[1:2]
	s_delay_alu instid0(VALU_DEP_1) | instskip(NEXT) | instid1(VALU_DEP_2)
	v_add_co_u32 v11, vcc_lo, s28, v4
	v_add_co_ci_u32_e32 v12, vcc_lo, s29, v5, vcc_lo
	v_add_co_u32 v4, vcc_lo, s30, v4
	v_add_co_ci_u32_e32 v5, vcc_lo, s31, v5, vcc_lo
	global_load_b128 v[11:14], v[11:12], off
	global_load_b128 v[15:18], v[4:5], off
	s_waitcnt vmcnt(0)
	v_dual_add_f32 v1, v11, v15 :: v_dual_add_f32 v4, v12, v16
	s_delay_alu instid0(VALU_DEP_1) | instskip(SKIP_2) | instid1(VALU_DEP_3)
	v_fmac_f32_e32 v6, v1, v1
	v_add3_u32 v1, v10, v7, v3
	v_add_f32_e32 v3, v14, v18
	v_dual_add_f32 v5, v13, v17 :: v_dual_fmac_f32 v6, v4, v4
	s_delay_alu instid0(VALU_DEP_3) | instskip(NEXT) | instid1(VALU_DEP_2)
	v_cmp_le_u32_e32 vcc_lo, s8, v1
	v_fmac_f32_e32 v6, v5, v5
	s_or_not1_b32 s25, vcc_lo, exec_lo
	s_delay_alu instid0(VALU_DEP_1)
	v_fmac_f32_e32 v6, v3, v3
	s_branch .LBB19_2
.LBB19_9:
	s_or_b32 exec_lo, exec_lo, s9
.LBB19_10:
	s_delay_alu instid0(SALU_CYCLE_1) | instskip(SKIP_4) | instid1(VALU_DEP_2)
	s_or_b32 exec_lo, exec_lo, s3
	v_mbcnt_lo_u32_b32 v1, -1, 0
	s_load_b32 s3, s[20:21], 0xc
	v_and_b32_e32 v7, 0x3e0, v0
	s_mov_b32 s9, exec_lo
	v_cmp_ne_u32_e32 vcc_lo, 31, v1
	v_add_nc_u32_e32 v3, 1, v1
	v_add_co_ci_u32_e32 v2, vcc_lo, 0, v1, vcc_lo
	v_cmp_gt_u32_e32 vcc_lo, 30, v1
	s_delay_alu instid0(VALU_DEP_2)
	v_lshlrev_b32_e32 v2, 2, v2
	v_cndmask_b32_e64 v5, 0, 1, vcc_lo
	ds_bpermute_b32 v4, v2, v6
	s_waitcnt lgkmcnt(0)
	s_and_b32 s3, s3, 0xffff
	v_lshlrev_b32_e32 v5, 1, v5
	v_sub_nc_u32_e64 v12, s3, v7 clamp
	s_delay_alu instid0(VALU_DEP_1) | instskip(SKIP_1) | instid1(VALU_DEP_4)
	v_cmp_lt_u32_e32 vcc_lo, v3, v12
	v_add_f32_e32 v7, v6, v4
	v_add_lshl_u32 v4, v5, v1, 2
	s_delay_alu instid0(VALU_DEP_2) | instskip(SKIP_2) | instid1(VALU_DEP_1)
	v_cndmask_b32_e32 v7, v6, v7, vcc_lo
	v_cmp_gt_u32_e32 vcc_lo, 28, v1
	v_cndmask_b32_e64 v5, 0, 1, vcc_lo
	v_lshlrev_b32_e32 v8, 2, v5
	ds_bpermute_b32 v6, v4, v7
	v_add_nc_u32_e32 v5, 2, v1
	s_delay_alu instid0(VALU_DEP_1) | instskip(SKIP_3) | instid1(VALU_DEP_2)
	v_cmp_lt_u32_e32 vcc_lo, v5, v12
	s_waitcnt lgkmcnt(0)
	v_add_f32_e32 v9, v7, v6
	v_add_lshl_u32 v6, v8, v1, 2
	v_cndmask_b32_e32 v9, v7, v9, vcc_lo
	v_cmp_gt_u32_e32 vcc_lo, 24, v1
	ds_bpermute_b32 v8, v6, v9
	v_cndmask_b32_e64 v7, 0, 1, vcc_lo
	s_delay_alu instid0(VALU_DEP_1) | instskip(SKIP_1) | instid1(VALU_DEP_1)
	v_lshlrev_b32_e32 v10, 3, v7
	v_add_nc_u32_e32 v7, 4, v1
	v_cmp_lt_u32_e32 vcc_lo, v7, v12
	s_waitcnt lgkmcnt(0)
	v_add_f32_e32 v11, v9, v8
	v_add_lshl_u32 v8, v10, v1, 2
	s_delay_alu instid0(VALU_DEP_2) | instskip(SKIP_3) | instid1(VALU_DEP_1)
	v_cndmask_b32_e32 v11, v9, v11, vcc_lo
	v_cmp_gt_u32_e32 vcc_lo, 16, v1
	ds_bpermute_b32 v10, v8, v11
	v_cndmask_b32_e64 v9, 0, 1, vcc_lo
	v_lshlrev_b32_e32 v13, 4, v9
	v_add_nc_u32_e32 v9, 8, v1
	s_delay_alu instid0(VALU_DEP_1) | instskip(SKIP_3) | instid1(VALU_DEP_2)
	v_cmp_lt_u32_e32 vcc_lo, v9, v12
	s_waitcnt lgkmcnt(0)
	v_add_f32_e32 v14, v11, v10
	v_add_lshl_u32 v10, v13, v1, 2
	v_cndmask_b32_e32 v13, v11, v14, vcc_lo
	v_add_nc_u32_e32 v11, 16, v1
	ds_bpermute_b32 v14, v10, v13
	v_cmp_lt_u32_e32 vcc_lo, v11, v12
	s_waitcnt lgkmcnt(0)
	v_add_f32_e32 v14, v13, v14
	s_delay_alu instid0(VALU_DEP_1)
	v_cndmask_b32_e32 v12, v13, v14, vcc_lo
	v_cmpx_eq_u32_e32 0, v1
	s_cbranch_execz .LBB19_12
; %bb.11:
	v_lshrrev_b32_e32 v13, 3, v0
	s_delay_alu instid0(VALU_DEP_1)
	v_and_b32_e32 v13, 0x7c, v13
	ds_store_b32 v13, v12 offset:4096
.LBB19_12:
	s_or_b32 exec_lo, exec_lo, s9
	s_delay_alu instid0(SALU_CYCLE_1)
	s_mov_b32 s9, exec_lo
	s_waitcnt lgkmcnt(0)
	s_barrier
	buffer_gl0_inv
	v_cmpx_gt_u32_e32 32, v0
	s_cbranch_execz .LBB19_14
; %bb.13:
	v_lshlrev_b32_e32 v1, 2, v1
	s_add_i32 s3, s3, 31
	s_delay_alu instid0(SALU_CYCLE_1) | instskip(NEXT) | instid1(SALU_CYCLE_1)
	s_lshr_b32 s3, s3, 5
	v_cmp_gt_u32_e32 vcc_lo, s3, v3
	ds_load_b32 v1, v1 offset:4096
	s_waitcnt lgkmcnt(0)
	ds_bpermute_b32 v2, v2, v1
	s_waitcnt lgkmcnt(0)
	v_add_f32_e32 v2, v1, v2
	s_delay_alu instid0(VALU_DEP_1) | instskip(SKIP_4) | instid1(VALU_DEP_1)
	v_cndmask_b32_e32 v1, v1, v2, vcc_lo
	v_cmp_gt_u32_e32 vcc_lo, s3, v5
	ds_bpermute_b32 v2, v4, v1
	s_waitcnt lgkmcnt(0)
	v_add_f32_e32 v2, v1, v2
	v_cndmask_b32_e32 v1, v1, v2, vcc_lo
	v_cmp_gt_u32_e32 vcc_lo, s3, v7
	ds_bpermute_b32 v2, v6, v1
	s_waitcnt lgkmcnt(0)
	v_add_f32_e32 v2, v1, v2
	s_delay_alu instid0(VALU_DEP_1) | instskip(SKIP_4) | instid1(VALU_DEP_1)
	v_cndmask_b32_e32 v1, v1, v2, vcc_lo
	v_cmp_gt_u32_e32 vcc_lo, s3, v9
	ds_bpermute_b32 v2, v8, v1
	s_waitcnt lgkmcnt(0)
	v_add_f32_e32 v2, v1, v2
	v_cndmask_b32_e32 v1, v1, v2, vcc_lo
	v_cmp_gt_u32_e32 vcc_lo, s3, v11
	ds_bpermute_b32 v2, v10, v1
	s_waitcnt lgkmcnt(0)
	v_add_f32_e32 v2, v1, v2
	s_delay_alu instid0(VALU_DEP_1)
	v_cndmask_b32_e32 v12, v1, v2, vcc_lo
.LBB19_14:
	s_or_b32 exec_lo, exec_lo, s9
	s_delay_alu instid0(SALU_CYCLE_1)
	s_mov_b32 s3, exec_lo
	v_cmpx_eq_u32_e32 0, v0
	s_cbranch_execz .LBB19_16
; %bb.15:
	v_cvt_f32_i32_e32 v1, s18
	s_delay_alu instid0(VALU_DEP_1) | instskip(SKIP_1) | instid1(VALU_DEP_2)
	v_div_scale_f32 v2, null, v1, v1, v12
	v_div_scale_f32 v5, vcc_lo, v12, v1, v12
	v_rcp_f32_e32 v3, v2
	s_waitcnt_depctr 0xfff
	v_fma_f32 v4, -v2, v3, 1.0
	s_delay_alu instid0(VALU_DEP_1) | instskip(NEXT) | instid1(VALU_DEP_1)
	v_fmac_f32_e32 v3, v4, v3
	v_mul_f32_e32 v4, v5, v3
	s_delay_alu instid0(VALU_DEP_1) | instskip(NEXT) | instid1(VALU_DEP_1)
	v_fma_f32 v6, -v2, v4, v5
	v_fmac_f32_e32 v4, v6, v3
	s_delay_alu instid0(VALU_DEP_1) | instskip(NEXT) | instid1(VALU_DEP_1)
	v_fma_f32 v2, -v2, v4, v5
	v_div_fmas_f32 v2, v2, v3, v4
	s_delay_alu instid0(VALU_DEP_1) | instskip(NEXT) | instid1(VALU_DEP_1)
	v_div_fixup_f32 v1, v2, v1, v12
	v_add_f32_e32 v1, s12, v1
	s_delay_alu instid0(VALU_DEP_1) | instskip(SKIP_1) | instid1(VALU_DEP_2)
	v_mul_f32_e32 v2, 0x4b800000, v1
	v_cmp_gt_f32_e32 vcc_lo, 0x800000, v1
	v_cndmask_b32_e32 v1, v1, v2, vcc_lo
	s_delay_alu instid0(VALU_DEP_1) | instskip(SKIP_2) | instid1(VALU_DEP_1)
	v_rsq_f32_e32 v1, v1
	s_waitcnt_depctr 0xfff
	v_mul_f32_e32 v2, 0x45800000, v1
	v_dual_cndmask_b32 v1, v1, v2 :: v_dual_mov_b32 v2, 0
	ds_store_b32 v2, v1 offset:4224
.LBB19_16:
	s_or_b32 exec_lo, exec_lo, s3
	s_ashr_i32 s3, s18, 31
	v_mov_b32_e32 v4, 0
	s_lshr_b32 s3, s3, 25
	s_waitcnt lgkmcnt(0)
	s_add_i32 s3, s18, s3
	s_barrier
	s_ashr_i32 s12, s3, 7
	s_cmp_lt_u32 s16, s34
	buffer_gl0_inv
	s_cselect_b32 s9, 12, 18
	ds_load_b32 v28, v4 offset:4224
	s_add_u32 s20, s20, s9
	s_addc_u32 s21, s21, 0
	s_abs_i32 s9, s12
	global_load_u16 v1, v4, s[20:21]
	v_cvt_f32_u32_e32 v2, s9
	s_sub_i32 s20, 0, s9
	s_ashr_i32 s3, s3, 31
	s_delay_alu instid0(VALU_DEP_1) | instskip(SKIP_2) | instid1(VALU_DEP_1)
	v_rcp_iflag_f32_e32 v2, v2
	s_waitcnt_depctr 0xfff
	v_mul_f32_e32 v2, 0x4f7ffffe, v2
	v_cvt_u32_f32_e32 v2, v2
	s_delay_alu instid0(VALU_DEP_1) | instskip(NEXT) | instid1(VALU_DEP_1)
	v_readfirstlane_b32 s13, v2
	s_mul_i32 s20, s20, s13
	s_delay_alu instid0(SALU_CYCLE_1) | instskip(NEXT) | instid1(SALU_CYCLE_1)
	s_mul_hi_u32 s20, s13, s20
	s_add_i32 s13, s13, s20
	s_waitcnt vmcnt(0)
	v_readfirstlane_b32 s33, v1
	s_delay_alu instid0(VALU_DEP_1) | instskip(NEXT) | instid1(SALU_CYCLE_1)
	s_mul_hi_u32 s13, s33, s13
	s_mul_i32 s20, s13, s9
	s_add_i32 s21, s13, 1
	s_sub_i32 s20, s33, s20
	s_delay_alu instid0(SALU_CYCLE_1)
	s_sub_i32 s22, s20, s9
	s_cmp_ge_u32 s20, s9
	s_cselect_b32 s13, s21, s13
	s_cselect_b32 s20, s22, s20
	s_add_i32 s21, s13, 1
	s_cmp_ge_u32 s20, s9
	s_cselect_b32 s9, s21, s13
	s_delay_alu instid0(SALU_CYCLE_1) | instskip(NEXT) | instid1(SALU_CYCLE_1)
	s_xor_b32 s9, s9, s3
	s_sub_i32 s20, s9, s3
	s_delay_alu instid0(SALU_CYCLE_1) | instskip(SKIP_3) | instid1(VALU_DEP_1)
	s_abs_i32 s3, s20
	s_ashr_i32 s21, s20, 31
	v_cvt_f32_u32_e32 v1, s3
	s_sub_i32 s9, 0, s3
	v_rcp_iflag_f32_e32 v1, v1
	s_waitcnt_depctr 0xfff
	v_mul_f32_e32 v1, 0x4f7ffffe, v1
	s_delay_alu instid0(VALU_DEP_1) | instskip(NEXT) | instid1(VALU_DEP_1)
	v_cvt_u32_f32_e32 v1, v1
	v_mul_lo_u32 v2, s9, v1
	s_ashr_i32 s9, s8, 31
	s_delay_alu instid0(VALU_DEP_1) | instskip(NEXT) | instid1(VALU_DEP_1)
	v_mul_hi_u32 v2, v1, v2
	v_add_nc_u32_e32 v1, v1, v2
	s_delay_alu instid0(VALU_DEP_1) | instskip(NEXT) | instid1(VALU_DEP_1)
	v_mul_hi_u32 v1, v0, v1
	v_mul_lo_u32 v2, v1, s3
	v_add_nc_u32_e32 v3, 1, v1
	s_delay_alu instid0(VALU_DEP_2) | instskip(NEXT) | instid1(VALU_DEP_1)
	v_sub_nc_u32_e32 v2, v0, v2
	v_subrev_nc_u32_e32 v5, s3, v2
	v_cmp_le_u32_e32 vcc_lo, s3, v2
	s_delay_alu instid0(VALU_DEP_2) | instskip(NEXT) | instid1(VALU_DEP_1)
	v_dual_cndmask_b32 v2, v2, v5 :: v_dual_cndmask_b32 v1, v1, v3
	v_cmp_le_u32_e32 vcc_lo, s3, v2
	s_delay_alu instid0(VALU_DEP_2) | instskip(NEXT) | instid1(VALU_DEP_1)
	v_add_nc_u32_e32 v3, 1, v1
	v_cndmask_b32_e32 v1, v1, v3, vcc_lo
	s_delay_alu instid0(VALU_DEP_1) | instskip(NEXT) | instid1(VALU_DEP_1)
	v_xor_b32_e32 v1, s21, v1
	v_subrev_nc_u32_e32 v1, s21, v1
	s_delay_alu instid0(VALU_DEP_1) | instskip(SKIP_1) | instid1(VALU_DEP_2)
	v_ashrrev_i32_e32 v2, 31, v1
	v_mul_lo_u32 v3, v1, s20
	v_lshlrev_b64 v[7:8], 5, v[1:2]
	s_delay_alu instid0(VALU_DEP_2) | instskip(NEXT) | instid1(VALU_DEP_2)
	v_sub_nc_u32_e32 v3, v0, v3
	v_add_co_u32 v5, vcc_lo, v7, 32
	s_delay_alu instid0(VALU_DEP_3) | instskip(NEXT) | instid1(VALU_DEP_1)
	v_add_co_ci_u32_e32 v6, vcc_lo, 0, v8, vcc_lo
	v_cmp_gt_i64_e32 vcc_lo, s[8:9], v[5:6]
	v_cndmask_b32_e32 v6, s9, v6, vcc_lo
	v_cndmask_b32_e32 v5, s8, v5, vcc_lo
	v_add_co_u32 v7, vcc_lo, v7, v3
	v_add_co_ci_u32_e32 v8, vcc_lo, 0, v8, vcc_lo
	s_delay_alu instid0(VALU_DEP_3) | instskip(SKIP_2) | instid1(VALU_DEP_1)
	v_ashrrev_i32_e32 v10, 31, v5
	v_mov_b32_e32 v9, v5
	s_mov_b32 s9, exec_lo
	v_cmpx_lt_i64_e64 v[7:8], v[9:10]
	s_cbranch_execz .LBB19_26
; %bb.17:
	v_lshlrev_b64 v[11:12], 9, v[1:2]
	v_lshlrev_b64 v[13:14], 4, v[3:4]
	v_mov_b32_e32 v4, 0
	s_lshl_b64 s[22:23], s[20:21], 6
	s_mul_hi_i32 s13, s20, 3
	s_mul_i32 s35, s20, 3
	s_lshl_b64 s[24:25], s[20:21], 1
	v_add_co_u32 v21, vcc_lo, v11, v13
	v_add_co_ci_u32_e32 v22, vcc_lo, v12, v14, vcc_lo
	v_dual_mov_b32 v12, v8 :: v_dual_mov_b32 v11, v7
	s_lshl_b64 s[26:27], s[20:21], 4
	s_mov_b32 s36, 0
                                        ; implicit-def: $sgpr37
	s_branch .LBB19_21
.LBB19_18:                              ;   in Loop: Header=BB19_21 Depth=1
	s_or_b32 exec_lo, exec_lo, s40
	s_delay_alu instid0(SALU_CYCLE_1)
	s_or_not1_b32 s3, s3, exec_lo
.LBB19_19:                              ;   in Loop: Header=BB19_21 Depth=1
	s_or_b32 exec_lo, exec_lo, s39
	s_delay_alu instid0(SALU_CYCLE_1) | instskip(SKIP_1) | instid1(SALU_CYCLE_1)
	s_and_not1_b32 s37, s37, exec_lo
	s_and_b32 s3, s3, exec_lo
	s_or_b32 s37, s37, s3
.LBB19_20:                              ;   in Loop: Header=BB19_21 Depth=1
	s_or_b32 exec_lo, exec_lo, s38
	s_delay_alu instid0(SALU_CYCLE_1) | instskip(NEXT) | instid1(SALU_CYCLE_1)
	s_and_b32 s3, exec_lo, s37
	s_or_b32 s36, s3, s36
	s_delay_alu instid0(SALU_CYCLE_1)
	s_and_not1_b32 exec_lo, exec_lo, s36
	s_cbranch_execz .LBB19_25
.LBB19_21:                              ; =>This Inner Loop Header: Depth=1
	v_add_co_u32 v15, vcc_lo, s28, v21
	v_add_co_ci_u32_e32 v16, vcc_lo, s29, v22, vcc_lo
	v_add_co_u32 v19, vcc_lo, s30, v21
	v_add_co_ci_u32_e32 v20, vcc_lo, s31, v22, vcc_lo
	v_add_co_u32 v17, vcc_lo, s10, v21
	global_load_b128 v[23:26], v[15:16], off
	global_load_b128 v[29:32], v[19:20], off
	v_add_co_ci_u32_e32 v18, vcc_lo, s11, v22, vcc_lo
	s_or_b32 s37, s37, exec_lo
	s_mov_b32 s38, exec_lo
	global_load_b128 v[33:36], v[17:18], off
	s_waitcnt vmcnt(1)
	v_dual_add_f32 v13, v23, v29 :: v_dual_add_f32 v14, v24, v30
	v_dual_add_f32 v23, v25, v31 :: v_dual_add_f32 v24, v26, v32
	s_waitcnt lgkmcnt(0)
	s_delay_alu instid0(VALU_DEP_2) | instskip(NEXT) | instid1(VALU_DEP_3)
	v_mul_f32_e32 v14, v28, v14
	v_mul_f32_e32 v13, v28, v13
	s_delay_alu instid0(VALU_DEP_3) | instskip(SKIP_2) | instid1(VALU_DEP_3)
	v_mul_f32_e32 v23, v28, v23
	v_mul_f32_e32 v24, v28, v24
	s_waitcnt vmcnt(0)
	v_dual_mul_f32 v26, v34, v14 :: v_dual_mul_f32 v25, v33, v13
	s_delay_alu instid0(VALU_DEP_2) | instskip(SKIP_1) | instid1(VALU_DEP_3)
	v_dual_mul_f32 v23, v35, v23 :: v_dual_mul_f32 v24, v36, v24
	v_add_co_u32 v13, vcc_lo, v11, s20
	v_max3_f32 v4, v4, |v25|, |v26|
	v_add_co_ci_u32_e32 v14, vcc_lo, s21, v12, vcc_lo
	s_delay_alu instid0(VALU_DEP_2) | instskip(NEXT) | instid1(VALU_DEP_2)
	v_max3_f32 v4, v4, |v23|, |v24|
	v_cmpx_lt_i64_e64 v[13:14], v[9:10]
	s_cbranch_execz .LBB19_20
; %bb.22:                               ;   in Loop: Header=BB19_21 Depth=1
	v_add_co_u32 v15, vcc_lo, v15, s26
	v_add_co_ci_u32_e32 v16, vcc_lo, s27, v16, vcc_lo
	v_add_co_u32 v19, vcc_lo, v19, s26
	v_add_co_ci_u32_e32 v20, vcc_lo, s27, v20, vcc_lo
	v_add_co_u32 v17, vcc_lo, v17, s26
	global_load_b128 v[23:26], v[15:16], off
	global_load_b128 v[29:32], v[19:20], off
	v_add_co_ci_u32_e32 v18, vcc_lo, s27, v18, vcc_lo
	s_mov_b32 s3, -1
	s_mov_b32 s39, exec_lo
	global_load_b128 v[33:36], v[17:18], off
	s_waitcnt vmcnt(1)
	v_dual_add_f32 v23, v23, v29 :: v_dual_add_f32 v24, v24, v30
	v_dual_add_f32 v25, v25, v31 :: v_dual_add_f32 v26, v26, v32
	s_delay_alu instid0(VALU_DEP_2) | instskip(NEXT) | instid1(VALU_DEP_3)
	v_mul_f32_e32 v23, v28, v23
	v_mul_f32_e32 v24, v28, v24
	s_delay_alu instid0(VALU_DEP_3) | instskip(SKIP_1) | instid1(VALU_DEP_3)
	v_mul_f32_e32 v25, v28, v25
	s_waitcnt vmcnt(0)
	v_dual_mul_f32 v27, v33, v23 :: v_dual_mul_f32 v26, v28, v26
	s_delay_alu instid0(VALU_DEP_3) | instskip(NEXT) | instid1(VALU_DEP_3)
	v_mul_f32_e32 v29, v34, v24
	v_mul_f32_e32 v25, v35, v25
	v_add_co_u32 v23, vcc_lo, s24, v11
	s_delay_alu instid0(VALU_DEP_4) | instskip(NEXT) | instid1(VALU_DEP_4)
	v_mul_f32_e32 v26, v36, v26
	v_max3_f32 v4, v4, |v27|, |v29|
	v_add_co_ci_u32_e32 v24, vcc_lo, s25, v12, vcc_lo
	s_delay_alu instid0(VALU_DEP_2) | instskip(NEXT) | instid1(VALU_DEP_2)
	v_max3_f32 v4, v4, |v25|, |v26|
	v_cmpx_lt_i64_e64 v[23:24], v[9:10]
	s_cbranch_execz .LBB19_19
; %bb.23:                               ;   in Loop: Header=BB19_21 Depth=1
	v_add_co_u32 v15, vcc_lo, v15, s26
	v_add_co_ci_u32_e32 v16, vcc_lo, s27, v16, vcc_lo
	v_add_co_u32 v19, vcc_lo, v19, s26
	v_add_co_ci_u32_e32 v20, vcc_lo, s27, v20, vcc_lo
	v_add_co_u32 v17, vcc_lo, v17, s26
	global_load_b128 v[23:26], v[15:16], off
	global_load_b128 v[29:32], v[19:20], off
	v_add_co_ci_u32_e32 v18, vcc_lo, s27, v18, vcc_lo
	v_add_co_u32 v11, vcc_lo, s35, v11
	v_add_co_ci_u32_e32 v12, vcc_lo, s13, v12, vcc_lo
	global_load_b128 v[33:36], v[17:18], off
	v_cmp_lt_i64_e32 vcc_lo, v[11:12], v[9:10]
                                        ; implicit-def: $vgpr11_vgpr12
	s_waitcnt vmcnt(1)
	v_dual_add_f32 v23, v23, v29 :: v_dual_add_f32 v24, v24, v30
	v_dual_add_f32 v25, v25, v31 :: v_dual_add_f32 v26, v26, v32
	s_delay_alu instid0(VALU_DEP_2) | instskip(NEXT) | instid1(VALU_DEP_3)
	v_mul_f32_e32 v24, v28, v24
	v_mul_f32_e32 v23, v28, v23
	s_delay_alu instid0(VALU_DEP_3) | instskip(NEXT) | instid1(VALU_DEP_4)
	v_mul_f32_e32 v25, v28, v25
	v_mul_f32_e32 v26, v28, v26
	s_waitcnt vmcnt(0)
	s_delay_alu instid0(VALU_DEP_3) | instskip(NEXT) | instid1(VALU_DEP_3)
	v_dual_mul_f32 v24, v34, v24 :: v_dual_mul_f32 v23, v33, v23
	v_mul_f32_e32 v25, v35, v25
	s_delay_alu instid0(VALU_DEP_2) | instskip(SKIP_1) | instid1(VALU_DEP_1)
	v_max3_f32 v4, v4, |v23|, |v24|
	v_mul_f32_e32 v23, v36, v26
	v_max3_f32 v4, v4, |v25|, |v23|
	s_and_saveexec_b32 s40, vcc_lo
	s_delay_alu instid0(SALU_CYCLE_1)
	s_xor_b32 s40, exec_lo, s40
	s_cbranch_execz .LBB19_18
; %bb.24:                               ;   in Loop: Header=BB19_21 Depth=1
	v_add_co_u32 v11, vcc_lo, v15, s26
	v_add_co_ci_u32_e32 v12, vcc_lo, s27, v16, vcc_lo
	v_add_co_u32 v15, vcc_lo, v19, s26
	v_add_co_ci_u32_e32 v16, vcc_lo, s27, v20, vcc_lo
	s_add_u32 s3, s20, s20
	global_load_b128 v[23:26], v[11:12], off
	global_load_b128 v[29:32], v[15:16], off
	v_add_co_u32 v11, vcc_lo, v17, s26
	v_add_co_ci_u32_e32 v12, vcc_lo, s27, v18, vcc_lo
	s_addc_u32 s41, s21, s21
	s_add_u32 s3, s3, s20
	s_addc_u32 s41, s41, s21
	global_load_b128 v[15:18], v[11:12], off
	s_waitcnt vmcnt(1)
	v_dual_add_f32 v11, v23, v29 :: v_dual_add_f32 v12, v24, v30
	v_dual_add_f32 v19, v25, v31 :: v_dual_add_f32 v20, v26, v32
	s_delay_alu instid0(VALU_DEP_1) | instskip(NEXT) | instid1(VALU_DEP_2)
	v_mul_f32_e32 v19, v28, v19
	v_mul_f32_e32 v20, v28, v20
	s_delay_alu instid0(VALU_DEP_4) | instskip(SKIP_1) | instid1(VALU_DEP_1)
	v_mul_f32_e32 v11, v28, v11
	s_waitcnt vmcnt(0)
	v_dual_mul_f32 v12, v28, v12 :: v_dual_mul_f32 v15, v15, v11
	s_delay_alu instid0(VALU_DEP_1) | instskip(SKIP_3) | instid1(VALU_DEP_4)
	v_mul_f32_e32 v16, v16, v12
	v_add_co_u32 v11, vcc_lo, s3, v13
	v_add_co_ci_u32_e32 v12, vcc_lo, s41, v14, vcc_lo
	v_dual_mul_f32 v13, v17, v19 :: v_dual_mul_f32 v14, v18, v20
	v_max3_f32 v4, v4, |v15|, |v16|
	s_delay_alu instid0(VALU_DEP_3) | instskip(SKIP_1) | instid1(VALU_DEP_1)
	v_cmp_ge_i64_e32 vcc_lo, v[11:12], v[9:10]
	v_add_co_u32 v21, s3, v21, s22
	v_add_co_ci_u32_e64 v22, s3, s23, v22, s3
	s_delay_alu instid0(VALU_DEP_4)
	v_max3_f32 v4, v4, |v13|, |v14|
	s_or_not1_b32 s3, vcc_lo, exec_lo
	s_branch .LBB19_18
.LBB19_25:
	s_or_b32 exec_lo, exec_lo, s36
.LBB19_26:
	s_delay_alu instid0(SALU_CYCLE_1)
	s_or_b32 exec_lo, exec_lo, s9
	s_lshr_b32 s9, s33, 5
	v_lshlrev_b32_e32 v29, 2, v0
	v_cvt_f32_u32_e32 v9, s9
	s_sub_i32 s13, 0, s9
	s_add_i32 s22, s12, s9
	s_delay_alu instid0(SALU_CYCLE_1) | instskip(NEXT) | instid1(VALU_DEP_1)
	s_add_i32 s22, s22, -1
	v_rcp_iflag_f32_e32 v9, v9
	s_abs_i32 s23, s22
	s_ashr_i32 s22, s22, 31
	ds_store_b32 v29, v4
	s_waitcnt lgkmcnt(0)
	s_barrier
	buffer_gl0_inv
	v_mul_f32_e32 v9, 0x4f7ffffe, v9
	s_delay_alu instid0(VALU_DEP_1) | instskip(NEXT) | instid1(VALU_DEP_1)
	v_cvt_u32_f32_e32 v9, v9
	v_readfirstlane_b32 s3, v9
	s_delay_alu instid0(VALU_DEP_1) | instskip(NEXT) | instid1(SALU_CYCLE_1)
	s_mul_i32 s13, s13, s3
	s_mul_hi_u32 s13, s3, s13
	s_delay_alu instid0(SALU_CYCLE_1) | instskip(NEXT) | instid1(SALU_CYCLE_1)
	s_add_i32 s3, s3, s13
	s_mul_hi_u32 s3, s23, s3
	s_delay_alu instid0(SALU_CYCLE_1) | instskip(NEXT) | instid1(SALU_CYCLE_1)
	s_mul_i32 s13, s3, s9
	s_sub_i32 s13, s23, s13
	s_add_i32 s23, s3, 1
	s_sub_i32 s24, s13, s9
	s_cmp_ge_u32 s13, s9
	s_cselect_b32 s3, s23, s3
	s_cselect_b32 s13, s24, s13
	s_add_i32 s23, s3, 1
	s_cmp_ge_u32 s13, s9
	s_cselect_b32 s3, s23, s3
	s_delay_alu instid0(SALU_CYCLE_1) | instskip(NEXT) | instid1(SALU_CYCLE_1)
	s_xor_b32 s3, s3, s22
	s_sub_i32 s22, s3, s22
	s_delay_alu instid0(SALU_CYCLE_1) | instskip(NEXT) | instid1(SALU_CYCLE_1)
	s_ashr_i32 s23, s22, 31
	v_cmp_lt_i64_e64 s3, s[22:23], 1
	s_delay_alu instid0(VALU_DEP_1)
	s_and_b32 vcc_lo, exec_lo, s3
	s_cbranch_vccnz .LBB19_46
; %bb.27:
	v_lshrrev_b32_e32 v9, 5, v0
	v_and_b32_e32 v4, 31, v0
	s_ashr_i32 s13, s12, 31
	s_mov_b64 s[24:25], 0
	s_mov_b64 s[26:27], src_shared_base
	v_mul_lo_u32 v19, s20, v9
	v_add_co_u32 v11, s3, v4, 16
	s_delay_alu instid0(VALU_DEP_1) | instskip(SKIP_1) | instid1(VALU_DEP_1)
	v_add_co_ci_u32_e64 v12, null, 0, 0, s3
	v_add_co_u32 v13, s3, v4, 8
	v_add_co_ci_u32_e64 v14, null, 0, 0, s3
	v_add_co_u32 v15, s3, v4, 4
	v_dual_mov_b32 v10, 0 :: v_dual_lshlrev_b32 v21, 2, v19
	v_lshlrev_b32_e32 v22, 2, v4
	v_add_co_ci_u32_e64 v16, null, 0, 0, s3
	v_add_co_u32 v17, s3, v4, 2
	s_delay_alu instid0(VALU_DEP_1) | instskip(SKIP_1) | instid1(VALU_DEP_1)
	v_add_co_ci_u32_e64 v18, null, 0, 0, s3
	v_add_co_u32 v19, s3, v4, 1
	v_add_co_ci_u32_e64 v20, null, 0, 0, s3
	v_add3_u32 v30, v21, v22, 0x80
	s_mul_i32 s3, s20, s9
	s_delay_alu instid0(SALU_CYCLE_1)
	s_lshl_b32 s35, s3, 2
	s_branch .LBB19_30
.LBB19_28:                              ;   in Loop: Header=BB19_30 Depth=1
	s_or_b32 exec_lo, exec_lo, s3
	v_mov_b32_e32 v22, s27
	flat_load_b32 v21, v[21:22] glc dlc
	s_waitcnt vmcnt(0)
.LBB19_29:                              ;   in Loop: Header=BB19_30 Depth=1
	s_or_b32 exec_lo, exec_lo, s26
	s_add_u32 s24, s24, 1
	v_add_nc_u32_e32 v30, s35, v30
	s_addc_u32 s25, s25, 0
	s_delay_alu instid0(SALU_CYCLE_1)
	s_cmp_eq_u64 s[24:25], s[22:23]
	s_cbranch_scc1 .LBB19_46
.LBB19_30:                              ; =>This Loop Header: Depth=1
                                        ;     Child Loop BB19_33 Depth 2
	s_waitcnt lgkmcnt(0)
	v_mad_u64_u32 v[21:22], null, s24, s9, v[9:10]
	s_mov_b32 s26, exec_lo
	s_delay_alu instid0(VALU_DEP_1) | instskip(NEXT) | instid1(VALU_DEP_1)
	v_mad_u64_u32 v[23:24], null, s25, s9, v[22:23]
	v_mov_b32_e32 v22, v23
	s_delay_alu instid0(VALU_DEP_1)
	v_cmpx_gt_i64_e64 s[12:13], v[21:22]
	s_cbranch_execz .LBB19_29
; %bb.31:                               ;   in Loop: Header=BB19_30 Depth=1
	v_mul_lo_u32 v24, v22, s20
	v_mul_lo_u32 v25, v21, s21
	v_mad_u64_u32 v[22:23], null, v21, s20, 0
	s_delay_alu instid0(VALU_DEP_1) | instskip(NEXT) | instid1(VALU_DEP_2)
	v_add3_u32 v23, v23, v25, v24
	v_add_co_u32 v24, vcc_lo, v22, s20
	v_add_co_u32 v31, s3, v22, v4
	s_delay_alu instid0(VALU_DEP_3) | instskip(SKIP_2) | instid1(VALU_DEP_2)
	v_add_co_ci_u32_e32 v25, vcc_lo, s21, v23, vcc_lo
	v_add_co_ci_u32_e64 v21, s3, 0, v23, s3
	s_mov_b32 s3, exec_lo
	v_cmp_gt_i64_e32 vcc_lo, s[18:19], v[24:25]
	v_cndmask_b32_e32 v25, s19, v25, vcc_lo
	v_cndmask_b32_e32 v24, s18, v24, vcc_lo
	v_add_co_u32 v26, vcc_lo, v31, 32
	v_add_co_ci_u32_e32 v27, vcc_lo, 0, v21, vcc_lo
	v_lshlrev_b32_e32 v21, 2, v31
	s_delay_alu instid0(VALU_DEP_2)
	v_cmpx_lt_i64_e64 v[26:27], v[24:25]
	s_cbranch_execz .LBB19_34
; %bb.32:                               ;   in Loop: Header=BB19_30 Depth=1
	ds_load_b32 v33, v21
	v_mov_b32_e32 v32, v30
	s_mov_b32 s36, 0
.LBB19_33:                              ;   Parent Loop BB19_30 Depth=1
                                        ; =>  This Inner Loop Header: Depth=2
	ds_load_b32 v34, v32
	v_add_co_u32 v26, vcc_lo, v26, 32
	v_add_co_ci_u32_e32 v27, vcc_lo, 0, v27, vcc_lo
	s_waitcnt lgkmcnt(1)
	v_dual_max_f32 v33, v33, v33 :: v_dual_add_nc_u32 v32, 0x80, v32
	s_delay_alu instid0(VALU_DEP_2) | instskip(SKIP_3) | instid1(VALU_DEP_1)
	v_cmp_ge_i64_e32 vcc_lo, v[26:27], v[24:25]
	s_or_b32 s36, vcc_lo, s36
	s_waitcnt lgkmcnt(0)
	v_max_f32_e32 v34, v34, v34
	v_max_f32_e32 v33, v33, v34
	ds_store_b32 v21, v33
	s_and_not1_b32 exec_lo, exec_lo, s36
	s_cbranch_execnz .LBB19_33
.LBB19_34:                              ;   in Loop: Header=BB19_30 Depth=1
	s_or_b32 exec_lo, exec_lo, s3
	v_sub_co_u32 v22, vcc_lo, v24, v22
	v_sub_co_ci_u32_e32 v23, vcc_lo, v25, v23, vcc_lo
	s_mov_b32 s3, exec_lo
	s_delay_alu instid0(VALU_DEP_1) | instskip(SKIP_1) | instid1(VALU_DEP_1)
	v_cmp_gt_i64_e32 vcc_lo, 32, v[22:23]
	v_dual_cndmask_b32 v24, 0, v23 :: v_dual_cndmask_b32 v23, 32, v22
	v_cmpx_lt_i64_e64 v[11:12], v[23:24]
	s_cbranch_execz .LBB19_36
; %bb.35:                               ;   in Loop: Header=BB19_30 Depth=1
	v_dual_mov_b32 v22, s27 :: v_dual_add_nc_u32 v25, 64, v21
	v_mov_b32_e32 v26, s27
	flat_load_b32 v27, v[21:22] glc dlc
	s_waitcnt vmcnt(0)
	flat_load_b32 v25, v[25:26] glc dlc
	s_waitcnt vmcnt(0) lgkmcnt(0)
	v_dual_max_f32 v26, v27, v27 :: v_dual_max_f32 v25, v25, v25
	s_delay_alu instid0(VALU_DEP_1)
	v_max_f32_e32 v25, v26, v25
	flat_store_b32 v[21:22], v25 dlc
	s_waitcnt_vscnt null, 0x0
.LBB19_36:                              ;   in Loop: Header=BB19_30 Depth=1
	s_or_b32 exec_lo, exec_lo, s3
	s_delay_alu instid0(SALU_CYCLE_1)
	s_mov_b32 s3, exec_lo
	v_cmpx_lt_i64_e64 v[13:14], v[23:24]
	s_cbranch_execz .LBB19_38
; %bb.37:                               ;   in Loop: Header=BB19_30 Depth=1
	v_dual_mov_b32 v22, s27 :: v_dual_add_nc_u32 v25, 32, v21
	v_mov_b32_e32 v26, s27
	flat_load_b32 v27, v[21:22] glc dlc
	s_waitcnt vmcnt(0)
	flat_load_b32 v25, v[25:26] glc dlc
	s_waitcnt vmcnt(0) lgkmcnt(0)
	v_dual_max_f32 v26, v27, v27 :: v_dual_max_f32 v25, v25, v25
	s_delay_alu instid0(VALU_DEP_1)
	v_max_f32_e32 v25, v26, v25
	flat_store_b32 v[21:22], v25 dlc
	s_waitcnt_vscnt null, 0x0
.LBB19_38:                              ;   in Loop: Header=BB19_30 Depth=1
	s_or_b32 exec_lo, exec_lo, s3
	s_delay_alu instid0(SALU_CYCLE_1)
	s_mov_b32 s3, exec_lo
	v_cmpx_ge_i64_e64 v[15:16], v[23:24]
	s_xor_b32 s3, exec_lo, s3
; %bb.39:                               ;   in Loop: Header=BB19_30 Depth=1
                                        ; implicit-def: $vgpr21
; %bb.40:                               ;   in Loop: Header=BB19_30 Depth=1
	s_delay_alu instid0(SALU_CYCLE_1)
	s_and_not1_saveexec_b32 s3, s3
	s_cbranch_execz .LBB19_42
; %bb.41:                               ;   in Loop: Header=BB19_30 Depth=1
	v_dual_mov_b32 v22, s27 :: v_dual_add_nc_u32 v25, 16, v21
	v_mov_b32_e32 v26, s27
	flat_load_b32 v27, v[21:22] glc dlc
	s_waitcnt vmcnt(0)
	flat_load_b32 v25, v[25:26] glc dlc
	s_waitcnt vmcnt(0) lgkmcnt(0)
	v_dual_max_f32 v26, v27, v27 :: v_dual_max_f32 v25, v25, v25
	s_delay_alu instid0(VALU_DEP_1)
	v_max_f32_e32 v25, v26, v25
	flat_store_b32 v[21:22], v25 dlc
	s_waitcnt_vscnt null, 0x0
.LBB19_42:                              ;   in Loop: Header=BB19_30 Depth=1
	s_or_b32 exec_lo, exec_lo, s3
	v_lshlrev_b32_e32 v21, 2, v31
	s_mov_b32 s3, exec_lo
	v_cmpx_lt_i64_e64 v[17:18], v[23:24]
	s_cbranch_execz .LBB19_44
; %bb.43:                               ;   in Loop: Header=BB19_30 Depth=1
	s_delay_alu instid0(VALU_DEP_2)
	v_dual_mov_b32 v22, s27 :: v_dual_add_nc_u32 v25, 8, v21
	v_mov_b32_e32 v26, s27
	flat_load_b32 v27, v[21:22] glc dlc
	s_waitcnt vmcnt(0)
	flat_load_b32 v25, v[25:26] glc dlc
	s_waitcnt vmcnt(0) lgkmcnt(0)
	v_dual_max_f32 v26, v27, v27 :: v_dual_max_f32 v25, v25, v25
	s_delay_alu instid0(VALU_DEP_1)
	v_max_f32_e32 v25, v26, v25
	flat_store_b32 v[21:22], v25 dlc
	s_waitcnt_vscnt null, 0x0
.LBB19_44:                              ;   in Loop: Header=BB19_30 Depth=1
	s_or_b32 exec_lo, exec_lo, s3
	s_delay_alu instid0(SALU_CYCLE_1)
	s_mov_b32 s3, exec_lo
	v_cmpx_lt_i64_e64 v[19:20], v[23:24]
	s_cbranch_execz .LBB19_28
; %bb.45:                               ;   in Loop: Header=BB19_30 Depth=1
	v_dual_mov_b32 v22, s27 :: v_dual_add_nc_u32 v23, 4, v21
	v_mov_b32_e32 v24, s27
	flat_load_b32 v25, v[21:22] glc dlc
	s_waitcnt vmcnt(0)
	flat_load_b32 v23, v[23:24] glc dlc
	s_waitcnt vmcnt(0) lgkmcnt(0)
	v_dual_max_f32 v24, v25, v25 :: v_dual_max_f32 v23, v23, v23
	s_delay_alu instid0(VALU_DEP_1)
	v_max_f32_e32 v23, v24, v23
	flat_store_b32 v[21:22], v23 dlc
	s_waitcnt_vscnt null, 0x0
	s_branch .LBB19_28
.LBB19_46:
	s_load_b64 s[12:13], s[0:1], 0x40
	v_cmp_lt_i64_e32 vcc_lo, v[7:8], v[5:6]
	v_cmp_eq_u32_e64 s3, 0, v3
	s_waitcnt lgkmcnt(0)
	s_barrier
	buffer_gl0_inv
	s_and_b32 s9, s3, vcc_lo
	s_delay_alu instid0(SALU_CYCLE_1)
	s_and_saveexec_b32 s3, s9
	s_cbranch_execz .LBB19_53
; %bb.47:
	s_load_b64 s[0:1], s[0:1], 0x20
	ds_load_b32 v5, v29
	s_waitcnt lgkmcnt(0)
	s_cmp_eq_u64 s[0:1], 0
	s_cbranch_scc1 .LBB19_49
; %bb.48:
	s_load_b32 s0, s[0:1], 0x0
	v_max_f32_e32 v3, v5, v5
	s_waitcnt lgkmcnt(0)
	v_max_f32_e64 v4, s0, s0
	s_delay_alu instid0(VALU_DEP_1)
	v_min_f32_e32 v5, v3, v4
.LBB19_49:
	s_add_u32 s0, s12, s34
	s_addc_u32 s1, s13, 0
	s_add_u32 s18, s0, -1
	s_addc_u32 s19, s1, -1
	s_delay_alu instid0(SALU_CYCLE_1) | instskip(SKIP_1) | instid1(SALU_CYCLE_1)
	s_or_b64 s[20:21], s[18:19], s[12:13]
	s_mov_b32 s20, 0
	s_cmp_lg_u64 s[20:21], 0
	s_cbranch_scc0 .LBB19_194
; %bb.50:
	s_ashr_i32 s0, s13, 31
	s_delay_alu instid0(SALU_CYCLE_1) | instskip(SKIP_2) | instid1(SALU_CYCLE_1)
	s_add_u32 s22, s12, s0
	s_mov_b32 s1, s0
	s_addc_u32 s23, s13, s0
	s_xor_b64 s[0:1], s[22:23], s[0:1]
	s_delay_alu instid0(SALU_CYCLE_1) | instskip(SKIP_3) | instid1(VALU_DEP_1)
	v_cvt_f32_u32_e32 v3, s0
	v_cvt_f32_u32_e32 v4, s1
	s_sub_u32 s22, 0, s0
	s_subb_u32 s23, 0, s1
	v_fmamk_f32 v3, v4, 0x4f800000, v3
	s_delay_alu instid0(VALU_DEP_1) | instskip(SKIP_2) | instid1(VALU_DEP_1)
	v_rcp_f32_e32 v3, v3
	s_waitcnt_depctr 0xfff
	v_mul_f32_e32 v3, 0x5f7ffffc, v3
	v_mul_f32_e32 v4, 0x2f800000, v3
	s_delay_alu instid0(VALU_DEP_1) | instskip(NEXT) | instid1(VALU_DEP_1)
	v_trunc_f32_e32 v4, v4
	v_fmamk_f32 v3, v4, 0xcf800000, v3
	v_cvt_u32_f32_e32 v4, v4
	s_delay_alu instid0(VALU_DEP_2) | instskip(NEXT) | instid1(VALU_DEP_2)
	v_cvt_u32_f32_e32 v3, v3
	v_readfirstlane_b32 s9, v4
	s_delay_alu instid0(VALU_DEP_2) | instskip(NEXT) | instid1(VALU_DEP_2)
	v_readfirstlane_b32 s21, v3
	s_mul_i32 s24, s22, s9
	s_delay_alu instid0(VALU_DEP_1)
	s_mul_hi_u32 s26, s22, s21
	s_mul_i32 s25, s23, s21
	s_add_i32 s24, s26, s24
	s_mul_i32 s27, s22, s21
	s_add_i32 s24, s24, s25
	s_mul_hi_u32 s26, s21, s27
	s_mul_hi_u32 s35, s9, s27
	s_mul_i32 s25, s9, s27
	s_mul_hi_u32 s27, s21, s24
	s_mul_i32 s21, s21, s24
	s_mul_hi_u32 s36, s9, s24
	s_add_u32 s21, s26, s21
	s_addc_u32 s26, 0, s27
	s_add_u32 s21, s21, s25
	s_mul_i32 s24, s9, s24
	s_addc_u32 s21, s26, s35
	s_addc_u32 s25, s36, 0
	s_add_u32 s21, s21, s24
	s_addc_u32 s24, 0, s25
	v_add_co_u32 v3, s21, v3, s21
	s_delay_alu instid0(VALU_DEP_1) | instskip(SKIP_1) | instid1(VALU_DEP_1)
	s_cmp_lg_u32 s21, 0
	s_addc_u32 s9, s9, s24
	v_readfirstlane_b32 s21, v3
	s_mul_i32 s24, s22, s9
	s_delay_alu instid0(VALU_DEP_1)
	s_mul_hi_u32 s25, s22, s21
	s_mul_i32 s23, s23, s21
	s_add_i32 s24, s25, s24
	s_mul_i32 s22, s22, s21
	s_add_i32 s24, s24, s23
	s_mul_hi_u32 s25, s9, s22
	s_mul_i32 s26, s9, s22
	s_mul_hi_u32 s22, s21, s22
	s_mul_hi_u32 s27, s21, s24
	s_mul_i32 s21, s21, s24
	s_mul_hi_u32 s23, s9, s24
	s_add_u32 s21, s22, s21
	s_addc_u32 s22, 0, s27
	s_add_u32 s21, s21, s26
	s_mul_i32 s24, s9, s24
	s_addc_u32 s21, s22, s25
	s_addc_u32 s22, s23, 0
	s_add_u32 s21, s21, s24
	s_addc_u32 s22, 0, s22
	v_add_co_u32 v3, s21, v3, s21
	s_delay_alu instid0(VALU_DEP_1) | instskip(SKIP_2) | instid1(VALU_DEP_1)
	s_cmp_lg_u32 s21, 0
	s_addc_u32 s9, s9, s22
	s_ashr_i32 s22, s19, 31
	v_readfirstlane_b32 s21, v3
	s_add_u32 s24, s18, s22
	s_mov_b32 s23, s22
	s_addc_u32 s25, s19, s22
	s_delay_alu instid0(SALU_CYCLE_1) | instskip(NEXT) | instid1(SALU_CYCLE_1)
	s_xor_b64 s[24:25], s[24:25], s[22:23]
	s_mul_i32 s26, s24, s9
	s_mul_hi_u32 s27, s24, s21
	s_mul_hi_u32 s23, s24, s9
	;; [unrolled: 1-line block ×3, first 2 shown]
	s_mul_i32 s21, s25, s21
	s_add_u32 s26, s27, s26
	s_addc_u32 s23, 0, s23
	s_mul_hi_u32 s35, s25, s9
	s_add_u32 s21, s26, s21
	s_mul_i32 s9, s25, s9
	s_addc_u32 s21, s23, s36
	s_addc_u32 s23, s35, 0
	s_add_u32 s9, s21, s9
	s_addc_u32 s21, 0, s23
	s_mul_hi_u32 s23, s0, s9
	s_mul_i32 s21, s0, s21
	s_mul_i32 s26, s1, s9
	s_mul_i32 s9, s0, s9
	s_add_i32 s21, s23, s21
	v_sub_co_u32 v3, s9, s24, s9
	s_add_i32 s21, s21, s26
	s_delay_alu instid0(SALU_CYCLE_1) | instskip(SKIP_1) | instid1(VALU_DEP_1)
	s_sub_i32 s23, s25, s21
	s_cmp_lg_u32 s9, 0
	v_sub_co_u32 v4, s24, v3, s0
	s_subb_u32 s23, s23, s1
	s_cmp_lg_u32 s24, 0
	s_subb_u32 s26, s23, 0
	s_delay_alu instid0(VALU_DEP_1)
	v_cmp_le_u32_e32 vcc_lo, s0, v4
	s_cmp_ge_u32 s26, s1
	s_cselect_b32 s27, -1, 0
	s_cmp_eq_u32 s26, s1
	v_cndmask_b32_e64 v6, 0, -1, vcc_lo
	s_cselect_b32 vcc_lo, -1, 0
	s_cmp_lg_u32 s24, 0
	v_sub_co_u32 v7, s24, v4, s0
	s_subb_u32 s23, s23, s1
	s_cmp_lg_u32 s24, 0
	v_cndmask_b32_e32 v6, s27, v6, vcc_lo
	s_subb_u32 s23, s23, 0
	s_cmp_lg_u32 s9, 0
	v_cmp_le_u32_e32 vcc_lo, s0, v3
	s_subb_u32 s9, s25, s21
	s_delay_alu instid0(SALU_CYCLE_1)
	s_cmp_ge_u32 s9, s1
	v_cndmask_b32_e64 v8, 0, -1, vcc_lo
	s_cselect_b32 s21, -1, 0
	s_cmp_eq_u32 s9, s1
	v_cmp_ne_u32_e32 vcc_lo, 0, v6
	v_mov_b32_e32 v6, s23
	s_cselect_b32 s0, -1, 0
	s_delay_alu instid0(SALU_CYCLE_1) | instskip(SKIP_1) | instid1(VALU_DEP_3)
	v_cndmask_b32_e64 v8, s21, v8, s0
	v_cndmask_b32_e32 v4, v4, v7, vcc_lo
	v_cndmask_b32_e32 v6, s26, v6, vcc_lo
	s_delay_alu instid0(VALU_DEP_3) | instskip(NEXT) | instid1(VALU_DEP_3)
	v_cmp_ne_u32_e32 vcc_lo, 0, v8
	v_cndmask_b32_e32 v3, v3, v4, vcc_lo
	s_delay_alu instid0(VALU_DEP_3) | instskip(NEXT) | instid1(VALU_DEP_2)
	v_cndmask_b32_e32 v6, s9, v6, vcc_lo
	v_xor_b32_e32 v3, s22, v3
	s_delay_alu instid0(VALU_DEP_2) | instskip(NEXT) | instid1(VALU_DEP_2)
	v_xor_b32_e32 v4, s22, v6
	v_sub_co_u32 v3, vcc_lo, v3, s22
	s_delay_alu instid0(VALU_DEP_2)
	v_subrev_co_ci_u32_e32 v4, vcc_lo, s22, v4, vcc_lo
	s_and_not1_b32 vcc_lo, exec_lo, s20
	s_cbranch_vccnz .LBB19_52
.LBB19_51:
	v_cvt_f32_u32_e32 v3, s12
	s_sub_i32 s0, 0, s12
	s_delay_alu instid0(VALU_DEP_1) | instskip(SKIP_2) | instid1(VALU_DEP_1)
	v_rcp_iflag_f32_e32 v3, v3
	s_waitcnt_depctr 0xfff
	v_mul_f32_e32 v3, 0x4f7ffffe, v3
	v_cvt_u32_f32_e32 v3, v3
	s_delay_alu instid0(VALU_DEP_1) | instskip(NEXT) | instid1(VALU_DEP_1)
	v_mul_lo_u32 v4, s0, v3
	v_mul_hi_u32 v4, v3, v4
	s_delay_alu instid0(VALU_DEP_1) | instskip(NEXT) | instid1(VALU_DEP_1)
	v_add_nc_u32_e32 v3, v3, v4
	v_mul_hi_u32 v3, s18, v3
	s_delay_alu instid0(VALU_DEP_1) | instskip(NEXT) | instid1(VALU_DEP_1)
	v_mul_lo_u32 v3, v3, s12
	v_sub_nc_u32_e32 v3, s18, v3
	s_delay_alu instid0(VALU_DEP_1) | instskip(SKIP_1) | instid1(VALU_DEP_2)
	v_subrev_nc_u32_e32 v4, s12, v3
	v_cmp_le_u32_e32 vcc_lo, s12, v3
	v_cndmask_b32_e32 v3, v3, v4, vcc_lo
	s_delay_alu instid0(VALU_DEP_1) | instskip(SKIP_1) | instid1(VALU_DEP_2)
	v_subrev_nc_u32_e32 v4, s12, v3
	v_cmp_le_u32_e32 vcc_lo, s12, v3
	v_dual_cndmask_b32 v3, v3, v4 :: v_dual_mov_b32 v4, 0
.LBB19_52:
	v_div_scale_f32 v6, null, 0x43600000, 0x43600000, v5
	v_div_scale_f32 v9, vcc_lo, v5, 0x43600000, v5
	s_delay_alu instid0(VALU_DEP_3) | instskip(NEXT) | instid1(VALU_DEP_3)
	v_sub_co_u32 v10, s0, s18, v3
	v_rcp_f32_e32 v7, v6
	v_sub_co_ci_u32_e64 v3, s0, s19, v4, s0
	s_lshl_b64 s[0:1], s[16:17], 2
	s_delay_alu instid0(SALU_CYCLE_1) | instskip(NEXT) | instid1(VALU_DEP_1)
	s_add_u32 s0, s0, s6
	v_mul_lo_u32 v11, v3, v1
	s_addc_u32 s1, s1, s7
	s_waitcnt_depctr 0xfff
	v_fma_f32 v8, -v6, v7, 1.0
	s_delay_alu instid0(VALU_DEP_1) | instskip(NEXT) | instid1(VALU_DEP_1)
	v_fmac_f32_e32 v7, v8, v7
	v_mul_f32_e32 v8, v9, v7
	s_delay_alu instid0(VALU_DEP_1) | instskip(NEXT) | instid1(VALU_DEP_1)
	v_fma_f32 v4, -v6, v8, v9
	v_fmac_f32_e32 v8, v4, v7
	v_mul_lo_u32 v4, v10, v2
	v_mad_u64_u32 v[2:3], null, v10, v1, 0
	s_delay_alu instid0(VALU_DEP_3) | instskip(NEXT) | instid1(VALU_DEP_2)
	v_fma_f32 v1, -v6, v8, v9
	v_add3_u32 v3, v3, v4, v11
	s_delay_alu instid0(VALU_DEP_2) | instskip(NEXT) | instid1(VALU_DEP_1)
	v_div_fmas_f32 v1, v1, v7, v8
	v_div_fixup_f32 v4, v1, 0x43600000, v5
	s_delay_alu instid0(VALU_DEP_3) | instskip(NEXT) | instid1(VALU_DEP_2)
	v_lshlrev_b64 v[1:2], 2, v[2:3]
	v_max_f32_e32 v3, 0x37124925, v4
	s_delay_alu instid0(VALU_DEP_2) | instskip(NEXT) | instid1(VALU_DEP_3)
	v_add_co_u32 v1, vcc_lo, s0, v1
	v_add_co_ci_u32_e32 v2, vcc_lo, s1, v2, vcc_lo
	global_store_b32 v[1:2], v3, off
.LBB19_53:
	s_or_b32 exec_lo, exec_lo, s3
	s_waitcnt_vscnt null, 0x0
	s_barrier
	buffer_gl0_inv
	s_and_saveexec_b32 s0, s2
	s_cbranch_execz .LBB19_193
; %bb.54:
	s_add_u32 s0, s12, s34
	s_addc_u32 s1, s13, 0
	s_add_u32 s2, s0, -1
	s_addc_u32 s3, s1, -1
	s_delay_alu instid0(SALU_CYCLE_1) | instskip(SKIP_1) | instid1(SALU_CYCLE_1)
	s_or_b64 s[18:19], s[2:3], s[12:13]
	s_mov_b32 s18, 0
	s_cmp_lg_u64 s[18:19], 0
	s_cbranch_scc0 .LBB19_195
; %bb.55:
	s_ashr_i32 s0, s13, 31
	s_delay_alu instid0(SALU_CYCLE_1) | instskip(SKIP_2) | instid1(SALU_CYCLE_1)
	s_add_u32 s20, s12, s0
	s_mov_b32 s1, s0
	s_addc_u32 s21, s13, s0
	s_xor_b64 s[0:1], s[20:21], s[0:1]
	s_delay_alu instid0(SALU_CYCLE_1) | instskip(SKIP_3) | instid1(VALU_DEP_1)
	v_cvt_f32_u32_e32 v1, s0
	v_cvt_f32_u32_e32 v2, s1
	s_sub_u32 s19, 0, s0
	s_subb_u32 s20, 0, s1
	v_fmamk_f32 v1, v2, 0x4f800000, v1
	s_delay_alu instid0(VALU_DEP_1) | instskip(SKIP_2) | instid1(VALU_DEP_1)
	v_rcp_f32_e32 v1, v1
	s_waitcnt_depctr 0xfff
	v_mul_f32_e32 v1, 0x5f7ffffc, v1
	v_mul_f32_e32 v2, 0x2f800000, v1
	s_delay_alu instid0(VALU_DEP_1) | instskip(NEXT) | instid1(VALU_DEP_1)
	v_trunc_f32_e32 v2, v2
	v_fmamk_f32 v1, v2, 0xcf800000, v1
	v_cvt_u32_f32_e32 v2, v2
	s_delay_alu instid0(VALU_DEP_2) | instskip(NEXT) | instid1(VALU_DEP_2)
	v_cvt_u32_f32_e32 v1, v1
	v_readfirstlane_b32 s9, v2
	s_delay_alu instid0(VALU_DEP_2) | instskip(NEXT) | instid1(VALU_DEP_2)
	v_readfirstlane_b32 s13, v1
	s_mul_i32 s21, s19, s9
	s_delay_alu instid0(VALU_DEP_1)
	s_mul_hi_u32 s23, s19, s13
	s_mul_i32 s22, s20, s13
	s_add_i32 s21, s23, s21
	s_mul_i32 s24, s19, s13
	s_add_i32 s21, s21, s22
	s_mul_hi_u32 s23, s13, s24
	s_mul_hi_u32 s25, s9, s24
	s_mul_i32 s22, s9, s24
	s_mul_hi_u32 s24, s13, s21
	s_mul_i32 s13, s13, s21
	s_mul_hi_u32 s26, s9, s21
	s_add_u32 s13, s23, s13
	s_addc_u32 s23, 0, s24
	s_add_u32 s13, s13, s22
	s_mul_i32 s21, s9, s21
	s_addc_u32 s13, s23, s25
	s_addc_u32 s22, s26, 0
	s_add_u32 s13, s13, s21
	s_addc_u32 s21, 0, s22
	v_add_co_u32 v1, s13, v1, s13
	s_delay_alu instid0(VALU_DEP_1) | instskip(SKIP_1) | instid1(VALU_DEP_1)
	s_cmp_lg_u32 s13, 0
	s_addc_u32 s9, s9, s21
	v_readfirstlane_b32 s13, v1
	s_mul_i32 s21, s19, s9
	s_delay_alu instid0(VALU_DEP_1)
	s_mul_hi_u32 s22, s19, s13
	s_mul_i32 s20, s20, s13
	s_add_i32 s21, s22, s21
	s_mul_i32 s19, s19, s13
	s_add_i32 s21, s21, s20
	s_mul_hi_u32 s22, s9, s19
	s_mul_i32 s23, s9, s19
	s_mul_hi_u32 s19, s13, s19
	s_mul_hi_u32 s24, s13, s21
	s_mul_i32 s13, s13, s21
	s_mul_hi_u32 s20, s9, s21
	s_add_u32 s13, s19, s13
	s_addc_u32 s19, 0, s24
	s_add_u32 s13, s13, s23
	s_mul_i32 s21, s9, s21
	s_addc_u32 s13, s19, s22
	s_addc_u32 s19, s20, 0
	s_add_u32 s13, s13, s21
	s_addc_u32 s19, 0, s19
	v_add_co_u32 v1, s13, v1, s13
	s_delay_alu instid0(VALU_DEP_1) | instskip(SKIP_2) | instid1(VALU_DEP_1)
	s_cmp_lg_u32 s13, 0
	s_addc_u32 s9, s9, s19
	s_ashr_i32 s20, s3, 31
	v_readfirstlane_b32 s13, v1
	s_add_u32 s22, s2, s20
	s_mov_b32 s21, s20
	s_addc_u32 s23, s3, s20
	s_delay_alu instid0(SALU_CYCLE_1) | instskip(NEXT) | instid1(SALU_CYCLE_1)
	s_xor_b64 s[22:23], s[22:23], s[20:21]
	s_mul_i32 s21, s22, s9
	s_mul_hi_u32 s24, s22, s13
	s_mul_hi_u32 s19, s22, s9
	s_mul_hi_u32 s26, s23, s13
	s_mul_i32 s13, s23, s13
	s_add_u32 s21, s24, s21
	s_addc_u32 s19, 0, s19
	s_mul_hi_u32 s25, s23, s9
	s_add_u32 s13, s21, s13
	s_mul_i32 s9, s23, s9
	s_addc_u32 s13, s19, s26
	s_addc_u32 s19, s25, 0
	s_add_u32 s9, s13, s9
	s_addc_u32 s13, 0, s19
	s_mul_hi_u32 s19, s0, s9
	s_mul_i32 s13, s0, s13
	s_mul_i32 s21, s1, s9
	;; [unrolled: 1-line block ×3, first 2 shown]
	s_add_i32 s13, s19, s13
	v_sub_co_u32 v1, s9, s22, s9
	s_add_i32 s13, s13, s21
	s_delay_alu instid0(SALU_CYCLE_1) | instskip(SKIP_1) | instid1(VALU_DEP_1)
	s_sub_i32 s19, s23, s13
	s_cmp_lg_u32 s9, 0
	v_sub_co_u32 v2, s21, v1, s0
	s_subb_u32 s19, s19, s1
	s_cmp_lg_u32 s21, 0
	s_subb_u32 s22, s19, 0
	s_delay_alu instid0(VALU_DEP_1)
	v_cmp_le_u32_e32 vcc_lo, s0, v2
	s_cmp_ge_u32 s22, s1
	s_cselect_b32 s24, -1, 0
	s_cmp_eq_u32 s22, s1
	v_cndmask_b32_e64 v3, 0, -1, vcc_lo
	s_cselect_b32 vcc_lo, -1, 0
	s_cmp_lg_u32 s21, 0
	v_sub_co_u32 v4, s21, v2, s0
	s_subb_u32 s19, s19, s1
	s_cmp_lg_u32 s21, 0
	v_cndmask_b32_e32 v3, s24, v3, vcc_lo
	s_subb_u32 s19, s19, 0
	s_cmp_lg_u32 s9, 0
	v_cmp_le_u32_e32 vcc_lo, s0, v1
	s_subb_u32 s9, s23, s13
	s_delay_alu instid0(SALU_CYCLE_1)
	s_cmp_ge_u32 s9, s1
	v_cndmask_b32_e64 v5, 0, -1, vcc_lo
	s_cselect_b32 s13, -1, 0
	s_cmp_eq_u32 s9, s1
	v_cmp_ne_u32_e32 vcc_lo, 0, v3
	v_mov_b32_e32 v3, s19
	s_cselect_b32 s0, -1, 0
	s_delay_alu instid0(SALU_CYCLE_1) | instskip(SKIP_1) | instid1(VALU_DEP_3)
	v_cndmask_b32_e64 v5, s13, v5, s0
	v_cndmask_b32_e32 v2, v2, v4, vcc_lo
	v_cndmask_b32_e32 v3, s22, v3, vcc_lo
	s_delay_alu instid0(VALU_DEP_3) | instskip(NEXT) | instid1(VALU_DEP_3)
	v_cmp_ne_u32_e32 vcc_lo, 0, v5
	v_cndmask_b32_e32 v1, v1, v2, vcc_lo
	s_delay_alu instid0(VALU_DEP_3) | instskip(NEXT) | instid1(VALU_DEP_2)
	v_cndmask_b32_e32 v3, s9, v3, vcc_lo
	v_xor_b32_e32 v1, s20, v1
	s_delay_alu instid0(VALU_DEP_2) | instskip(NEXT) | instid1(VALU_DEP_2)
	v_xor_b32_e32 v2, s20, v3
	v_sub_co_u32 v1, vcc_lo, v1, s20
	s_delay_alu instid0(VALU_DEP_2)
	v_subrev_co_ci_u32_e32 v2, vcc_lo, s20, v2, vcc_lo
	s_and_not1_b32 vcc_lo, exec_lo, s18
	s_cbranch_vccnz .LBB19_57
.LBB19_56:
	v_cvt_f32_u32_e32 v1, s12
	s_sub_i32 s0, 0, s12
	s_delay_alu instid0(VALU_DEP_1) | instskip(SKIP_2) | instid1(VALU_DEP_1)
	v_rcp_iflag_f32_e32 v1, v1
	s_waitcnt_depctr 0xfff
	v_mul_f32_e32 v1, 0x4f7ffffe, v1
	v_cvt_u32_f32_e32 v1, v1
	s_delay_alu instid0(VALU_DEP_1) | instskip(NEXT) | instid1(VALU_DEP_1)
	v_mul_lo_u32 v2, s0, v1
	v_mul_hi_u32 v2, v1, v2
	s_delay_alu instid0(VALU_DEP_1) | instskip(NEXT) | instid1(VALU_DEP_1)
	v_add_nc_u32_e32 v1, v1, v2
	v_mul_hi_u32 v1, s2, v1
	s_delay_alu instid0(VALU_DEP_1) | instskip(NEXT) | instid1(VALU_DEP_1)
	v_mul_lo_u32 v1, v1, s12
	v_sub_nc_u32_e32 v1, s2, v1
	s_delay_alu instid0(VALU_DEP_1) | instskip(SKIP_1) | instid1(VALU_DEP_2)
	v_subrev_nc_u32_e32 v2, s12, v1
	v_cmp_le_u32_e32 vcc_lo, s12, v1
	v_cndmask_b32_e32 v1, v1, v2, vcc_lo
	s_delay_alu instid0(VALU_DEP_1) | instskip(SKIP_1) | instid1(VALU_DEP_2)
	v_subrev_nc_u32_e32 v2, s12, v1
	v_cmp_le_u32_e32 vcc_lo, s12, v1
	v_dual_cndmask_b32 v1, v1, v2 :: v_dual_mov_b32 v2, 0
.LBB19_57:
	s_delay_alu instid0(VALU_DEP_1)
	v_sub_co_u32 v13, vcc_lo, s2, v1
	s_add_u32 s0, s4, s14
	s_addc_u32 s1, s5, s15
	s_lshl_b64 s[4:5], s[16:17], 2
	v_sub_co_ci_u32_e32 v14, vcc_lo, s3, v2, vcc_lo
	v_mov_b32_e32 v1, 0
	s_add_u32 s4, s6, s4
	s_addc_u32 s5, s7, s5
	s_mul_i32 s2, s33, 3
	s_lshl_b32 s3, s33, 1
	s_mov_b32 s6, 0
	s_mov_b32 s7, 0x43600000
	s_branch .LBB19_63
.LBB19_58:                              ;   in Loop: Header=BB19_63 Depth=1
	s_or_b32 exec_lo, exec_lo, s16
.LBB19_59:                              ;   in Loop: Header=BB19_63 Depth=1
	s_delay_alu instid0(SALU_CYCLE_1)
	s_or_b32 exec_lo, exec_lo, s14
	v_lshlrev_b32_e32 v6, 16, v4
	v_lshlrev_b64 v[4:5], 2, v[0:1]
	v_lshlrev_b32_e32 v7, 8, v11
	s_add_i32 s14, s33, s33
	v_and_b32_e32 v8, 0xff, v2
	v_add3_u32 v0, s14, s33, v10
	v_perm_b32 v6, v3, v6, 0x4020c0c
	v_and_b32_e32 v7, 0xff00, v7
	v_add_co_u32 v2, vcc_lo, s0, v4
	v_add_co_ci_u32_e32 v3, vcc_lo, s1, v5, vcc_lo
	v_cmp_le_u32_e32 vcc_lo, s8, v0
	s_delay_alu instid0(VALU_DEP_4)
	v_or3_b32 v4, v6, v7, v8
	s_or_not1_b32 s14, vcc_lo, exec_lo
	global_store_b32 v[2:3], v4, off
.LBB19_60:                              ;   in Loop: Header=BB19_63 Depth=1
	s_or_b32 exec_lo, exec_lo, s13
	s_delay_alu instid0(SALU_CYCLE_1)
	s_or_not1_b32 s13, s14, exec_lo
.LBB19_61:                              ;   in Loop: Header=BB19_63 Depth=1
	s_or_b32 exec_lo, exec_lo, s12
	s_delay_alu instid0(SALU_CYCLE_1)
	s_or_not1_b32 s12, s13, exec_lo
.LBB19_62:                              ;   in Loop: Header=BB19_63 Depth=1
	s_or_b32 exec_lo, exec_lo, s9
	s_delay_alu instid0(SALU_CYCLE_1) | instskip(NEXT) | instid1(SALU_CYCLE_1)
	s_and_b32 s9, exec_lo, s12
	s_or_b32 s6, s9, s6
	s_delay_alu instid0(SALU_CYCLE_1)
	s_and_not1_b32 exec_lo, exec_lo, s6
	s_cbranch_execz .LBB19_193
.LBB19_63:                              ; =>This Inner Loop Header: Depth=1
	v_lshlrev_b64 v[4:5], 4, v[0:1]
	v_bfe_u32 v8, v0, 5, 25
	s_mov_b32 s9, exec_lo
	s_delay_alu instid0(VALU_DEP_1) | instskip(NEXT) | instid1(VALU_DEP_3)
	v_mad_u64_u32 v[2:3], null, v13, v8, 0
	v_add_co_u32 v6, vcc_lo, s28, v4
	s_delay_alu instid0(VALU_DEP_4)
	v_add_co_ci_u32_e32 v7, vcc_lo, s29, v5, vcc_lo
	v_add_co_u32 v19, vcc_lo, s30, v4
	v_add_co_ci_u32_e32 v20, vcc_lo, s31, v5, vcc_lo
	v_mad_u64_u32 v[10:11], null, v14, v8, v[3:4]
	global_load_b128 v[6:9], v[6:7], off
	global_load_b128 v[15:18], v[19:20], off
	v_add_co_u32 v4, vcc_lo, s10, v4
	v_add_co_ci_u32_e32 v5, vcc_lo, s11, v5, vcc_lo
	s_waitcnt vmcnt(0)
	v_add_f32_e32 v6, v6, v15
	v_mov_b32_e32 v3, v10
	v_dual_add_f32 v7, v7, v16 :: v_dual_add_f32 v8, v8, v17
	v_add_f32_e32 v9, v9, v18
	s_delay_alu instid0(VALU_DEP_3)
	v_lshlrev_b64 v[10:11], 2, v[2:3]
	global_load_b128 v[2:5], v[4:5], off
	v_add_co_u32 v10, vcc_lo, s4, v10
	v_add_co_ci_u32_e32 v11, vcc_lo, s5, v11, vcc_lo
	global_load_b32 v11, v[10:11], off
	v_mul_f32_e32 v10, v28, v6
	s_waitcnt vmcnt(1)
	s_delay_alu instid0(VALU_DEP_1) | instskip(SKIP_1) | instid1(VALU_DEP_1)
	v_mul_f32_e32 v2, v2, v10
	s_waitcnt vmcnt(0)
	v_div_scale_f32 v10, null, v11, v11, v2
	v_div_scale_f32 v21, vcc_lo, v2, v11, v2
	s_delay_alu instid0(VALU_DEP_2) | instskip(SKIP_2) | instid1(VALU_DEP_1)
	v_rcp_f32_e32 v12, v10
	s_waitcnt_depctr 0xfff
	v_fma_f32 v15, -v10, v12, 1.0
	v_fmac_f32_e32 v12, v15, v12
	s_delay_alu instid0(VALU_DEP_1) | instskip(SKIP_2) | instid1(VALU_DEP_1)
	v_mul_f32_e32 v15, v21, v12
	global_store_b128 v[19:20], v[6:9], off
	v_fma_f32 v22, -v10, v15, v21
	v_fmac_f32_e32 v15, v22, v12
	s_delay_alu instid0(VALU_DEP_1) | instskip(NEXT) | instid1(VALU_DEP_1)
	v_fma_f32 v10, -v10, v15, v21
	v_div_fmas_f32 v10, v10, v12, v15
	s_delay_alu instid0(VALU_DEP_1) | instskip(SKIP_1) | instid1(VALU_DEP_2)
	v_div_fixup_f32 v2, v10, v11, v2
	v_mov_b32_e32 v10, 0x80
	v_minmax_f32 v12, v2, s7, 0xc3600000
	v_mov_b32_e32 v2, 0x80
	s_delay_alu instid0(VALU_DEP_2) | instskip(NEXT) | instid1(VALU_DEP_1)
	v_and_b32_e32 v15, 0x7fffffff, v12
	v_cmpx_gt_u32_e32 0x43800000, v15
	s_cbranch_execz .LBB19_69
; %bb.64:                               ;   in Loop: Header=BB19_63 Depth=1
	s_mov_b32 s12, 0
	s_mov_b32 s13, exec_lo
                                        ; implicit-def: $vgpr6
	v_cmpx_lt_u32_e32 0x3bffffff, v15
	s_xor_b32 s13, exec_lo, s13
	s_cbranch_execnz .LBB19_160
; %bb.65:                               ;   in Loop: Header=BB19_63 Depth=1
	s_or_saveexec_b32 s13, s13
                                        ; implicit-def: $sgpr14
	s_delay_alu instid0(SALU_CYCLE_1)
	s_xor_b32 exec_lo, exec_lo, s13
	s_cbranch_execnz .LBB19_161
.LBB19_66:                              ;   in Loop: Header=BB19_63 Depth=1
	s_or_b32 exec_lo, exec_lo, s13
	v_mov_b32_e32 v10, s14
	s_and_saveexec_b32 s13, s12
.LBB19_67:                              ;   in Loop: Header=BB19_63 Depth=1
	v_lshrrev_b32_e32 v10, 24, v12
	s_delay_alu instid0(VALU_DEP_1)
	v_and_or_b32 v10, 0x80, v10, v6
.LBB19_68:                              ;   in Loop: Header=BB19_63 Depth=1
	s_or_b32 exec_lo, exec_lo, s13
.LBB19_69:                              ;   in Loop: Header=BB19_63 Depth=1
	s_delay_alu instid0(SALU_CYCLE_1) | instskip(SKIP_2) | instid1(VALU_DEP_1)
	s_or_b32 exec_lo, exec_lo, s9
	v_mul_f32_e32 v6, v28, v7
	s_mov_b32 s9, exec_lo
	v_mul_f32_e32 v3, v3, v6
	s_delay_alu instid0(VALU_DEP_1) | instskip(NEXT) | instid1(VALU_DEP_1)
	v_div_scale_f32 v6, null, v11, v11, v3
	v_rcp_f32_e32 v7, v6
	s_waitcnt_depctr 0xfff
	v_fma_f32 v12, -v6, v7, 1.0
	s_delay_alu instid0(VALU_DEP_1) | instskip(SKIP_1) | instid1(VALU_DEP_1)
	v_fmac_f32_e32 v7, v12, v7
	v_div_scale_f32 v12, vcc_lo, v3, v11, v3
	v_mul_f32_e32 v15, v12, v7
	s_delay_alu instid0(VALU_DEP_1) | instskip(NEXT) | instid1(VALU_DEP_1)
	v_fma_f32 v16, -v6, v15, v12
	v_fmac_f32_e32 v15, v16, v7
	s_delay_alu instid0(VALU_DEP_1) | instskip(NEXT) | instid1(VALU_DEP_1)
	v_fma_f32 v6, -v6, v15, v12
	v_div_fmas_f32 v6, v6, v7, v15
	s_delay_alu instid0(VALU_DEP_1) | instskip(NEXT) | instid1(VALU_DEP_1)
	v_div_fixup_f32 v3, v6, v11, v3
	v_minmax_f32 v3, v3, s7, 0xc3600000
	s_delay_alu instid0(VALU_DEP_1) | instskip(NEXT) | instid1(VALU_DEP_1)
	v_and_b32_e32 v6, 0x7fffffff, v3
	v_cmpx_gt_u32_e32 0x43800000, v6
	s_cbranch_execz .LBB19_75
; %bb.70:                               ;   in Loop: Header=BB19_63 Depth=1
	v_cmp_lt_u32_e32 vcc_lo, 0x3bffffff, v6
	s_mov_b32 s12, 0
                                        ; implicit-def: $vgpr6
	s_and_saveexec_b32 s13, vcc_lo
	s_delay_alu instid0(SALU_CYCLE_1)
	s_xor_b32 s13, exec_lo, s13
	s_cbranch_execnz .LBB19_162
; %bb.71:                               ;   in Loop: Header=BB19_63 Depth=1
	s_or_saveexec_b32 s13, s13
                                        ; implicit-def: $sgpr14
	s_delay_alu instid0(SALU_CYCLE_1)
	s_xor_b32 exec_lo, exec_lo, s13
	s_cbranch_execnz .LBB19_163
.LBB19_72:                              ;   in Loop: Header=BB19_63 Depth=1
	s_or_b32 exec_lo, exec_lo, s13
	v_mov_b32_e32 v2, s14
	s_and_saveexec_b32 s13, s12
.LBB19_73:                              ;   in Loop: Header=BB19_63 Depth=1
	v_lshrrev_b32_e32 v2, 24, v3
	s_delay_alu instid0(VALU_DEP_1)
	v_and_or_b32 v2, 0x80, v2, v6
.LBB19_74:                              ;   in Loop: Header=BB19_63 Depth=1
	s_or_b32 exec_lo, exec_lo, s13
.LBB19_75:                              ;   in Loop: Header=BB19_63 Depth=1
	s_delay_alu instid0(SALU_CYCLE_1) | instskip(SKIP_2) | instid1(VALU_DEP_1)
	s_or_b32 exec_lo, exec_lo, s9
	v_mul_f32_e32 v3, v28, v8
	s_mov_b32 s9, exec_lo
	v_mul_f32_e32 v3, v4, v3
	s_delay_alu instid0(VALU_DEP_1) | instskip(SKIP_1) | instid1(VALU_DEP_2)
	v_div_scale_f32 v4, null, v11, v11, v3
	v_div_scale_f32 v8, vcc_lo, v3, v11, v3
	v_rcp_f32_e32 v6, v4
	s_waitcnt_depctr 0xfff
	v_fma_f32 v7, -v4, v6, 1.0
	s_delay_alu instid0(VALU_DEP_1) | instskip(NEXT) | instid1(VALU_DEP_1)
	v_fmac_f32_e32 v6, v7, v6
	v_mul_f32_e32 v7, v8, v6
	s_delay_alu instid0(VALU_DEP_1) | instskip(NEXT) | instid1(VALU_DEP_1)
	v_fma_f32 v12, -v4, v7, v8
	v_fmac_f32_e32 v7, v12, v6
	s_delay_alu instid0(VALU_DEP_1) | instskip(NEXT) | instid1(VALU_DEP_1)
	v_fma_f32 v4, -v4, v7, v8
	v_div_fmas_f32 v4, v4, v6, v7
	s_delay_alu instid0(VALU_DEP_1) | instskip(SKIP_1) | instid1(VALU_DEP_2)
	v_div_fixup_f32 v3, v4, v11, v3
	v_mov_b32_e32 v4, 0x80
	v_minmax_f32 v6, v3, s7, 0xc3600000
	v_mov_b32_e32 v3, 0x80
	s_delay_alu instid0(VALU_DEP_2) | instskip(NEXT) | instid1(VALU_DEP_1)
	v_and_b32_e32 v7, 0x7fffffff, v6
	v_cmpx_gt_u32_e32 0x43800000, v7
	s_cbranch_execz .LBB19_81
; %bb.76:                               ;   in Loop: Header=BB19_63 Depth=1
	v_cmp_lt_u32_e32 vcc_lo, 0x3bffffff, v7
	s_mov_b32 s12, 0
                                        ; implicit-def: $vgpr7
	s_and_saveexec_b32 s13, vcc_lo
	s_delay_alu instid0(SALU_CYCLE_1)
	s_xor_b32 s13, exec_lo, s13
	s_cbranch_execnz .LBB19_164
; %bb.77:                               ;   in Loop: Header=BB19_63 Depth=1
	s_or_saveexec_b32 s13, s13
                                        ; implicit-def: $sgpr14
	s_delay_alu instid0(SALU_CYCLE_1)
	s_xor_b32 exec_lo, exec_lo, s13
	s_cbranch_execnz .LBB19_165
.LBB19_78:                              ;   in Loop: Header=BB19_63 Depth=1
	s_or_b32 exec_lo, exec_lo, s13
	v_mov_b32_e32 v4, s14
	s_and_saveexec_b32 s13, s12
.LBB19_79:                              ;   in Loop: Header=BB19_63 Depth=1
	v_lshrrev_b32_e32 v4, 24, v6
	s_delay_alu instid0(VALU_DEP_1)
	v_and_or_b32 v4, 0x80, v4, v7
.LBB19_80:                              ;   in Loop: Header=BB19_63 Depth=1
	s_or_b32 exec_lo, exec_lo, s13
.LBB19_81:                              ;   in Loop: Header=BB19_63 Depth=1
	s_delay_alu instid0(SALU_CYCLE_1) | instskip(SKIP_2) | instid1(VALU_DEP_1)
	s_or_b32 exec_lo, exec_lo, s9
	v_mul_f32_e32 v6, v28, v9
	s_mov_b32 s9, exec_lo
	v_mul_f32_e32 v5, v5, v6
	s_delay_alu instid0(VALU_DEP_1) | instskip(NEXT) | instid1(VALU_DEP_1)
	v_div_scale_f32 v6, null, v11, v11, v5
	v_rcp_f32_e32 v7, v6
	s_waitcnt_depctr 0xfff
	v_fma_f32 v8, -v6, v7, 1.0
	s_delay_alu instid0(VALU_DEP_1) | instskip(SKIP_1) | instid1(VALU_DEP_1)
	v_fmac_f32_e32 v7, v8, v7
	v_div_scale_f32 v8, vcc_lo, v5, v11, v5
	v_mul_f32_e32 v9, v8, v7
	s_delay_alu instid0(VALU_DEP_1) | instskip(NEXT) | instid1(VALU_DEP_1)
	v_fma_f32 v12, -v6, v9, v8
	v_fmac_f32_e32 v9, v12, v7
	s_delay_alu instid0(VALU_DEP_1) | instskip(NEXT) | instid1(VALU_DEP_1)
	v_fma_f32 v6, -v6, v9, v8
	v_div_fmas_f32 v6, v6, v7, v9
	s_delay_alu instid0(VALU_DEP_1) | instskip(NEXT) | instid1(VALU_DEP_1)
	v_div_fixup_f32 v5, v6, v11, v5
	v_minmax_f32 v5, v5, s7, 0xc3600000
	s_delay_alu instid0(VALU_DEP_1) | instskip(NEXT) | instid1(VALU_DEP_1)
	v_and_b32_e32 v6, 0x7fffffff, v5
	v_cmpx_gt_u32_e32 0x43800000, v6
	s_cbranch_execz .LBB19_87
; %bb.82:                               ;   in Loop: Header=BB19_63 Depth=1
	v_cmp_lt_u32_e32 vcc_lo, 0x3bffffff, v6
	s_mov_b32 s12, 0
                                        ; implicit-def: $vgpr6
	s_and_saveexec_b32 s13, vcc_lo
	s_delay_alu instid0(SALU_CYCLE_1)
	s_xor_b32 s13, exec_lo, s13
	s_cbranch_execnz .LBB19_166
; %bb.83:                               ;   in Loop: Header=BB19_63 Depth=1
	s_or_saveexec_b32 s13, s13
                                        ; implicit-def: $sgpr14
	s_delay_alu instid0(SALU_CYCLE_1)
	s_xor_b32 exec_lo, exec_lo, s13
	s_cbranch_execnz .LBB19_167
.LBB19_84:                              ;   in Loop: Header=BB19_63 Depth=1
	s_or_b32 exec_lo, exec_lo, s13
	v_mov_b32_e32 v3, s14
	s_and_saveexec_b32 s13, s12
.LBB19_85:                              ;   in Loop: Header=BB19_63 Depth=1
	v_lshrrev_b32_e32 v3, 24, v5
	s_delay_alu instid0(VALU_DEP_1)
	v_and_or_b32 v3, 0x80, v3, v6
.LBB19_86:                              ;   in Loop: Header=BB19_63 Depth=1
	s_or_b32 exec_lo, exec_lo, s13
.LBB19_87:                              ;   in Loop: Header=BB19_63 Depth=1
	s_delay_alu instid0(SALU_CYCLE_1)
	s_or_b32 exec_lo, exec_lo, s9
	v_lshlrev_b32_e32 v6, 16, v4
	v_lshlrev_b32_e32 v2, 8, v2
	v_lshlrev_b64 v[4:5], 2, v[0:1]
	v_and_b32_e32 v7, 0xff, v10
	v_add_nc_u32_e32 v10, s33, v0
	v_perm_b32 v6, v3, v6, 0x4020c0c
	v_and_b32_e32 v8, 0xff00, v2
	s_mov_b32 s12, -1
	v_add_co_u32 v2, vcc_lo, s0, v4
	v_add_co_ci_u32_e32 v3, vcc_lo, s1, v5, vcc_lo
	s_delay_alu instid0(VALU_DEP_3)
	v_or3_b32 v4, v6, v8, v7
	s_mov_b32 s9, exec_lo
	global_store_b32 v[2:3], v4, off
	v_cmpx_gt_u32_e64 s8, v10
	s_cbranch_execz .LBB19_62
; %bb.88:                               ;   in Loop: Header=BB19_63 Depth=1
	v_mov_b32_e32 v11, v1
	v_bfe_u32 v8, v10, 5, 25
	s_mov_b32 s12, exec_lo
	s_delay_alu instid0(VALU_DEP_2) | instskip(NEXT) | instid1(VALU_DEP_2)
	v_lshlrev_b64 v[4:5], 4, v[10:11]
	v_mad_u64_u32 v[2:3], null, v13, v8, 0
	s_delay_alu instid0(VALU_DEP_2) | instskip(NEXT) | instid1(VALU_DEP_3)
	v_add_co_u32 v6, vcc_lo, s28, v4
	v_add_co_ci_u32_e32 v7, vcc_lo, s29, v5, vcc_lo
	v_add_co_u32 v21, vcc_lo, s30, v4
	v_add_co_ci_u32_e32 v22, vcc_lo, s31, v5, vcc_lo
	v_mad_u64_u32 v[15:16], null, v14, v8, v[3:4]
	global_load_b128 v[6:9], v[6:7], off
	global_load_b128 v[17:20], v[21:22], off
	v_add_co_u32 v4, vcc_lo, s10, v4
	v_add_co_ci_u32_e32 v5, vcc_lo, s11, v5, vcc_lo
	s_waitcnt vmcnt(0)
	v_dual_add_f32 v6, v6, v17 :: v_dual_mov_b32 v3, v15
	v_add_f32_e32 v9, v9, v20
	v_dual_add_f32 v7, v7, v18 :: v_dual_add_f32 v8, v8, v19
	s_delay_alu instid0(VALU_DEP_3) | instskip(NEXT) | instid1(VALU_DEP_4)
	v_mul_f32_e32 v12, v28, v6
	v_lshlrev_b64 v[15:16], 2, v[2:3]
	global_load_b128 v[2:5], v[4:5], off
	global_store_b128 v[21:22], v[6:9], off
	v_add_co_u32 v15, vcc_lo, s4, v15
	v_add_co_ci_u32_e32 v16, vcc_lo, s5, v16, vcc_lo
	global_load_b32 v15, v[15:16], off
	s_waitcnt vmcnt(1)
	v_mul_f32_e32 v2, v2, v12
	s_waitcnt vmcnt(0)
	s_delay_alu instid0(VALU_DEP_1) | instskip(SKIP_1) | instid1(VALU_DEP_2)
	v_div_scale_f32 v12, null, v15, v15, v2
	v_div_scale_f32 v23, vcc_lo, v2, v15, v2
	v_rcp_f32_e32 v16, v12
	s_waitcnt_depctr 0xfff
	v_fma_f32 v17, -v12, v16, 1.0
	s_delay_alu instid0(VALU_DEP_1) | instskip(NEXT) | instid1(VALU_DEP_1)
	v_fmac_f32_e32 v16, v17, v16
	v_mul_f32_e32 v17, v23, v16
	s_delay_alu instid0(VALU_DEP_1) | instskip(NEXT) | instid1(VALU_DEP_1)
	v_fma_f32 v24, -v12, v17, v23
	v_fmac_f32_e32 v17, v24, v16
	s_delay_alu instid0(VALU_DEP_1) | instskip(NEXT) | instid1(VALU_DEP_1)
	v_fma_f32 v12, -v12, v17, v23
	v_div_fmas_f32 v12, v12, v16, v17
	s_delay_alu instid0(VALU_DEP_1) | instskip(SKIP_1) | instid1(VALU_DEP_2)
	v_div_fixup_f32 v2, v12, v15, v2
	v_mov_b32_e32 v12, 0x80
	v_minmax_f32 v16, v2, s7, 0xc3600000
	v_mov_b32_e32 v2, 0x80
	s_delay_alu instid0(VALU_DEP_2) | instskip(NEXT) | instid1(VALU_DEP_1)
	v_and_b32_e32 v17, 0x7fffffff, v16
	v_cmpx_gt_u32_e32 0x43800000, v17
	s_cbranch_execz .LBB19_94
; %bb.89:                               ;   in Loop: Header=BB19_63 Depth=1
	s_mov_b32 s13, 0
	s_mov_b32 s14, exec_lo
                                        ; implicit-def: $vgpr6
	v_cmpx_lt_u32_e32 0x3bffffff, v17
	s_xor_b32 s14, exec_lo, s14
	s_cbranch_execnz .LBB19_168
; %bb.90:                               ;   in Loop: Header=BB19_63 Depth=1
	s_or_saveexec_b32 s14, s14
                                        ; implicit-def: $sgpr15
	s_delay_alu instid0(SALU_CYCLE_1)
	s_xor_b32 exec_lo, exec_lo, s14
	s_cbranch_execnz .LBB19_169
.LBB19_91:                              ;   in Loop: Header=BB19_63 Depth=1
	s_or_b32 exec_lo, exec_lo, s14
	v_mov_b32_e32 v12, s15
	s_and_saveexec_b32 s14, s13
.LBB19_92:                              ;   in Loop: Header=BB19_63 Depth=1
	v_lshrrev_b32_e32 v12, 24, v16
	s_delay_alu instid0(VALU_DEP_1)
	v_and_or_b32 v12, 0x80, v12, v6
.LBB19_93:                              ;   in Loop: Header=BB19_63 Depth=1
	s_or_b32 exec_lo, exec_lo, s14
.LBB19_94:                              ;   in Loop: Header=BB19_63 Depth=1
	s_delay_alu instid0(SALU_CYCLE_1) | instskip(SKIP_2) | instid1(VALU_DEP_1)
	s_or_b32 exec_lo, exec_lo, s12
	v_mul_f32_e32 v6, v28, v7
	s_mov_b32 s12, exec_lo
	v_mul_f32_e32 v3, v3, v6
	s_delay_alu instid0(VALU_DEP_1) | instskip(NEXT) | instid1(VALU_DEP_1)
	v_div_scale_f32 v6, null, v15, v15, v3
	v_rcp_f32_e32 v7, v6
	s_waitcnt_depctr 0xfff
	v_fma_f32 v16, -v6, v7, 1.0
	s_delay_alu instid0(VALU_DEP_1) | instskip(SKIP_1) | instid1(VALU_DEP_1)
	v_fmac_f32_e32 v7, v16, v7
	v_div_scale_f32 v16, vcc_lo, v3, v15, v3
	v_mul_f32_e32 v17, v16, v7
	s_delay_alu instid0(VALU_DEP_1) | instskip(NEXT) | instid1(VALU_DEP_1)
	v_fma_f32 v18, -v6, v17, v16
	v_fmac_f32_e32 v17, v18, v7
	s_delay_alu instid0(VALU_DEP_1) | instskip(NEXT) | instid1(VALU_DEP_1)
	v_fma_f32 v6, -v6, v17, v16
	v_div_fmas_f32 v6, v6, v7, v17
	s_delay_alu instid0(VALU_DEP_1) | instskip(NEXT) | instid1(VALU_DEP_1)
	v_div_fixup_f32 v3, v6, v15, v3
	v_minmax_f32 v3, v3, s7, 0xc3600000
	s_delay_alu instid0(VALU_DEP_1) | instskip(NEXT) | instid1(VALU_DEP_1)
	v_and_b32_e32 v6, 0x7fffffff, v3
	v_cmpx_gt_u32_e32 0x43800000, v6
	s_cbranch_execz .LBB19_100
; %bb.95:                               ;   in Loop: Header=BB19_63 Depth=1
	v_cmp_lt_u32_e32 vcc_lo, 0x3bffffff, v6
	s_mov_b32 s13, 0
                                        ; implicit-def: $vgpr6
	s_and_saveexec_b32 s14, vcc_lo
	s_delay_alu instid0(SALU_CYCLE_1)
	s_xor_b32 s14, exec_lo, s14
	s_cbranch_execnz .LBB19_170
; %bb.96:                               ;   in Loop: Header=BB19_63 Depth=1
	s_or_saveexec_b32 s14, s14
                                        ; implicit-def: $sgpr15
	s_delay_alu instid0(SALU_CYCLE_1)
	s_xor_b32 exec_lo, exec_lo, s14
	s_cbranch_execnz .LBB19_171
.LBB19_97:                              ;   in Loop: Header=BB19_63 Depth=1
	s_or_b32 exec_lo, exec_lo, s14
	v_mov_b32_e32 v2, s15
	s_and_saveexec_b32 s14, s13
.LBB19_98:                              ;   in Loop: Header=BB19_63 Depth=1
	v_lshrrev_b32_e32 v2, 24, v3
	s_delay_alu instid0(VALU_DEP_1)
	v_and_or_b32 v2, 0x80, v2, v6
.LBB19_99:                              ;   in Loop: Header=BB19_63 Depth=1
	s_or_b32 exec_lo, exec_lo, s14
.LBB19_100:                             ;   in Loop: Header=BB19_63 Depth=1
	s_delay_alu instid0(SALU_CYCLE_1) | instskip(SKIP_2) | instid1(VALU_DEP_1)
	s_or_b32 exec_lo, exec_lo, s12
	v_mul_f32_e32 v3, v28, v8
	s_mov_b32 s12, exec_lo
	v_mul_f32_e32 v3, v4, v3
	s_delay_alu instid0(VALU_DEP_1) | instskip(SKIP_1) | instid1(VALU_DEP_2)
	v_div_scale_f32 v4, null, v15, v15, v3
	v_div_scale_f32 v8, vcc_lo, v3, v15, v3
	v_rcp_f32_e32 v6, v4
	s_waitcnt_depctr 0xfff
	v_fma_f32 v7, -v4, v6, 1.0
	s_delay_alu instid0(VALU_DEP_1) | instskip(NEXT) | instid1(VALU_DEP_1)
	v_fmac_f32_e32 v6, v7, v6
	v_mul_f32_e32 v7, v8, v6
	s_delay_alu instid0(VALU_DEP_1) | instskip(NEXT) | instid1(VALU_DEP_1)
	v_fma_f32 v16, -v4, v7, v8
	v_fmac_f32_e32 v7, v16, v6
	s_delay_alu instid0(VALU_DEP_1) | instskip(NEXT) | instid1(VALU_DEP_1)
	v_fma_f32 v4, -v4, v7, v8
	v_div_fmas_f32 v4, v4, v6, v7
	s_delay_alu instid0(VALU_DEP_1) | instskip(SKIP_1) | instid1(VALU_DEP_2)
	v_div_fixup_f32 v3, v4, v15, v3
	v_mov_b32_e32 v4, 0x80
	v_minmax_f32 v6, v3, s7, 0xc3600000
	v_mov_b32_e32 v3, 0x80
	s_delay_alu instid0(VALU_DEP_2) | instskip(NEXT) | instid1(VALU_DEP_1)
	v_and_b32_e32 v7, 0x7fffffff, v6
	v_cmpx_gt_u32_e32 0x43800000, v7
	s_cbranch_execz .LBB19_106
; %bb.101:                              ;   in Loop: Header=BB19_63 Depth=1
	v_cmp_lt_u32_e32 vcc_lo, 0x3bffffff, v7
	s_mov_b32 s13, 0
                                        ; implicit-def: $vgpr7
	s_and_saveexec_b32 s14, vcc_lo
	s_delay_alu instid0(SALU_CYCLE_1)
	s_xor_b32 s14, exec_lo, s14
	s_cbranch_execnz .LBB19_172
; %bb.102:                              ;   in Loop: Header=BB19_63 Depth=1
	s_or_saveexec_b32 s14, s14
                                        ; implicit-def: $sgpr15
	s_delay_alu instid0(SALU_CYCLE_1)
	s_xor_b32 exec_lo, exec_lo, s14
	s_cbranch_execnz .LBB19_173
.LBB19_103:                             ;   in Loop: Header=BB19_63 Depth=1
	s_or_b32 exec_lo, exec_lo, s14
	v_mov_b32_e32 v4, s15
	s_and_saveexec_b32 s14, s13
.LBB19_104:                             ;   in Loop: Header=BB19_63 Depth=1
	v_lshrrev_b32_e32 v4, 24, v6
	s_delay_alu instid0(VALU_DEP_1)
	v_and_or_b32 v4, 0x80, v4, v7
.LBB19_105:                             ;   in Loop: Header=BB19_63 Depth=1
	s_or_b32 exec_lo, exec_lo, s14
.LBB19_106:                             ;   in Loop: Header=BB19_63 Depth=1
	s_delay_alu instid0(SALU_CYCLE_1) | instskip(SKIP_2) | instid1(VALU_DEP_1)
	s_or_b32 exec_lo, exec_lo, s12
	v_mul_f32_e32 v6, v28, v9
	s_mov_b32 s12, exec_lo
	v_mul_f32_e32 v5, v5, v6
	s_delay_alu instid0(VALU_DEP_1) | instskip(NEXT) | instid1(VALU_DEP_1)
	v_div_scale_f32 v6, null, v15, v15, v5
	v_rcp_f32_e32 v7, v6
	s_waitcnt_depctr 0xfff
	v_fma_f32 v8, -v6, v7, 1.0
	s_delay_alu instid0(VALU_DEP_1) | instskip(SKIP_1) | instid1(VALU_DEP_1)
	v_fmac_f32_e32 v7, v8, v7
	v_div_scale_f32 v8, vcc_lo, v5, v15, v5
	v_mul_f32_e32 v9, v8, v7
	s_delay_alu instid0(VALU_DEP_1) | instskip(NEXT) | instid1(VALU_DEP_1)
	v_fma_f32 v16, -v6, v9, v8
	v_fmac_f32_e32 v9, v16, v7
	s_delay_alu instid0(VALU_DEP_1) | instskip(NEXT) | instid1(VALU_DEP_1)
	v_fma_f32 v6, -v6, v9, v8
	v_div_fmas_f32 v6, v6, v7, v9
	s_delay_alu instid0(VALU_DEP_1) | instskip(NEXT) | instid1(VALU_DEP_1)
	v_div_fixup_f32 v5, v6, v15, v5
	v_minmax_f32 v5, v5, s7, 0xc3600000
	s_delay_alu instid0(VALU_DEP_1) | instskip(NEXT) | instid1(VALU_DEP_1)
	v_and_b32_e32 v6, 0x7fffffff, v5
	v_cmpx_gt_u32_e32 0x43800000, v6
	s_cbranch_execz .LBB19_112
; %bb.107:                              ;   in Loop: Header=BB19_63 Depth=1
	v_cmp_lt_u32_e32 vcc_lo, 0x3bffffff, v6
	s_mov_b32 s13, 0
                                        ; implicit-def: $vgpr6
	s_and_saveexec_b32 s14, vcc_lo
	s_delay_alu instid0(SALU_CYCLE_1)
	s_xor_b32 s14, exec_lo, s14
	s_cbranch_execnz .LBB19_174
; %bb.108:                              ;   in Loop: Header=BB19_63 Depth=1
	s_or_saveexec_b32 s14, s14
                                        ; implicit-def: $sgpr15
	s_delay_alu instid0(SALU_CYCLE_1)
	s_xor_b32 exec_lo, exec_lo, s14
	s_cbranch_execnz .LBB19_175
.LBB19_109:                             ;   in Loop: Header=BB19_63 Depth=1
	s_or_b32 exec_lo, exec_lo, s14
	v_mov_b32_e32 v3, s15
	s_and_saveexec_b32 s14, s13
.LBB19_110:                             ;   in Loop: Header=BB19_63 Depth=1
	v_lshrrev_b32_e32 v3, 24, v5
	s_delay_alu instid0(VALU_DEP_1)
	v_and_or_b32 v3, 0x80, v3, v6
.LBB19_111:                             ;   in Loop: Header=BB19_63 Depth=1
	s_or_b32 exec_lo, exec_lo, s14
.LBB19_112:                             ;   in Loop: Header=BB19_63 Depth=1
	s_delay_alu instid0(SALU_CYCLE_1)
	s_or_b32 exec_lo, exec_lo, s12
	v_lshlrev_b32_e32 v6, 16, v4
	v_lshlrev_b32_e32 v2, 8, v2
	v_lshlrev_b64 v[4:5], 2, v[10:11]
	v_and_b32_e32 v7, 0xff, v12
	v_add_nc_u32_e32 v11, s3, v0
	v_perm_b32 v6, v3, v6, 0x4020c0c
	v_and_b32_e32 v8, 0xff00, v2
	s_mov_b32 s13, -1
	v_add_co_u32 v2, vcc_lo, s0, v4
	v_add_co_ci_u32_e32 v3, vcc_lo, s1, v5, vcc_lo
	s_delay_alu instid0(VALU_DEP_3)
	v_or3_b32 v4, v6, v8, v7
	s_mov_b32 s12, exec_lo
	global_store_b32 v[2:3], v4, off
	v_cmpx_gt_u32_e64 s8, v11
	s_cbranch_execz .LBB19_61
; %bb.113:                              ;   in Loop: Header=BB19_63 Depth=1
	v_bfe_u32 v8, v11, 5, 25
	v_mov_b32_e32 v12, v1
	s_mov_b32 s13, exec_lo
	s_delay_alu instid0(VALU_DEP_2) | instskip(NEXT) | instid1(VALU_DEP_2)
	v_mad_u64_u32 v[2:3], null, v13, v8, 0
	v_lshlrev_b64 v[4:5], 4, v[11:12]
	s_delay_alu instid0(VALU_DEP_1) | instskip(NEXT) | instid1(VALU_DEP_3)
	v_add_co_u32 v6, vcc_lo, s28, v4
	v_mad_u64_u32 v[15:16], null, v14, v8, v[3:4]
	s_delay_alu instid0(VALU_DEP_3) | instskip(SKIP_2) | instid1(VALU_DEP_4)
	v_add_co_ci_u32_e32 v7, vcc_lo, s29, v5, vcc_lo
	v_add_co_u32 v22, vcc_lo, s30, v4
	v_add_co_ci_u32_e32 v23, vcc_lo, s31, v5, vcc_lo
	v_mov_b32_e32 v3, v15
	global_load_b128 v[6:9], v[6:7], off
	global_load_b128 v[18:21], v[22:23], off
	v_add_co_u32 v4, vcc_lo, s10, v4
	v_lshlrev_b64 v[15:16], 2, v[2:3]
	v_add_co_ci_u32_e32 v5, vcc_lo, s11, v5, vcc_lo
	global_load_b128 v[2:5], v[4:5], off
	v_add_co_u32 v15, vcc_lo, s4, v15
	v_add_co_ci_u32_e32 v16, vcc_lo, s5, v16, vcc_lo
	global_load_b32 v16, v[15:16], off
	s_waitcnt vmcnt(2)
	v_dual_add_f32 v6, v6, v18 :: v_dual_add_f32 v7, v7, v19
	v_dual_add_f32 v8, v8, v20 :: v_dual_add_f32 v9, v9, v21
	s_delay_alu instid0(VALU_DEP_2) | instskip(SKIP_4) | instid1(VALU_DEP_1)
	v_mul_f32_e32 v15, v28, v6
	global_store_b128 v[22:23], v[6:9], off
	s_waitcnt vmcnt(1)
	v_mul_f32_e32 v2, v2, v15
	s_waitcnt vmcnt(0)
	v_div_scale_f32 v15, null, v16, v16, v2
	v_div_scale_f32 v24, vcc_lo, v2, v16, v2
	s_delay_alu instid0(VALU_DEP_2) | instskip(SKIP_2) | instid1(VALU_DEP_1)
	v_rcp_f32_e32 v17, v15
	s_waitcnt_depctr 0xfff
	v_fma_f32 v18, -v15, v17, 1.0
	v_fmac_f32_e32 v17, v18, v17
	s_delay_alu instid0(VALU_DEP_1) | instskip(NEXT) | instid1(VALU_DEP_1)
	v_mul_f32_e32 v18, v24, v17
	v_fma_f32 v25, -v15, v18, v24
	s_delay_alu instid0(VALU_DEP_1) | instskip(NEXT) | instid1(VALU_DEP_1)
	v_fmac_f32_e32 v18, v25, v17
	v_fma_f32 v15, -v15, v18, v24
	s_delay_alu instid0(VALU_DEP_1) | instskip(NEXT) | instid1(VALU_DEP_1)
	v_div_fmas_f32 v15, v15, v17, v18
	v_div_fixup_f32 v2, v15, v16, v2
	v_mov_b32_e32 v15, 0x80
	s_delay_alu instid0(VALU_DEP_2) | instskip(SKIP_1) | instid1(VALU_DEP_2)
	v_minmax_f32 v17, v2, s7, 0xc3600000
	v_mov_b32_e32 v2, 0x80
	v_and_b32_e32 v18, 0x7fffffff, v17
	s_delay_alu instid0(VALU_DEP_1)
	v_cmpx_gt_u32_e32 0x43800000, v18
	s_cbranch_execz .LBB19_119
; %bb.114:                              ;   in Loop: Header=BB19_63 Depth=1
	s_mov_b32 s14, 0
	s_mov_b32 s15, exec_lo
                                        ; implicit-def: $vgpr6
	v_cmpx_lt_u32_e32 0x3bffffff, v18
	s_xor_b32 s15, exec_lo, s15
	s_cbranch_execnz .LBB19_176
; %bb.115:                              ;   in Loop: Header=BB19_63 Depth=1
	s_or_saveexec_b32 s15, s15
                                        ; implicit-def: $sgpr16
	s_delay_alu instid0(SALU_CYCLE_1)
	s_xor_b32 exec_lo, exec_lo, s15
	s_cbranch_execnz .LBB19_177
.LBB19_116:                             ;   in Loop: Header=BB19_63 Depth=1
	s_or_b32 exec_lo, exec_lo, s15
	v_mov_b32_e32 v15, s16
	s_and_saveexec_b32 s15, s14
.LBB19_117:                             ;   in Loop: Header=BB19_63 Depth=1
	v_lshrrev_b32_e32 v15, 24, v17
	s_delay_alu instid0(VALU_DEP_1)
	v_and_or_b32 v15, 0x80, v15, v6
.LBB19_118:                             ;   in Loop: Header=BB19_63 Depth=1
	s_or_b32 exec_lo, exec_lo, s15
.LBB19_119:                             ;   in Loop: Header=BB19_63 Depth=1
	s_delay_alu instid0(SALU_CYCLE_1) | instskip(SKIP_2) | instid1(VALU_DEP_1)
	s_or_b32 exec_lo, exec_lo, s13
	v_mul_f32_e32 v6, v28, v7
	s_mov_b32 s13, exec_lo
	v_mul_f32_e32 v3, v3, v6
	s_delay_alu instid0(VALU_DEP_1) | instskip(NEXT) | instid1(VALU_DEP_1)
	v_div_scale_f32 v6, null, v16, v16, v3
	v_rcp_f32_e32 v7, v6
	s_waitcnt_depctr 0xfff
	v_fma_f32 v17, -v6, v7, 1.0
	s_delay_alu instid0(VALU_DEP_1) | instskip(SKIP_1) | instid1(VALU_DEP_1)
	v_fmac_f32_e32 v7, v17, v7
	v_div_scale_f32 v17, vcc_lo, v3, v16, v3
	v_mul_f32_e32 v18, v17, v7
	s_delay_alu instid0(VALU_DEP_1) | instskip(NEXT) | instid1(VALU_DEP_1)
	v_fma_f32 v19, -v6, v18, v17
	v_fmac_f32_e32 v18, v19, v7
	s_delay_alu instid0(VALU_DEP_1) | instskip(NEXT) | instid1(VALU_DEP_1)
	v_fma_f32 v6, -v6, v18, v17
	v_div_fmas_f32 v6, v6, v7, v18
	s_delay_alu instid0(VALU_DEP_1) | instskip(NEXT) | instid1(VALU_DEP_1)
	v_div_fixup_f32 v3, v6, v16, v3
	v_minmax_f32 v3, v3, s7, 0xc3600000
	s_delay_alu instid0(VALU_DEP_1) | instskip(NEXT) | instid1(VALU_DEP_1)
	v_and_b32_e32 v6, 0x7fffffff, v3
	v_cmpx_gt_u32_e32 0x43800000, v6
	s_cbranch_execz .LBB19_125
; %bb.120:                              ;   in Loop: Header=BB19_63 Depth=1
	v_cmp_lt_u32_e32 vcc_lo, 0x3bffffff, v6
	s_mov_b32 s14, 0
                                        ; implicit-def: $vgpr6
	s_and_saveexec_b32 s15, vcc_lo
	s_delay_alu instid0(SALU_CYCLE_1)
	s_xor_b32 s15, exec_lo, s15
	s_cbranch_execnz .LBB19_178
; %bb.121:                              ;   in Loop: Header=BB19_63 Depth=1
	s_or_saveexec_b32 s15, s15
                                        ; implicit-def: $sgpr16
	s_delay_alu instid0(SALU_CYCLE_1)
	s_xor_b32 exec_lo, exec_lo, s15
	s_cbranch_execnz .LBB19_179
.LBB19_122:                             ;   in Loop: Header=BB19_63 Depth=1
	s_or_b32 exec_lo, exec_lo, s15
	v_mov_b32_e32 v2, s16
	s_and_saveexec_b32 s15, s14
.LBB19_123:                             ;   in Loop: Header=BB19_63 Depth=1
	v_lshrrev_b32_e32 v2, 24, v3
	s_delay_alu instid0(VALU_DEP_1)
	v_and_or_b32 v2, 0x80, v2, v6
.LBB19_124:                             ;   in Loop: Header=BB19_63 Depth=1
	s_or_b32 exec_lo, exec_lo, s15
.LBB19_125:                             ;   in Loop: Header=BB19_63 Depth=1
	s_delay_alu instid0(SALU_CYCLE_1) | instskip(SKIP_2) | instid1(VALU_DEP_1)
	s_or_b32 exec_lo, exec_lo, s13
	v_mul_f32_e32 v3, v28, v8
	s_mov_b32 s13, exec_lo
	v_mul_f32_e32 v3, v4, v3
	s_delay_alu instid0(VALU_DEP_1) | instskip(SKIP_1) | instid1(VALU_DEP_2)
	v_div_scale_f32 v4, null, v16, v16, v3
	v_div_scale_f32 v8, vcc_lo, v3, v16, v3
	v_rcp_f32_e32 v6, v4
	s_waitcnt_depctr 0xfff
	v_fma_f32 v7, -v4, v6, 1.0
	s_delay_alu instid0(VALU_DEP_1) | instskip(NEXT) | instid1(VALU_DEP_1)
	v_fmac_f32_e32 v6, v7, v6
	v_mul_f32_e32 v7, v8, v6
	s_delay_alu instid0(VALU_DEP_1) | instskip(NEXT) | instid1(VALU_DEP_1)
	v_fma_f32 v17, -v4, v7, v8
	v_fmac_f32_e32 v7, v17, v6
	s_delay_alu instid0(VALU_DEP_1) | instskip(NEXT) | instid1(VALU_DEP_1)
	v_fma_f32 v4, -v4, v7, v8
	v_div_fmas_f32 v4, v4, v6, v7
	s_delay_alu instid0(VALU_DEP_1) | instskip(SKIP_1) | instid1(VALU_DEP_2)
	v_div_fixup_f32 v3, v4, v16, v3
	v_mov_b32_e32 v4, 0x80
	v_minmax_f32 v6, v3, s7, 0xc3600000
	v_mov_b32_e32 v3, 0x80
	s_delay_alu instid0(VALU_DEP_2) | instskip(NEXT) | instid1(VALU_DEP_1)
	v_and_b32_e32 v7, 0x7fffffff, v6
	v_cmpx_gt_u32_e32 0x43800000, v7
	s_cbranch_execz .LBB19_131
; %bb.126:                              ;   in Loop: Header=BB19_63 Depth=1
	v_cmp_lt_u32_e32 vcc_lo, 0x3bffffff, v7
	s_mov_b32 s14, 0
                                        ; implicit-def: $vgpr7
	s_and_saveexec_b32 s15, vcc_lo
	s_delay_alu instid0(SALU_CYCLE_1)
	s_xor_b32 s15, exec_lo, s15
	s_cbranch_execnz .LBB19_180
; %bb.127:                              ;   in Loop: Header=BB19_63 Depth=1
	s_or_saveexec_b32 s15, s15
                                        ; implicit-def: $sgpr16
	s_delay_alu instid0(SALU_CYCLE_1)
	s_xor_b32 exec_lo, exec_lo, s15
	s_cbranch_execnz .LBB19_181
.LBB19_128:                             ;   in Loop: Header=BB19_63 Depth=1
	s_or_b32 exec_lo, exec_lo, s15
	v_mov_b32_e32 v4, s16
	s_and_saveexec_b32 s15, s14
.LBB19_129:                             ;   in Loop: Header=BB19_63 Depth=1
	v_lshrrev_b32_e32 v4, 24, v6
	s_delay_alu instid0(VALU_DEP_1)
	v_and_or_b32 v4, 0x80, v4, v7
.LBB19_130:                             ;   in Loop: Header=BB19_63 Depth=1
	s_or_b32 exec_lo, exec_lo, s15
.LBB19_131:                             ;   in Loop: Header=BB19_63 Depth=1
	s_delay_alu instid0(SALU_CYCLE_1) | instskip(SKIP_2) | instid1(VALU_DEP_1)
	s_or_b32 exec_lo, exec_lo, s13
	v_mul_f32_e32 v6, v28, v9
	s_mov_b32 s13, exec_lo
	v_mul_f32_e32 v5, v5, v6
	s_delay_alu instid0(VALU_DEP_1) | instskip(NEXT) | instid1(VALU_DEP_1)
	v_div_scale_f32 v6, null, v16, v16, v5
	v_rcp_f32_e32 v7, v6
	s_waitcnt_depctr 0xfff
	v_fma_f32 v8, -v6, v7, 1.0
	s_delay_alu instid0(VALU_DEP_1) | instskip(SKIP_1) | instid1(VALU_DEP_1)
	v_fmac_f32_e32 v7, v8, v7
	v_div_scale_f32 v8, vcc_lo, v5, v16, v5
	v_mul_f32_e32 v9, v8, v7
	s_delay_alu instid0(VALU_DEP_1) | instskip(NEXT) | instid1(VALU_DEP_1)
	v_fma_f32 v17, -v6, v9, v8
	v_fmac_f32_e32 v9, v17, v7
	s_delay_alu instid0(VALU_DEP_1) | instskip(NEXT) | instid1(VALU_DEP_1)
	v_fma_f32 v6, -v6, v9, v8
	v_div_fmas_f32 v6, v6, v7, v9
	s_delay_alu instid0(VALU_DEP_1) | instskip(NEXT) | instid1(VALU_DEP_1)
	v_div_fixup_f32 v5, v6, v16, v5
	v_minmax_f32 v5, v5, s7, 0xc3600000
	s_delay_alu instid0(VALU_DEP_1) | instskip(NEXT) | instid1(VALU_DEP_1)
	v_and_b32_e32 v6, 0x7fffffff, v5
	v_cmpx_gt_u32_e32 0x43800000, v6
	s_cbranch_execz .LBB19_137
; %bb.132:                              ;   in Loop: Header=BB19_63 Depth=1
	v_cmp_lt_u32_e32 vcc_lo, 0x3bffffff, v6
	s_mov_b32 s14, 0
                                        ; implicit-def: $vgpr6
	s_and_saveexec_b32 s15, vcc_lo
	s_delay_alu instid0(SALU_CYCLE_1)
	s_xor_b32 s15, exec_lo, s15
	s_cbranch_execnz .LBB19_182
; %bb.133:                              ;   in Loop: Header=BB19_63 Depth=1
	s_or_saveexec_b32 s15, s15
                                        ; implicit-def: $sgpr16
	s_delay_alu instid0(SALU_CYCLE_1)
	s_xor_b32 exec_lo, exec_lo, s15
	s_cbranch_execnz .LBB19_183
.LBB19_134:                             ;   in Loop: Header=BB19_63 Depth=1
	s_or_b32 exec_lo, exec_lo, s15
	v_mov_b32_e32 v3, s16
	s_and_saveexec_b32 s15, s14
.LBB19_135:                             ;   in Loop: Header=BB19_63 Depth=1
	v_lshrrev_b32_e32 v3, 24, v5
	s_delay_alu instid0(VALU_DEP_1)
	v_and_or_b32 v3, 0x80, v3, v6
.LBB19_136:                             ;   in Loop: Header=BB19_63 Depth=1
	s_or_b32 exec_lo, exec_lo, s15
.LBB19_137:                             ;   in Loop: Header=BB19_63 Depth=1
	s_delay_alu instid0(SALU_CYCLE_1)
	s_or_b32 exec_lo, exec_lo, s13
	v_lshlrev_b32_e32 v6, 16, v4
	v_lshlrev_b32_e32 v2, 8, v2
	v_lshlrev_b64 v[4:5], 2, v[11:12]
	v_and_b32_e32 v7, 0xff, v15
	v_add_nc_u32_e32 v0, s2, v0
	v_perm_b32 v6, v3, v6, 0x4020c0c
	v_and_b32_e32 v8, 0xff00, v2
	s_mov_b32 s14, -1
	v_add_co_u32 v2, vcc_lo, s0, v4
	v_add_co_ci_u32_e32 v3, vcc_lo, s1, v5, vcc_lo
	s_delay_alu instid0(VALU_DEP_3)
	v_or3_b32 v4, v6, v8, v7
	s_mov_b32 s13, exec_lo
	global_store_b32 v[2:3], v4, off
	v_cmpx_gt_u32_e64 s8, v0
	s_cbranch_execz .LBB19_60
; %bb.138:                              ;   in Loop: Header=BB19_63 Depth=1
	v_lshlrev_b64 v[4:5], 4, v[0:1]
	v_bfe_u32 v8, v0, 5, 25
	s_mov_b32 s14, exec_lo
	s_delay_alu instid0(VALU_DEP_1) | instskip(NEXT) | instid1(VALU_DEP_3)
	v_mad_u64_u32 v[2:3], null, v13, v8, 0
	v_add_co_u32 v6, vcc_lo, s28, v4
	s_delay_alu instid0(VALU_DEP_4)
	v_add_co_ci_u32_e32 v7, vcc_lo, s29, v5, vcc_lo
	v_add_co_u32 v20, vcc_lo, s30, v4
	v_add_co_ci_u32_e32 v21, vcc_lo, s31, v5, vcc_lo
	v_mad_u64_u32 v[11:12], null, v14, v8, v[3:4]
	global_load_b128 v[6:9], v[6:7], off
	global_load_b128 v[16:19], v[20:21], off
	v_add_co_u32 v4, vcc_lo, s10, v4
	v_add_co_ci_u32_e32 v5, vcc_lo, s11, v5, vcc_lo
	s_waitcnt vmcnt(0)
	v_dual_mov_b32 v3, v11 :: v_dual_add_f32 v6, v6, v16
	s_delay_alu instid0(VALU_DEP_1)
	v_lshlrev_b64 v[11:12], 2, v[2:3]
	global_load_b128 v[2:5], v[4:5], off
	v_dual_add_f32 v8, v8, v18 :: v_dual_add_f32 v9, v9, v19
	v_add_f32_e32 v7, v7, v17
	v_add_co_u32 v11, vcc_lo, s4, v11
	v_add_co_ci_u32_e32 v12, vcc_lo, s5, v12, vcc_lo
	global_store_b128 v[20:21], v[6:9], off
	global_load_b32 v12, v[11:12], off
	v_mul_f32_e32 v11, v28, v6
	s_waitcnt vmcnt(1)
	s_delay_alu instid0(VALU_DEP_1) | instskip(SKIP_1) | instid1(VALU_DEP_1)
	v_mul_f32_e32 v2, v2, v11
	s_waitcnt vmcnt(0)
	v_div_scale_f32 v11, null, v12, v12, v2
	v_div_scale_f32 v22, vcc_lo, v2, v12, v2
	s_delay_alu instid0(VALU_DEP_2) | instskip(SKIP_2) | instid1(VALU_DEP_1)
	v_rcp_f32_e32 v15, v11
	s_waitcnt_depctr 0xfff
	v_fma_f32 v16, -v11, v15, 1.0
	v_fmac_f32_e32 v15, v16, v15
	s_delay_alu instid0(VALU_DEP_1) | instskip(NEXT) | instid1(VALU_DEP_1)
	v_mul_f32_e32 v16, v22, v15
	v_fma_f32 v23, -v11, v16, v22
	s_delay_alu instid0(VALU_DEP_1) | instskip(NEXT) | instid1(VALU_DEP_1)
	v_fmac_f32_e32 v16, v23, v15
	v_fma_f32 v11, -v11, v16, v22
	s_delay_alu instid0(VALU_DEP_1) | instskip(NEXT) | instid1(VALU_DEP_1)
	v_div_fmas_f32 v11, v11, v15, v16
	v_div_fixup_f32 v2, v11, v12, v2
	v_mov_b32_e32 v11, 0x80
	s_delay_alu instid0(VALU_DEP_2) | instskip(SKIP_1) | instid1(VALU_DEP_2)
	v_minmax_f32 v15, v2, s7, 0xc3600000
	v_mov_b32_e32 v2, 0x80
	v_and_b32_e32 v16, 0x7fffffff, v15
	s_delay_alu instid0(VALU_DEP_1)
	v_cmpx_gt_u32_e32 0x43800000, v16
	s_cbranch_execz .LBB19_144
; %bb.139:                              ;   in Loop: Header=BB19_63 Depth=1
	s_mov_b32 s15, 0
	s_mov_b32 s16, exec_lo
                                        ; implicit-def: $vgpr6
	v_cmpx_lt_u32_e32 0x3bffffff, v16
	s_xor_b32 s16, exec_lo, s16
	s_cbranch_execnz .LBB19_184
; %bb.140:                              ;   in Loop: Header=BB19_63 Depth=1
	s_or_saveexec_b32 s16, s16
                                        ; implicit-def: $sgpr17
	s_delay_alu instid0(SALU_CYCLE_1)
	s_xor_b32 exec_lo, exec_lo, s16
	s_cbranch_execnz .LBB19_185
.LBB19_141:                             ;   in Loop: Header=BB19_63 Depth=1
	s_or_b32 exec_lo, exec_lo, s16
	v_mov_b32_e32 v2, s17
	s_and_saveexec_b32 s16, s15
.LBB19_142:                             ;   in Loop: Header=BB19_63 Depth=1
	v_lshrrev_b32_e32 v2, 24, v15
	s_delay_alu instid0(VALU_DEP_1)
	v_and_or_b32 v2, 0x80, v2, v6
.LBB19_143:                             ;   in Loop: Header=BB19_63 Depth=1
	s_or_b32 exec_lo, exec_lo, s16
.LBB19_144:                             ;   in Loop: Header=BB19_63 Depth=1
	s_delay_alu instid0(SALU_CYCLE_1) | instskip(SKIP_2) | instid1(VALU_DEP_1)
	s_or_b32 exec_lo, exec_lo, s14
	v_mul_f32_e32 v6, v28, v7
	s_mov_b32 s14, exec_lo
	v_mul_f32_e32 v3, v3, v6
	s_delay_alu instid0(VALU_DEP_1) | instskip(NEXT) | instid1(VALU_DEP_1)
	v_div_scale_f32 v6, null, v12, v12, v3
	v_rcp_f32_e32 v7, v6
	s_waitcnt_depctr 0xfff
	v_fma_f32 v15, -v6, v7, 1.0
	s_delay_alu instid0(VALU_DEP_1) | instskip(SKIP_1) | instid1(VALU_DEP_1)
	v_fmac_f32_e32 v7, v15, v7
	v_div_scale_f32 v15, vcc_lo, v3, v12, v3
	v_mul_f32_e32 v16, v15, v7
	s_delay_alu instid0(VALU_DEP_1) | instskip(NEXT) | instid1(VALU_DEP_1)
	v_fma_f32 v17, -v6, v16, v15
	v_fmac_f32_e32 v16, v17, v7
	s_delay_alu instid0(VALU_DEP_1) | instskip(NEXT) | instid1(VALU_DEP_1)
	v_fma_f32 v6, -v6, v16, v15
	v_div_fmas_f32 v6, v6, v7, v16
	s_delay_alu instid0(VALU_DEP_1) | instskip(NEXT) | instid1(VALU_DEP_1)
	v_div_fixup_f32 v3, v6, v12, v3
	v_minmax_f32 v3, v3, s7, 0xc3600000
	s_delay_alu instid0(VALU_DEP_1) | instskip(NEXT) | instid1(VALU_DEP_1)
	v_and_b32_e32 v6, 0x7fffffff, v3
	v_cmpx_gt_u32_e32 0x43800000, v6
	s_cbranch_execz .LBB19_150
; %bb.145:                              ;   in Loop: Header=BB19_63 Depth=1
	v_cmp_lt_u32_e32 vcc_lo, 0x3bffffff, v6
	s_mov_b32 s15, 0
                                        ; implicit-def: $vgpr6
	s_and_saveexec_b32 s16, vcc_lo
	s_delay_alu instid0(SALU_CYCLE_1)
	s_xor_b32 s16, exec_lo, s16
	s_cbranch_execnz .LBB19_186
; %bb.146:                              ;   in Loop: Header=BB19_63 Depth=1
	s_or_saveexec_b32 s16, s16
                                        ; implicit-def: $sgpr17
	s_delay_alu instid0(SALU_CYCLE_1)
	s_xor_b32 exec_lo, exec_lo, s16
	s_cbranch_execnz .LBB19_187
.LBB19_147:                             ;   in Loop: Header=BB19_63 Depth=1
	s_or_b32 exec_lo, exec_lo, s16
	v_mov_b32_e32 v11, s17
	s_and_saveexec_b32 s16, s15
.LBB19_148:                             ;   in Loop: Header=BB19_63 Depth=1
	v_lshrrev_b32_e32 v3, 24, v3
	s_delay_alu instid0(VALU_DEP_1)
	v_and_or_b32 v11, 0x80, v3, v6
.LBB19_149:                             ;   in Loop: Header=BB19_63 Depth=1
	s_or_b32 exec_lo, exec_lo, s16
.LBB19_150:                             ;   in Loop: Header=BB19_63 Depth=1
	s_delay_alu instid0(SALU_CYCLE_1) | instskip(SKIP_2) | instid1(VALU_DEP_1)
	s_or_b32 exec_lo, exec_lo, s14
	v_mul_f32_e32 v3, v28, v8
	s_mov_b32 s14, exec_lo
	v_mul_f32_e32 v3, v4, v3
	s_delay_alu instid0(VALU_DEP_1) | instskip(SKIP_1) | instid1(VALU_DEP_2)
	v_div_scale_f32 v4, null, v12, v12, v3
	v_div_scale_f32 v8, vcc_lo, v3, v12, v3
	v_rcp_f32_e32 v6, v4
	s_waitcnt_depctr 0xfff
	v_fma_f32 v7, -v4, v6, 1.0
	s_delay_alu instid0(VALU_DEP_1) | instskip(NEXT) | instid1(VALU_DEP_1)
	v_fmac_f32_e32 v6, v7, v6
	v_mul_f32_e32 v7, v8, v6
	s_delay_alu instid0(VALU_DEP_1) | instskip(NEXT) | instid1(VALU_DEP_1)
	v_fma_f32 v15, -v4, v7, v8
	v_fmac_f32_e32 v7, v15, v6
	s_delay_alu instid0(VALU_DEP_1) | instskip(NEXT) | instid1(VALU_DEP_1)
	v_fma_f32 v4, -v4, v7, v8
	v_div_fmas_f32 v4, v4, v6, v7
	s_delay_alu instid0(VALU_DEP_1) | instskip(SKIP_1) | instid1(VALU_DEP_2)
	v_div_fixup_f32 v3, v4, v12, v3
	v_mov_b32_e32 v4, 0x80
	v_minmax_f32 v6, v3, s7, 0xc3600000
	v_mov_b32_e32 v3, 0x80
	s_delay_alu instid0(VALU_DEP_2) | instskip(NEXT) | instid1(VALU_DEP_1)
	v_and_b32_e32 v7, 0x7fffffff, v6
	v_cmpx_gt_u32_e32 0x43800000, v7
	s_cbranch_execz .LBB19_156
; %bb.151:                              ;   in Loop: Header=BB19_63 Depth=1
	v_cmp_lt_u32_e32 vcc_lo, 0x3bffffff, v7
	s_mov_b32 s15, 0
                                        ; implicit-def: $vgpr7
	s_and_saveexec_b32 s16, vcc_lo
	s_delay_alu instid0(SALU_CYCLE_1)
	s_xor_b32 s16, exec_lo, s16
	s_cbranch_execnz .LBB19_188
; %bb.152:                              ;   in Loop: Header=BB19_63 Depth=1
	s_or_saveexec_b32 s16, s16
                                        ; implicit-def: $sgpr17
	s_delay_alu instid0(SALU_CYCLE_1)
	s_xor_b32 exec_lo, exec_lo, s16
	s_cbranch_execnz .LBB19_189
.LBB19_153:                             ;   in Loop: Header=BB19_63 Depth=1
	s_or_b32 exec_lo, exec_lo, s16
	v_mov_b32_e32 v4, s17
	s_and_saveexec_b32 s16, s15
.LBB19_154:                             ;   in Loop: Header=BB19_63 Depth=1
	v_lshrrev_b32_e32 v4, 24, v6
	s_delay_alu instid0(VALU_DEP_1)
	v_and_or_b32 v4, 0x80, v4, v7
.LBB19_155:                             ;   in Loop: Header=BB19_63 Depth=1
	s_or_b32 exec_lo, exec_lo, s16
.LBB19_156:                             ;   in Loop: Header=BB19_63 Depth=1
	s_delay_alu instid0(SALU_CYCLE_1) | instskip(SKIP_2) | instid1(VALU_DEP_1)
	s_or_b32 exec_lo, exec_lo, s14
	v_mul_f32_e32 v6, v28, v9
	s_mov_b32 s14, exec_lo
	v_mul_f32_e32 v5, v5, v6
	s_delay_alu instid0(VALU_DEP_1) | instskip(NEXT) | instid1(VALU_DEP_1)
	v_div_scale_f32 v6, null, v12, v12, v5
	v_rcp_f32_e32 v7, v6
	s_waitcnt_depctr 0xfff
	v_fma_f32 v8, -v6, v7, 1.0
	s_delay_alu instid0(VALU_DEP_1) | instskip(SKIP_1) | instid1(VALU_DEP_1)
	v_fmac_f32_e32 v7, v8, v7
	v_div_scale_f32 v8, vcc_lo, v5, v12, v5
	v_mul_f32_e32 v9, v8, v7
	s_delay_alu instid0(VALU_DEP_1) | instskip(NEXT) | instid1(VALU_DEP_1)
	v_fma_f32 v15, -v6, v9, v8
	v_fmac_f32_e32 v9, v15, v7
	s_delay_alu instid0(VALU_DEP_1) | instskip(NEXT) | instid1(VALU_DEP_1)
	v_fma_f32 v6, -v6, v9, v8
	v_div_fmas_f32 v6, v6, v7, v9
	s_delay_alu instid0(VALU_DEP_1) | instskip(NEXT) | instid1(VALU_DEP_1)
	v_div_fixup_f32 v5, v6, v12, v5
	v_minmax_f32 v5, v5, s7, 0xc3600000
	s_delay_alu instid0(VALU_DEP_1) | instskip(NEXT) | instid1(VALU_DEP_1)
	v_and_b32_e32 v6, 0x7fffffff, v5
	v_cmpx_gt_u32_e32 0x43800000, v6
	s_cbranch_execz .LBB19_59
; %bb.157:                              ;   in Loop: Header=BB19_63 Depth=1
	v_cmp_lt_u32_e32 vcc_lo, 0x3bffffff, v6
	s_mov_b32 s15, 0
                                        ; implicit-def: $vgpr6
	s_and_saveexec_b32 s16, vcc_lo
	s_delay_alu instid0(SALU_CYCLE_1)
	s_xor_b32 s16, exec_lo, s16
	s_cbranch_execnz .LBB19_190
; %bb.158:                              ;   in Loop: Header=BB19_63 Depth=1
	s_or_saveexec_b32 s16, s16
                                        ; implicit-def: $sgpr17
	s_delay_alu instid0(SALU_CYCLE_1)
	s_xor_b32 exec_lo, exec_lo, s16
	s_cbranch_execnz .LBB19_191
.LBB19_159:                             ;   in Loop: Header=BB19_63 Depth=1
	s_or_b32 exec_lo, exec_lo, s16
	v_mov_b32_e32 v3, s17
	s_and_saveexec_b32 s16, s15
	s_cbranch_execz .LBB19_58
	s_branch .LBB19_192
.LBB19_160:                             ;   in Loop: Header=BB19_63 Depth=1
	v_bfe_u32 v6, v12, 20, 1
	s_mov_b32 s12, exec_lo
	s_delay_alu instid0(VALU_DEP_1) | instskip(NEXT) | instid1(VALU_DEP_1)
	v_add3_u32 v6, v12, v6, 0x487ffff
	v_lshrrev_b32_e32 v6, 20, v6
	s_or_saveexec_b32 s13, s13
                                        ; implicit-def: $sgpr14
	s_delay_alu instid0(SALU_CYCLE_1)
	s_xor_b32 exec_lo, exec_lo, s13
	s_cbranch_execz .LBB19_66
.LBB19_161:                             ;   in Loop: Header=BB19_63 Depth=1
	v_add_f32_e64 v6, 0x46000000, |v12|
	s_and_not1_b32 s12, s12, exec_lo
	s_mov_b32 s14, 0
	s_delay_alu instid0(VALU_DEP_1) | instskip(NEXT) | instid1(VALU_DEP_1)
	v_and_b32_e32 v6, 0xff, v6
	v_cmp_ne_u32_e32 vcc_lo, 0, v6
	s_and_b32 s15, vcc_lo, exec_lo
	s_delay_alu instid0(SALU_CYCLE_1)
	s_or_b32 s12, s12, s15
	s_or_b32 exec_lo, exec_lo, s13
	v_mov_b32_e32 v10, s14
	s_and_saveexec_b32 s13, s12
	s_cbranch_execnz .LBB19_67
	s_branch .LBB19_68
.LBB19_162:                             ;   in Loop: Header=BB19_63 Depth=1
	v_bfe_u32 v2, v3, 20, 1
	s_mov_b32 s12, exec_lo
	s_delay_alu instid0(VALU_DEP_1) | instskip(NEXT) | instid1(VALU_DEP_1)
	v_add3_u32 v2, v3, v2, 0x487ffff
	v_lshrrev_b32_e32 v6, 20, v2
	s_or_saveexec_b32 s13, s13
                                        ; implicit-def: $sgpr14
	s_delay_alu instid0(SALU_CYCLE_1)
	s_xor_b32 exec_lo, exec_lo, s13
	s_cbranch_execz .LBB19_72
.LBB19_163:                             ;   in Loop: Header=BB19_63 Depth=1
	v_add_f32_e64 v2, 0x46000000, |v3|
	s_and_not1_b32 s12, s12, exec_lo
	s_mov_b32 s14, 0
	s_delay_alu instid0(VALU_DEP_1) | instskip(NEXT) | instid1(VALU_DEP_1)
	v_and_b32_e32 v6, 0xff, v2
	v_cmp_ne_u32_e32 vcc_lo, 0, v6
	s_and_b32 s15, vcc_lo, exec_lo
	s_delay_alu instid0(SALU_CYCLE_1)
	s_or_b32 s12, s12, s15
	s_or_b32 exec_lo, exec_lo, s13
	v_mov_b32_e32 v2, s14
	s_and_saveexec_b32 s13, s12
	s_cbranch_execnz .LBB19_73
	s_branch .LBB19_74
.LBB19_164:                             ;   in Loop: Header=BB19_63 Depth=1
	v_bfe_u32 v4, v6, 20, 1
	s_mov_b32 s12, exec_lo
	s_delay_alu instid0(VALU_DEP_1) | instskip(NEXT) | instid1(VALU_DEP_1)
	v_add3_u32 v4, v6, v4, 0x487ffff
	v_lshrrev_b32_e32 v7, 20, v4
	s_or_saveexec_b32 s13, s13
                                        ; implicit-def: $sgpr14
	s_delay_alu instid0(SALU_CYCLE_1)
	s_xor_b32 exec_lo, exec_lo, s13
	s_cbranch_execz .LBB19_78
.LBB19_165:                             ;   in Loop: Header=BB19_63 Depth=1
	v_add_f32_e64 v4, 0x46000000, |v6|
	s_and_not1_b32 s12, s12, exec_lo
	s_mov_b32 s14, 0
	s_delay_alu instid0(VALU_DEP_1) | instskip(NEXT) | instid1(VALU_DEP_1)
	v_and_b32_e32 v7, 0xff, v4
	v_cmp_ne_u32_e32 vcc_lo, 0, v7
	s_and_b32 s15, vcc_lo, exec_lo
	s_delay_alu instid0(SALU_CYCLE_1)
	s_or_b32 s12, s12, s15
	s_or_b32 exec_lo, exec_lo, s13
	v_mov_b32_e32 v4, s14
	s_and_saveexec_b32 s13, s12
	s_cbranch_execnz .LBB19_79
	s_branch .LBB19_80
.LBB19_166:                             ;   in Loop: Header=BB19_63 Depth=1
	v_bfe_u32 v3, v5, 20, 1
	s_mov_b32 s12, exec_lo
	s_delay_alu instid0(VALU_DEP_1) | instskip(NEXT) | instid1(VALU_DEP_1)
	v_add3_u32 v3, v5, v3, 0x487ffff
	v_lshrrev_b32_e32 v6, 20, v3
	s_or_saveexec_b32 s13, s13
                                        ; implicit-def: $sgpr14
	s_delay_alu instid0(SALU_CYCLE_1)
	s_xor_b32 exec_lo, exec_lo, s13
	s_cbranch_execz .LBB19_84
.LBB19_167:                             ;   in Loop: Header=BB19_63 Depth=1
	v_add_f32_e64 v3, 0x46000000, |v5|
	s_and_not1_b32 s12, s12, exec_lo
	s_mov_b32 s14, 0
	s_delay_alu instid0(VALU_DEP_1) | instskip(NEXT) | instid1(VALU_DEP_1)
	v_and_b32_e32 v6, 0xff, v3
	v_cmp_ne_u32_e32 vcc_lo, 0, v6
	s_and_b32 s15, vcc_lo, exec_lo
	s_delay_alu instid0(SALU_CYCLE_1)
	s_or_b32 s12, s12, s15
	s_or_b32 exec_lo, exec_lo, s13
	v_mov_b32_e32 v3, s14
	s_and_saveexec_b32 s13, s12
	s_cbranch_execnz .LBB19_85
	s_branch .LBB19_86
.LBB19_168:                             ;   in Loop: Header=BB19_63 Depth=1
	v_bfe_u32 v6, v16, 20, 1
	s_mov_b32 s13, exec_lo
	s_delay_alu instid0(VALU_DEP_1) | instskip(NEXT) | instid1(VALU_DEP_1)
	v_add3_u32 v6, v16, v6, 0x487ffff
	v_lshrrev_b32_e32 v6, 20, v6
	s_or_saveexec_b32 s14, s14
                                        ; implicit-def: $sgpr15
	s_delay_alu instid0(SALU_CYCLE_1)
	s_xor_b32 exec_lo, exec_lo, s14
	s_cbranch_execz .LBB19_91
.LBB19_169:                             ;   in Loop: Header=BB19_63 Depth=1
	v_add_f32_e64 v6, 0x46000000, |v16|
	s_and_not1_b32 s13, s13, exec_lo
	s_mov_b32 s15, 0
	s_delay_alu instid0(VALU_DEP_1) | instskip(NEXT) | instid1(VALU_DEP_1)
	v_and_b32_e32 v6, 0xff, v6
	v_cmp_ne_u32_e32 vcc_lo, 0, v6
	s_and_b32 s16, vcc_lo, exec_lo
	s_delay_alu instid0(SALU_CYCLE_1)
	s_or_b32 s13, s13, s16
	s_or_b32 exec_lo, exec_lo, s14
	v_mov_b32_e32 v12, s15
	s_and_saveexec_b32 s14, s13
	s_cbranch_execnz .LBB19_92
	s_branch .LBB19_93
.LBB19_170:                             ;   in Loop: Header=BB19_63 Depth=1
	v_bfe_u32 v2, v3, 20, 1
	s_mov_b32 s13, exec_lo
	s_delay_alu instid0(VALU_DEP_1) | instskip(NEXT) | instid1(VALU_DEP_1)
	v_add3_u32 v2, v3, v2, 0x487ffff
	v_lshrrev_b32_e32 v6, 20, v2
	s_or_saveexec_b32 s14, s14
                                        ; implicit-def: $sgpr15
	s_delay_alu instid0(SALU_CYCLE_1)
	s_xor_b32 exec_lo, exec_lo, s14
	s_cbranch_execz .LBB19_97
.LBB19_171:                             ;   in Loop: Header=BB19_63 Depth=1
	v_add_f32_e64 v2, 0x46000000, |v3|
	s_and_not1_b32 s13, s13, exec_lo
	s_mov_b32 s15, 0
	s_delay_alu instid0(VALU_DEP_1) | instskip(NEXT) | instid1(VALU_DEP_1)
	v_and_b32_e32 v6, 0xff, v2
	v_cmp_ne_u32_e32 vcc_lo, 0, v6
	s_and_b32 s16, vcc_lo, exec_lo
	s_delay_alu instid0(SALU_CYCLE_1)
	s_or_b32 s13, s13, s16
	s_or_b32 exec_lo, exec_lo, s14
	v_mov_b32_e32 v2, s15
	s_and_saveexec_b32 s14, s13
	s_cbranch_execnz .LBB19_98
	s_branch .LBB19_99
.LBB19_172:                             ;   in Loop: Header=BB19_63 Depth=1
	v_bfe_u32 v4, v6, 20, 1
	s_mov_b32 s13, exec_lo
	s_delay_alu instid0(VALU_DEP_1) | instskip(NEXT) | instid1(VALU_DEP_1)
	v_add3_u32 v4, v6, v4, 0x487ffff
	v_lshrrev_b32_e32 v7, 20, v4
	s_or_saveexec_b32 s14, s14
                                        ; implicit-def: $sgpr15
	s_delay_alu instid0(SALU_CYCLE_1)
	s_xor_b32 exec_lo, exec_lo, s14
	s_cbranch_execz .LBB19_103
.LBB19_173:                             ;   in Loop: Header=BB19_63 Depth=1
	v_add_f32_e64 v4, 0x46000000, |v6|
	s_and_not1_b32 s13, s13, exec_lo
	s_mov_b32 s15, 0
	s_delay_alu instid0(VALU_DEP_1) | instskip(NEXT) | instid1(VALU_DEP_1)
	v_and_b32_e32 v7, 0xff, v4
	v_cmp_ne_u32_e32 vcc_lo, 0, v7
	s_and_b32 s16, vcc_lo, exec_lo
	s_delay_alu instid0(SALU_CYCLE_1)
	s_or_b32 s13, s13, s16
	s_or_b32 exec_lo, exec_lo, s14
	v_mov_b32_e32 v4, s15
	s_and_saveexec_b32 s14, s13
	s_cbranch_execnz .LBB19_104
	s_branch .LBB19_105
.LBB19_174:                             ;   in Loop: Header=BB19_63 Depth=1
	v_bfe_u32 v3, v5, 20, 1
	s_mov_b32 s13, exec_lo
	s_delay_alu instid0(VALU_DEP_1) | instskip(NEXT) | instid1(VALU_DEP_1)
	v_add3_u32 v3, v5, v3, 0x487ffff
	v_lshrrev_b32_e32 v6, 20, v3
	s_or_saveexec_b32 s14, s14
                                        ; implicit-def: $sgpr15
	s_delay_alu instid0(SALU_CYCLE_1)
	s_xor_b32 exec_lo, exec_lo, s14
	s_cbranch_execz .LBB19_109
.LBB19_175:                             ;   in Loop: Header=BB19_63 Depth=1
	v_add_f32_e64 v3, 0x46000000, |v5|
	s_and_not1_b32 s13, s13, exec_lo
	s_mov_b32 s15, 0
	s_delay_alu instid0(VALU_DEP_1) | instskip(NEXT) | instid1(VALU_DEP_1)
	v_and_b32_e32 v6, 0xff, v3
	v_cmp_ne_u32_e32 vcc_lo, 0, v6
	s_and_b32 s16, vcc_lo, exec_lo
	s_delay_alu instid0(SALU_CYCLE_1)
	s_or_b32 s13, s13, s16
	s_or_b32 exec_lo, exec_lo, s14
	v_mov_b32_e32 v3, s15
	s_and_saveexec_b32 s14, s13
	s_cbranch_execnz .LBB19_110
	s_branch .LBB19_111
.LBB19_176:                             ;   in Loop: Header=BB19_63 Depth=1
	v_bfe_u32 v6, v17, 20, 1
	s_mov_b32 s14, exec_lo
	s_delay_alu instid0(VALU_DEP_1) | instskip(NEXT) | instid1(VALU_DEP_1)
	v_add3_u32 v6, v17, v6, 0x487ffff
	v_lshrrev_b32_e32 v6, 20, v6
	s_or_saveexec_b32 s15, s15
                                        ; implicit-def: $sgpr16
	s_delay_alu instid0(SALU_CYCLE_1)
	s_xor_b32 exec_lo, exec_lo, s15
	s_cbranch_execz .LBB19_116
.LBB19_177:                             ;   in Loop: Header=BB19_63 Depth=1
	v_add_f32_e64 v6, 0x46000000, |v17|
	s_and_not1_b32 s14, s14, exec_lo
	s_mov_b32 s16, 0
	s_delay_alu instid0(VALU_DEP_1) | instskip(NEXT) | instid1(VALU_DEP_1)
	v_and_b32_e32 v6, 0xff, v6
	v_cmp_ne_u32_e32 vcc_lo, 0, v6
	s_and_b32 s17, vcc_lo, exec_lo
	s_delay_alu instid0(SALU_CYCLE_1)
	s_or_b32 s14, s14, s17
	s_or_b32 exec_lo, exec_lo, s15
	v_mov_b32_e32 v15, s16
	s_and_saveexec_b32 s15, s14
	s_cbranch_execnz .LBB19_117
	s_branch .LBB19_118
.LBB19_178:                             ;   in Loop: Header=BB19_63 Depth=1
	v_bfe_u32 v2, v3, 20, 1
	s_mov_b32 s14, exec_lo
	s_delay_alu instid0(VALU_DEP_1) | instskip(NEXT) | instid1(VALU_DEP_1)
	v_add3_u32 v2, v3, v2, 0x487ffff
	v_lshrrev_b32_e32 v6, 20, v2
	s_or_saveexec_b32 s15, s15
                                        ; implicit-def: $sgpr16
	s_delay_alu instid0(SALU_CYCLE_1)
	s_xor_b32 exec_lo, exec_lo, s15
	s_cbranch_execz .LBB19_122
.LBB19_179:                             ;   in Loop: Header=BB19_63 Depth=1
	v_add_f32_e64 v2, 0x46000000, |v3|
	s_and_not1_b32 s14, s14, exec_lo
	s_mov_b32 s16, 0
	s_delay_alu instid0(VALU_DEP_1) | instskip(NEXT) | instid1(VALU_DEP_1)
	v_and_b32_e32 v6, 0xff, v2
	v_cmp_ne_u32_e32 vcc_lo, 0, v6
	s_and_b32 s17, vcc_lo, exec_lo
	s_delay_alu instid0(SALU_CYCLE_1)
	s_or_b32 s14, s14, s17
	s_or_b32 exec_lo, exec_lo, s15
	v_mov_b32_e32 v2, s16
	s_and_saveexec_b32 s15, s14
	s_cbranch_execnz .LBB19_123
	s_branch .LBB19_124
.LBB19_180:                             ;   in Loop: Header=BB19_63 Depth=1
	v_bfe_u32 v4, v6, 20, 1
	s_mov_b32 s14, exec_lo
	s_delay_alu instid0(VALU_DEP_1) | instskip(NEXT) | instid1(VALU_DEP_1)
	v_add3_u32 v4, v6, v4, 0x487ffff
	v_lshrrev_b32_e32 v7, 20, v4
	s_or_saveexec_b32 s15, s15
                                        ; implicit-def: $sgpr16
	s_delay_alu instid0(SALU_CYCLE_1)
	s_xor_b32 exec_lo, exec_lo, s15
	s_cbranch_execz .LBB19_128
.LBB19_181:                             ;   in Loop: Header=BB19_63 Depth=1
	v_add_f32_e64 v4, 0x46000000, |v6|
	s_and_not1_b32 s14, s14, exec_lo
	s_mov_b32 s16, 0
	s_delay_alu instid0(VALU_DEP_1) | instskip(NEXT) | instid1(VALU_DEP_1)
	v_and_b32_e32 v7, 0xff, v4
	v_cmp_ne_u32_e32 vcc_lo, 0, v7
	s_and_b32 s17, vcc_lo, exec_lo
	s_delay_alu instid0(SALU_CYCLE_1)
	s_or_b32 s14, s14, s17
	s_or_b32 exec_lo, exec_lo, s15
	v_mov_b32_e32 v4, s16
	s_and_saveexec_b32 s15, s14
	s_cbranch_execnz .LBB19_129
	s_branch .LBB19_130
.LBB19_182:                             ;   in Loop: Header=BB19_63 Depth=1
	v_bfe_u32 v3, v5, 20, 1
	s_mov_b32 s14, exec_lo
	s_delay_alu instid0(VALU_DEP_1) | instskip(NEXT) | instid1(VALU_DEP_1)
	v_add3_u32 v3, v5, v3, 0x487ffff
	v_lshrrev_b32_e32 v6, 20, v3
	s_or_saveexec_b32 s15, s15
                                        ; implicit-def: $sgpr16
	s_delay_alu instid0(SALU_CYCLE_1)
	s_xor_b32 exec_lo, exec_lo, s15
	s_cbranch_execz .LBB19_134
.LBB19_183:                             ;   in Loop: Header=BB19_63 Depth=1
	v_add_f32_e64 v3, 0x46000000, |v5|
	s_and_not1_b32 s14, s14, exec_lo
	s_mov_b32 s16, 0
	s_delay_alu instid0(VALU_DEP_1) | instskip(NEXT) | instid1(VALU_DEP_1)
	v_and_b32_e32 v6, 0xff, v3
	v_cmp_ne_u32_e32 vcc_lo, 0, v6
	s_and_b32 s17, vcc_lo, exec_lo
	s_delay_alu instid0(SALU_CYCLE_1)
	s_or_b32 s14, s14, s17
	s_or_b32 exec_lo, exec_lo, s15
	v_mov_b32_e32 v3, s16
	s_and_saveexec_b32 s15, s14
	s_cbranch_execnz .LBB19_135
	s_branch .LBB19_136
.LBB19_184:                             ;   in Loop: Header=BB19_63 Depth=1
	v_bfe_u32 v2, v15, 20, 1
	s_mov_b32 s15, exec_lo
	s_delay_alu instid0(VALU_DEP_1) | instskip(NEXT) | instid1(VALU_DEP_1)
	v_add3_u32 v2, v15, v2, 0x487ffff
	v_lshrrev_b32_e32 v6, 20, v2
	s_or_saveexec_b32 s16, s16
                                        ; implicit-def: $sgpr17
	s_delay_alu instid0(SALU_CYCLE_1)
	s_xor_b32 exec_lo, exec_lo, s16
	s_cbranch_execz .LBB19_141
.LBB19_185:                             ;   in Loop: Header=BB19_63 Depth=1
	v_add_f32_e64 v2, 0x46000000, |v15|
	s_and_not1_b32 s15, s15, exec_lo
	s_mov_b32 s17, 0
	s_delay_alu instid0(VALU_DEP_1) | instskip(NEXT) | instid1(VALU_DEP_1)
	v_and_b32_e32 v6, 0xff, v2
	v_cmp_ne_u32_e32 vcc_lo, 0, v6
	s_and_b32 s18, vcc_lo, exec_lo
	s_delay_alu instid0(SALU_CYCLE_1)
	s_or_b32 s15, s15, s18
	s_or_b32 exec_lo, exec_lo, s16
	v_mov_b32_e32 v2, s17
	s_and_saveexec_b32 s16, s15
	s_cbranch_execnz .LBB19_142
	s_branch .LBB19_143
.LBB19_186:                             ;   in Loop: Header=BB19_63 Depth=1
	v_bfe_u32 v6, v3, 20, 1
	s_mov_b32 s15, exec_lo
	s_delay_alu instid0(VALU_DEP_1) | instskip(NEXT) | instid1(VALU_DEP_1)
	v_add3_u32 v6, v3, v6, 0x487ffff
	v_lshrrev_b32_e32 v6, 20, v6
	s_or_saveexec_b32 s16, s16
                                        ; implicit-def: $sgpr17
	s_delay_alu instid0(SALU_CYCLE_1)
	s_xor_b32 exec_lo, exec_lo, s16
	s_cbranch_execz .LBB19_147
.LBB19_187:                             ;   in Loop: Header=BB19_63 Depth=1
	v_add_f32_e64 v6, 0x46000000, |v3|
	s_and_not1_b32 s15, s15, exec_lo
	s_mov_b32 s17, 0
	s_delay_alu instid0(VALU_DEP_1) | instskip(NEXT) | instid1(VALU_DEP_1)
	v_and_b32_e32 v6, 0xff, v6
	v_cmp_ne_u32_e32 vcc_lo, 0, v6
	s_and_b32 s18, vcc_lo, exec_lo
	s_delay_alu instid0(SALU_CYCLE_1)
	s_or_b32 s15, s15, s18
	s_or_b32 exec_lo, exec_lo, s16
	v_mov_b32_e32 v11, s17
	s_and_saveexec_b32 s16, s15
	s_cbranch_execnz .LBB19_148
	s_branch .LBB19_149
.LBB19_188:                             ;   in Loop: Header=BB19_63 Depth=1
	v_bfe_u32 v4, v6, 20, 1
	s_mov_b32 s15, exec_lo
	s_delay_alu instid0(VALU_DEP_1) | instskip(NEXT) | instid1(VALU_DEP_1)
	v_add3_u32 v4, v6, v4, 0x487ffff
	v_lshrrev_b32_e32 v7, 20, v4
	s_or_saveexec_b32 s16, s16
                                        ; implicit-def: $sgpr17
	s_delay_alu instid0(SALU_CYCLE_1)
	s_xor_b32 exec_lo, exec_lo, s16
	s_cbranch_execz .LBB19_153
.LBB19_189:                             ;   in Loop: Header=BB19_63 Depth=1
	v_add_f32_e64 v4, 0x46000000, |v6|
	s_and_not1_b32 s15, s15, exec_lo
	s_mov_b32 s17, 0
	s_delay_alu instid0(VALU_DEP_1) | instskip(NEXT) | instid1(VALU_DEP_1)
	v_and_b32_e32 v7, 0xff, v4
	v_cmp_ne_u32_e32 vcc_lo, 0, v7
	s_and_b32 s18, vcc_lo, exec_lo
	s_delay_alu instid0(SALU_CYCLE_1)
	s_or_b32 s15, s15, s18
	s_or_b32 exec_lo, exec_lo, s16
	v_mov_b32_e32 v4, s17
	s_and_saveexec_b32 s16, s15
	s_cbranch_execnz .LBB19_154
	s_branch .LBB19_155
.LBB19_190:                             ;   in Loop: Header=BB19_63 Depth=1
	v_bfe_u32 v3, v5, 20, 1
	s_mov_b32 s15, exec_lo
	s_delay_alu instid0(VALU_DEP_1) | instskip(NEXT) | instid1(VALU_DEP_1)
	v_add3_u32 v3, v5, v3, 0x487ffff
	v_lshrrev_b32_e32 v6, 20, v3
	s_or_saveexec_b32 s16, s16
                                        ; implicit-def: $sgpr17
	s_delay_alu instid0(SALU_CYCLE_1)
	s_xor_b32 exec_lo, exec_lo, s16
	s_cbranch_execz .LBB19_159
.LBB19_191:                             ;   in Loop: Header=BB19_63 Depth=1
	v_add_f32_e64 v3, 0x46000000, |v5|
	s_and_not1_b32 s15, s15, exec_lo
	s_mov_b32 s17, 0
	s_delay_alu instid0(VALU_DEP_1) | instskip(NEXT) | instid1(VALU_DEP_1)
	v_and_b32_e32 v6, 0xff, v3
	v_cmp_ne_u32_e32 vcc_lo, 0, v6
	s_and_b32 s18, vcc_lo, exec_lo
	s_delay_alu instid0(SALU_CYCLE_1)
	s_or_b32 s15, s15, s18
	s_or_b32 exec_lo, exec_lo, s16
	v_mov_b32_e32 v3, s17
	s_and_saveexec_b32 s16, s15
	s_cbranch_execz .LBB19_58
.LBB19_192:                             ;   in Loop: Header=BB19_63 Depth=1
	v_lshrrev_b32_e32 v3, 24, v5
	s_delay_alu instid0(VALU_DEP_1)
	v_and_or_b32 v3, 0x80, v3, v6
	s_branch .LBB19_58
.LBB19_193:
	s_nop 0
	s_sendmsg sendmsg(MSG_DEALLOC_VGPRS)
	s_endpgm
.LBB19_194:
                                        ; implicit-def: $vgpr3_vgpr4
	s_branch .LBB19_51
.LBB19_195:
                                        ; implicit-def: $vgpr1_vgpr2
	s_branch .LBB19_56
	.section	.rodata,"a",@progbits
	.p2align	6, 0x0
	.amdhsa_kernel _ZN4vllm31rms_norm_per_block_quant_kernelIfN3c1015Float8_e4m3fnuzELb1ELb1ELi128EEEvPT0_PfPKT_S8_PKffiiPS6_l
		.amdhsa_group_segment_fixed_size 4228
		.amdhsa_private_segment_fixed_size 0
		.amdhsa_kernarg_size 328
		.amdhsa_user_sgpr_count 15
		.amdhsa_user_sgpr_dispatch_ptr 0
		.amdhsa_user_sgpr_queue_ptr 0
		.amdhsa_user_sgpr_kernarg_segment_ptr 1
		.amdhsa_user_sgpr_dispatch_id 0
		.amdhsa_user_sgpr_private_segment_size 0
		.amdhsa_wavefront_size32 1
		.amdhsa_uses_dynamic_stack 0
		.amdhsa_enable_private_segment 0
		.amdhsa_system_sgpr_workgroup_id_x 1
		.amdhsa_system_sgpr_workgroup_id_y 0
		.amdhsa_system_sgpr_workgroup_id_z 0
		.amdhsa_system_sgpr_workgroup_info 0
		.amdhsa_system_vgpr_workitem_id 0
		.amdhsa_next_free_vgpr 37
		.amdhsa_next_free_sgpr 42
		.amdhsa_reserve_vcc 1
		.amdhsa_float_round_mode_32 0
		.amdhsa_float_round_mode_16_64 0
		.amdhsa_float_denorm_mode_32 3
		.amdhsa_float_denorm_mode_16_64 3
		.amdhsa_dx10_clamp 1
		.amdhsa_ieee_mode 1
		.amdhsa_fp16_overflow 0
		.amdhsa_workgroup_processor_mode 1
		.amdhsa_memory_ordered 1
		.amdhsa_forward_progress 0
		.amdhsa_shared_vgpr_count 0
		.amdhsa_exception_fp_ieee_invalid_op 0
		.amdhsa_exception_fp_denorm_src 0
		.amdhsa_exception_fp_ieee_div_zero 0
		.amdhsa_exception_fp_ieee_overflow 0
		.amdhsa_exception_fp_ieee_underflow 0
		.amdhsa_exception_fp_ieee_inexact 0
		.amdhsa_exception_int_div_zero 0
	.end_amdhsa_kernel
	.section	.text._ZN4vllm31rms_norm_per_block_quant_kernelIfN3c1015Float8_e4m3fnuzELb1ELb1ELi128EEEvPT0_PfPKT_S8_PKffiiPS6_l,"axG",@progbits,_ZN4vllm31rms_norm_per_block_quant_kernelIfN3c1015Float8_e4m3fnuzELb1ELb1ELi128EEEvPT0_PfPKT_S8_PKffiiPS6_l,comdat
.Lfunc_end19:
	.size	_ZN4vllm31rms_norm_per_block_quant_kernelIfN3c1015Float8_e4m3fnuzELb1ELb1ELi128EEEvPT0_PfPKT_S8_PKffiiPS6_l, .Lfunc_end19-_ZN4vllm31rms_norm_per_block_quant_kernelIfN3c1015Float8_e4m3fnuzELb1ELb1ELi128EEEvPT0_PfPKT_S8_PKffiiPS6_l
                                        ; -- End function
	.section	.AMDGPU.csdata,"",@progbits
; Kernel info:
; codeLenInByte = 12948
; NumSgprs: 44
; NumVgprs: 37
; ScratchSize: 0
; MemoryBound: 0
; FloatMode: 240
; IeeeMode: 1
; LDSByteSize: 4228 bytes/workgroup (compile time only)
; SGPRBlocks: 5
; VGPRBlocks: 4
; NumSGPRsForWavesPerEU: 44
; NumVGPRsForWavesPerEU: 37
; Occupancy: 16
; WaveLimiterHint : 0
; COMPUTE_PGM_RSRC2:SCRATCH_EN: 0
; COMPUTE_PGM_RSRC2:USER_SGPR: 15
; COMPUTE_PGM_RSRC2:TRAP_HANDLER: 0
; COMPUTE_PGM_RSRC2:TGID_X_EN: 1
; COMPUTE_PGM_RSRC2:TGID_Y_EN: 0
; COMPUTE_PGM_RSRC2:TGID_Z_EN: 0
; COMPUTE_PGM_RSRC2:TIDIG_COMP_CNT: 0
	.section	.text._ZN4vllm31rms_norm_per_block_quant_kernelIfaLb1ELb1ELi128EEEvPT0_PfPKT_S6_PKffiiPS4_l,"axG",@progbits,_ZN4vllm31rms_norm_per_block_quant_kernelIfaLb1ELb1ELi128EEEvPT0_PfPKT_S6_PKffiiPS4_l,comdat
	.protected	_ZN4vllm31rms_norm_per_block_quant_kernelIfaLb1ELb1ELi128EEEvPT0_PfPKT_S6_PKffiiPS4_l ; -- Begin function _ZN4vllm31rms_norm_per_block_quant_kernelIfaLb1ELb1ELi128EEEvPT0_PfPKT_S6_PKffiiPS4_l
	.globl	_ZN4vllm31rms_norm_per_block_quant_kernelIfaLb1ELb1ELi128EEEvPT0_PfPKT_S6_PKffiiPS4_l
	.p2align	8
	.type	_ZN4vllm31rms_norm_per_block_quant_kernelIfaLb1ELb1ELi128EEEvPT0_PfPKT_S6_PKffiiPS4_l,@function
_ZN4vllm31rms_norm_per_block_quant_kernelIfaLb1ELb1ELi128EEEvPT0_PfPKT_S6_PKffiiPS4_l: ; @_ZN4vllm31rms_norm_per_block_quant_kernelIfaLb1ELb1ELi128EEEvPT0_PfPKT_S6_PKffiiPS4_l
; %bb.0:
	s_mov_b32 s16, s15
	s_clause 0x3
	s_load_b128 s[12:15], s[0:1], 0x28
	s_load_b256 s[4:11], s[0:1], 0x0
	s_load_b64 s[2:3], s[0:1], 0x38
	s_load_b32 s34, s[0:1], 0x48
	v_mov_b32_e32 v6, 0
	s_waitcnt lgkmcnt(0)
	s_ashr_i32 s15, s14, 31
	s_mul_hi_u32 s17, s14, s16
	s_mul_i32 s15, s15, s16
	s_ashr_i32 s19, s13, 31
	s_mul_i32 s20, s14, s16
	s_add_i32 s21, s17, s15
	s_mul_hi_u32 s18, s13, s16
	s_mul_i32 s15, s19, s16
	s_lshl_b64 s[20:21], s[20:21], 2
	s_mul_i32 s14, s13, s16
	s_add_i32 s15, s18, s15
	s_add_u32 s28, s8, s20
	s_addc_u32 s29, s9, s21
	s_lshl_b64 s[8:9], s[14:15], 2
	s_mov_b32 s17, 0
	s_add_u32 s30, s2, s8
	s_addc_u32 s31, s3, s9
	s_ashr_i32 s8, s13, 2
	s_add_u32 s20, s0, 0x48
	v_cmp_gt_u32_e64 s2, s8, v0
	s_mov_b32 s18, s13
	s_addc_u32 s21, s1, 0
	s_delay_alu instid0(VALU_DEP_1)
	s_and_saveexec_b32 s3, s2
	s_cbranch_execz .LBB20_10
; %bb.1:
	s_cmp_lt_u32 s16, s34
	v_mov_b32_e32 v2, 0
	s_cselect_b32 s9, 12, 18
                                        ; implicit-def: $sgpr13
	v_mov_b32_e32 v1, v0
	s_add_u32 s22, s20, s9
	s_addc_u32 s23, s21, 0
	s_mov_b32 s9, s17
	global_load_u16 v7, v2, s[22:23]
	s_waitcnt vmcnt(0)
	v_lshlrev_b32_e32 v9, 1, v7
	v_mul_lo_u32 v8, v7, 3
	v_add_nc_u32_e32 v10, v7, v7
	v_mov_b32_e32 v6, v2
	s_branch .LBB20_5
.LBB20_2:                               ;   in Loop: Header=BB20_5 Depth=1
	s_or_b32 exec_lo, exec_lo, s24
	s_delay_alu instid0(SALU_CYCLE_1)
	s_or_not1_b32 s24, s25, exec_lo
.LBB20_3:                               ;   in Loop: Header=BB20_5 Depth=1
	s_or_b32 exec_lo, exec_lo, s23
	s_delay_alu instid0(SALU_CYCLE_1) | instskip(SKIP_1) | instid1(SALU_CYCLE_1)
	s_and_not1_b32 s13, s13, exec_lo
	s_and_b32 s23, s24, exec_lo
	s_or_b32 s13, s13, s23
.LBB20_4:                               ;   in Loop: Header=BB20_5 Depth=1
	s_or_b32 exec_lo, exec_lo, s22
	s_delay_alu instid0(SALU_CYCLE_1) | instskip(NEXT) | instid1(SALU_CYCLE_1)
	s_and_b32 s22, exec_lo, s13
	s_or_b32 s9, s22, s9
	s_delay_alu instid0(SALU_CYCLE_1)
	s_and_not1_b32 exec_lo, exec_lo, s9
	s_cbranch_execz .LBB20_9
.LBB20_5:                               ; =>This Inner Loop Header: Depth=1
	v_lshlrev_b64 v[3:4], 4, v[1:2]
	s_or_b32 s13, s13, exec_lo
	s_mov_b32 s22, exec_lo
	s_delay_alu instid0(VALU_DEP_1) | instskip(NEXT) | instid1(VALU_DEP_2)
	v_add_co_u32 v11, vcc_lo, s28, v3
	v_add_co_ci_u32_e32 v12, vcc_lo, s29, v4, vcc_lo
	v_add_co_u32 v3, vcc_lo, s30, v3
	v_add_co_ci_u32_e32 v4, vcc_lo, s31, v4, vcc_lo
	global_load_b128 v[11:14], v[11:12], off
	global_load_b128 v[15:18], v[3:4], off
	s_waitcnt vmcnt(0)
	v_dual_add_f32 v3, v11, v15 :: v_dual_add_f32 v4, v12, v16
	s_delay_alu instid0(VALU_DEP_1) | instskip(NEXT) | instid1(VALU_DEP_1)
	v_dual_fmac_f32 v6, v3, v3 :: v_dual_add_f32 v3, v13, v17
	v_fmac_f32_e32 v6, v4, v4
	v_add_f32_e32 v4, v14, v18
	s_delay_alu instid0(VALU_DEP_2) | instskip(NEXT) | instid1(VALU_DEP_1)
	v_fmac_f32_e32 v6, v3, v3
	v_dual_fmac_f32 v6, v4, v4 :: v_dual_add_nc_u32 v3, v1, v7
	s_delay_alu instid0(VALU_DEP_1)
	v_cmpx_gt_u32_e64 s8, v3
	s_cbranch_execz .LBB20_4
; %bb.6:                                ;   in Loop: Header=BB20_5 Depth=1
	v_mov_b32_e32 v4, v2
	s_mov_b32 s24, -1
	s_mov_b32 s23, exec_lo
	s_delay_alu instid0(VALU_DEP_1) | instskip(NEXT) | instid1(VALU_DEP_1)
	v_lshlrev_b64 v[4:5], 4, v[3:4]
	v_add_co_u32 v11, vcc_lo, s28, v4
	s_delay_alu instid0(VALU_DEP_2)
	v_add_co_ci_u32_e32 v12, vcc_lo, s29, v5, vcc_lo
	v_add_co_u32 v4, vcc_lo, s30, v4
	v_add_co_ci_u32_e32 v5, vcc_lo, s31, v5, vcc_lo
	global_load_b128 v[11:14], v[11:12], off
	global_load_b128 v[15:18], v[4:5], off
	s_waitcnt vmcnt(0)
	v_dual_add_f32 v5, v12, v16 :: v_dual_add_f32 v4, v11, v15
	s_delay_alu instid0(VALU_DEP_1) | instskip(SKIP_1) | instid1(VALU_DEP_2)
	v_fmac_f32_e32 v6, v4, v4
	v_add_f32_e32 v4, v13, v17
	v_dual_fmac_f32 v6, v5, v5 :: v_dual_add_f32 v5, v14, v18
	s_delay_alu instid0(VALU_DEP_1) | instskip(SKIP_1) | instid1(VALU_DEP_2)
	v_fmac_f32_e32 v6, v4, v4
	v_add_nc_u32_e32 v4, v9, v1
	v_fmac_f32_e32 v6, v5, v5
	s_delay_alu instid0(VALU_DEP_2)
	v_cmpx_gt_u32_e64 s8, v4
	s_cbranch_execz .LBB20_3
; %bb.7:                                ;   in Loop: Header=BB20_5 Depth=1
	v_mov_b32_e32 v5, v2
	v_add_nc_u32_e32 v1, v8, v1
	s_mov_b32 s25, -1
	s_mov_b32 s24, exec_lo
	s_delay_alu instid0(VALU_DEP_2) | instskip(NEXT) | instid1(VALU_DEP_1)
	v_lshlrev_b64 v[4:5], 4, v[4:5]
	v_add_co_u32 v11, vcc_lo, s28, v4
	s_delay_alu instid0(VALU_DEP_2)
	v_add_co_ci_u32_e32 v12, vcc_lo, s29, v5, vcc_lo
	v_add_co_u32 v4, vcc_lo, s30, v4
	v_add_co_ci_u32_e32 v5, vcc_lo, s31, v5, vcc_lo
	global_load_b128 v[11:14], v[11:12], off
	global_load_b128 v[15:18], v[4:5], off
	s_waitcnt vmcnt(0)
	v_dual_add_f32 v4, v11, v15 :: v_dual_add_f32 v5, v12, v16
	s_delay_alu instid0(VALU_DEP_1) | instskip(SKIP_1) | instid1(VALU_DEP_2)
	v_fmac_f32_e32 v6, v4, v4
	v_add_f32_e32 v4, v13, v17
	v_dual_fmac_f32 v6, v5, v5 :: v_dual_add_f32 v5, v14, v18
	s_delay_alu instid0(VALU_DEP_1) | instskip(NEXT) | instid1(VALU_DEP_1)
	v_fmac_f32_e32 v6, v4, v4
	v_fmac_f32_e32 v6, v5, v5
	v_cmpx_gt_u32_e64 s8, v1
	s_xor_b32 s24, exec_lo, s24
	s_cbranch_execz .LBB20_2
; %bb.8:                                ;   in Loop: Header=BB20_5 Depth=1
	v_lshlrev_b64 v[4:5], 4, v[1:2]
	s_delay_alu instid0(VALU_DEP_1) | instskip(NEXT) | instid1(VALU_DEP_2)
	v_add_co_u32 v11, vcc_lo, s28, v4
	v_add_co_ci_u32_e32 v12, vcc_lo, s29, v5, vcc_lo
	v_add_co_u32 v4, vcc_lo, s30, v4
	v_add_co_ci_u32_e32 v5, vcc_lo, s31, v5, vcc_lo
	global_load_b128 v[11:14], v[11:12], off
	global_load_b128 v[15:18], v[4:5], off
	s_waitcnt vmcnt(0)
	v_dual_add_f32 v1, v11, v15 :: v_dual_add_f32 v4, v12, v16
	s_delay_alu instid0(VALU_DEP_1) | instskip(SKIP_2) | instid1(VALU_DEP_3)
	v_fmac_f32_e32 v6, v1, v1
	v_add3_u32 v1, v10, v7, v3
	v_add_f32_e32 v3, v14, v18
	v_dual_add_f32 v5, v13, v17 :: v_dual_fmac_f32 v6, v4, v4
	s_delay_alu instid0(VALU_DEP_3) | instskip(NEXT) | instid1(VALU_DEP_2)
	v_cmp_le_u32_e32 vcc_lo, s8, v1
	v_fmac_f32_e32 v6, v5, v5
	s_or_not1_b32 s25, vcc_lo, exec_lo
	s_delay_alu instid0(VALU_DEP_1)
	v_fmac_f32_e32 v6, v3, v3
	s_branch .LBB20_2
.LBB20_9:
	s_or_b32 exec_lo, exec_lo, s9
.LBB20_10:
	s_delay_alu instid0(SALU_CYCLE_1) | instskip(SKIP_4) | instid1(VALU_DEP_2)
	s_or_b32 exec_lo, exec_lo, s3
	v_mbcnt_lo_u32_b32 v1, -1, 0
	s_load_b32 s3, s[20:21], 0xc
	v_and_b32_e32 v7, 0x3e0, v0
	s_mov_b32 s9, exec_lo
	v_cmp_ne_u32_e32 vcc_lo, 31, v1
	v_add_nc_u32_e32 v3, 1, v1
	v_add_co_ci_u32_e32 v2, vcc_lo, 0, v1, vcc_lo
	v_cmp_gt_u32_e32 vcc_lo, 30, v1
	s_delay_alu instid0(VALU_DEP_2)
	v_lshlrev_b32_e32 v2, 2, v2
	v_cndmask_b32_e64 v5, 0, 1, vcc_lo
	ds_bpermute_b32 v4, v2, v6
	s_waitcnt lgkmcnt(0)
	s_and_b32 s3, s3, 0xffff
	v_lshlrev_b32_e32 v5, 1, v5
	v_sub_nc_u32_e64 v12, s3, v7 clamp
	s_delay_alu instid0(VALU_DEP_1) | instskip(SKIP_1) | instid1(VALU_DEP_4)
	v_cmp_lt_u32_e32 vcc_lo, v3, v12
	v_add_f32_e32 v7, v6, v4
	v_add_lshl_u32 v4, v5, v1, 2
	s_delay_alu instid0(VALU_DEP_2) | instskip(SKIP_2) | instid1(VALU_DEP_1)
	v_cndmask_b32_e32 v7, v6, v7, vcc_lo
	v_cmp_gt_u32_e32 vcc_lo, 28, v1
	v_cndmask_b32_e64 v5, 0, 1, vcc_lo
	v_lshlrev_b32_e32 v8, 2, v5
	ds_bpermute_b32 v6, v4, v7
	v_add_nc_u32_e32 v5, 2, v1
	s_delay_alu instid0(VALU_DEP_1) | instskip(SKIP_3) | instid1(VALU_DEP_2)
	v_cmp_lt_u32_e32 vcc_lo, v5, v12
	s_waitcnt lgkmcnt(0)
	v_add_f32_e32 v9, v7, v6
	v_add_lshl_u32 v6, v8, v1, 2
	v_cndmask_b32_e32 v9, v7, v9, vcc_lo
	v_cmp_gt_u32_e32 vcc_lo, 24, v1
	ds_bpermute_b32 v8, v6, v9
	v_cndmask_b32_e64 v7, 0, 1, vcc_lo
	s_delay_alu instid0(VALU_DEP_1) | instskip(SKIP_1) | instid1(VALU_DEP_1)
	v_lshlrev_b32_e32 v10, 3, v7
	v_add_nc_u32_e32 v7, 4, v1
	v_cmp_lt_u32_e32 vcc_lo, v7, v12
	s_waitcnt lgkmcnt(0)
	v_add_f32_e32 v11, v9, v8
	v_add_lshl_u32 v8, v10, v1, 2
	s_delay_alu instid0(VALU_DEP_2) | instskip(SKIP_3) | instid1(VALU_DEP_1)
	v_cndmask_b32_e32 v11, v9, v11, vcc_lo
	v_cmp_gt_u32_e32 vcc_lo, 16, v1
	ds_bpermute_b32 v10, v8, v11
	v_cndmask_b32_e64 v9, 0, 1, vcc_lo
	v_lshlrev_b32_e32 v13, 4, v9
	v_add_nc_u32_e32 v9, 8, v1
	s_delay_alu instid0(VALU_DEP_1) | instskip(SKIP_3) | instid1(VALU_DEP_2)
	v_cmp_lt_u32_e32 vcc_lo, v9, v12
	s_waitcnt lgkmcnt(0)
	v_add_f32_e32 v14, v11, v10
	v_add_lshl_u32 v10, v13, v1, 2
	v_cndmask_b32_e32 v13, v11, v14, vcc_lo
	v_add_nc_u32_e32 v11, 16, v1
	ds_bpermute_b32 v14, v10, v13
	v_cmp_lt_u32_e32 vcc_lo, v11, v12
	s_waitcnt lgkmcnt(0)
	v_add_f32_e32 v14, v13, v14
	s_delay_alu instid0(VALU_DEP_1)
	v_cndmask_b32_e32 v12, v13, v14, vcc_lo
	v_cmpx_eq_u32_e32 0, v1
	s_cbranch_execz .LBB20_12
; %bb.11:
	v_lshrrev_b32_e32 v13, 3, v0
	s_delay_alu instid0(VALU_DEP_1)
	v_and_b32_e32 v13, 0x7c, v13
	ds_store_b32 v13, v12 offset:4096
.LBB20_12:
	s_or_b32 exec_lo, exec_lo, s9
	s_delay_alu instid0(SALU_CYCLE_1)
	s_mov_b32 s9, exec_lo
	s_waitcnt lgkmcnt(0)
	s_barrier
	buffer_gl0_inv
	v_cmpx_gt_u32_e32 32, v0
	s_cbranch_execz .LBB20_14
; %bb.13:
	v_lshlrev_b32_e32 v1, 2, v1
	s_add_i32 s3, s3, 31
	s_delay_alu instid0(SALU_CYCLE_1) | instskip(NEXT) | instid1(SALU_CYCLE_1)
	s_lshr_b32 s3, s3, 5
	v_cmp_gt_u32_e32 vcc_lo, s3, v3
	ds_load_b32 v1, v1 offset:4096
	s_waitcnt lgkmcnt(0)
	ds_bpermute_b32 v2, v2, v1
	s_waitcnt lgkmcnt(0)
	v_add_f32_e32 v2, v1, v2
	s_delay_alu instid0(VALU_DEP_1) | instskip(SKIP_4) | instid1(VALU_DEP_1)
	v_cndmask_b32_e32 v1, v1, v2, vcc_lo
	v_cmp_gt_u32_e32 vcc_lo, s3, v5
	ds_bpermute_b32 v2, v4, v1
	s_waitcnt lgkmcnt(0)
	v_add_f32_e32 v2, v1, v2
	v_cndmask_b32_e32 v1, v1, v2, vcc_lo
	v_cmp_gt_u32_e32 vcc_lo, s3, v7
	ds_bpermute_b32 v2, v6, v1
	s_waitcnt lgkmcnt(0)
	v_add_f32_e32 v2, v1, v2
	s_delay_alu instid0(VALU_DEP_1) | instskip(SKIP_4) | instid1(VALU_DEP_1)
	v_cndmask_b32_e32 v1, v1, v2, vcc_lo
	v_cmp_gt_u32_e32 vcc_lo, s3, v9
	ds_bpermute_b32 v2, v8, v1
	s_waitcnt lgkmcnt(0)
	v_add_f32_e32 v2, v1, v2
	v_cndmask_b32_e32 v1, v1, v2, vcc_lo
	v_cmp_gt_u32_e32 vcc_lo, s3, v11
	ds_bpermute_b32 v2, v10, v1
	s_waitcnt lgkmcnt(0)
	v_add_f32_e32 v2, v1, v2
	s_delay_alu instid0(VALU_DEP_1)
	v_cndmask_b32_e32 v12, v1, v2, vcc_lo
.LBB20_14:
	s_or_b32 exec_lo, exec_lo, s9
	s_delay_alu instid0(SALU_CYCLE_1)
	s_mov_b32 s3, exec_lo
	v_cmpx_eq_u32_e32 0, v0
	s_cbranch_execz .LBB20_16
; %bb.15:
	v_cvt_f32_i32_e32 v1, s18
	s_delay_alu instid0(VALU_DEP_1) | instskip(SKIP_1) | instid1(VALU_DEP_2)
	v_div_scale_f32 v2, null, v1, v1, v12
	v_div_scale_f32 v5, vcc_lo, v12, v1, v12
	v_rcp_f32_e32 v3, v2
	s_waitcnt_depctr 0xfff
	v_fma_f32 v4, -v2, v3, 1.0
	s_delay_alu instid0(VALU_DEP_1) | instskip(NEXT) | instid1(VALU_DEP_1)
	v_fmac_f32_e32 v3, v4, v3
	v_mul_f32_e32 v4, v5, v3
	s_delay_alu instid0(VALU_DEP_1) | instskip(NEXT) | instid1(VALU_DEP_1)
	v_fma_f32 v6, -v2, v4, v5
	v_fmac_f32_e32 v4, v6, v3
	s_delay_alu instid0(VALU_DEP_1) | instskip(NEXT) | instid1(VALU_DEP_1)
	v_fma_f32 v2, -v2, v4, v5
	v_div_fmas_f32 v2, v2, v3, v4
	s_delay_alu instid0(VALU_DEP_1) | instskip(NEXT) | instid1(VALU_DEP_1)
	v_div_fixup_f32 v1, v2, v1, v12
	v_add_f32_e32 v1, s12, v1
	s_delay_alu instid0(VALU_DEP_1) | instskip(SKIP_1) | instid1(VALU_DEP_2)
	v_mul_f32_e32 v2, 0x4b800000, v1
	v_cmp_gt_f32_e32 vcc_lo, 0x800000, v1
	v_cndmask_b32_e32 v1, v1, v2, vcc_lo
	s_delay_alu instid0(VALU_DEP_1) | instskip(SKIP_2) | instid1(VALU_DEP_1)
	v_rsq_f32_e32 v1, v1
	s_waitcnt_depctr 0xfff
	v_mul_f32_e32 v2, 0x45800000, v1
	v_dual_cndmask_b32 v1, v1, v2 :: v_dual_mov_b32 v2, 0
	ds_store_b32 v2, v1 offset:4224
.LBB20_16:
	s_or_b32 exec_lo, exec_lo, s3
	s_ashr_i32 s3, s18, 31
	v_mov_b32_e32 v4, 0
	s_lshr_b32 s3, s3, 25
	s_waitcnt lgkmcnt(0)
	s_add_i32 s3, s18, s3
	s_barrier
	s_ashr_i32 s12, s3, 7
	s_cmp_lt_u32 s16, s34
	buffer_gl0_inv
	s_cselect_b32 s9, 12, 18
	ds_load_b32 v28, v4 offset:4224
	s_add_u32 s20, s20, s9
	s_addc_u32 s21, s21, 0
	s_abs_i32 s9, s12
	global_load_u16 v1, v4, s[20:21]
	v_cvt_f32_u32_e32 v2, s9
	s_sub_i32 s20, 0, s9
	s_ashr_i32 s3, s3, 31
	s_delay_alu instid0(VALU_DEP_1) | instskip(SKIP_2) | instid1(VALU_DEP_1)
	v_rcp_iflag_f32_e32 v2, v2
	s_waitcnt_depctr 0xfff
	v_mul_f32_e32 v2, 0x4f7ffffe, v2
	v_cvt_u32_f32_e32 v2, v2
	s_delay_alu instid0(VALU_DEP_1) | instskip(NEXT) | instid1(VALU_DEP_1)
	v_readfirstlane_b32 s13, v2
	s_mul_i32 s20, s20, s13
	s_delay_alu instid0(SALU_CYCLE_1) | instskip(NEXT) | instid1(SALU_CYCLE_1)
	s_mul_hi_u32 s20, s13, s20
	s_add_i32 s13, s13, s20
	s_waitcnt vmcnt(0)
	v_readfirstlane_b32 s33, v1
	s_delay_alu instid0(VALU_DEP_1) | instskip(NEXT) | instid1(SALU_CYCLE_1)
	s_mul_hi_u32 s13, s33, s13
	s_mul_i32 s20, s13, s9
	s_add_i32 s21, s13, 1
	s_sub_i32 s20, s33, s20
	s_delay_alu instid0(SALU_CYCLE_1)
	s_sub_i32 s22, s20, s9
	s_cmp_ge_u32 s20, s9
	s_cselect_b32 s13, s21, s13
	s_cselect_b32 s20, s22, s20
	s_add_i32 s21, s13, 1
	s_cmp_ge_u32 s20, s9
	s_cselect_b32 s9, s21, s13
	s_delay_alu instid0(SALU_CYCLE_1) | instskip(NEXT) | instid1(SALU_CYCLE_1)
	s_xor_b32 s9, s9, s3
	s_sub_i32 s20, s9, s3
	s_delay_alu instid0(SALU_CYCLE_1) | instskip(SKIP_3) | instid1(VALU_DEP_1)
	s_abs_i32 s3, s20
	s_ashr_i32 s21, s20, 31
	v_cvt_f32_u32_e32 v1, s3
	s_sub_i32 s9, 0, s3
	v_rcp_iflag_f32_e32 v1, v1
	s_waitcnt_depctr 0xfff
	v_mul_f32_e32 v1, 0x4f7ffffe, v1
	s_delay_alu instid0(VALU_DEP_1) | instskip(NEXT) | instid1(VALU_DEP_1)
	v_cvt_u32_f32_e32 v1, v1
	v_mul_lo_u32 v2, s9, v1
	s_ashr_i32 s9, s8, 31
	s_delay_alu instid0(VALU_DEP_1) | instskip(NEXT) | instid1(VALU_DEP_1)
	v_mul_hi_u32 v2, v1, v2
	v_add_nc_u32_e32 v1, v1, v2
	s_delay_alu instid0(VALU_DEP_1) | instskip(NEXT) | instid1(VALU_DEP_1)
	v_mul_hi_u32 v1, v0, v1
	v_mul_lo_u32 v2, v1, s3
	v_add_nc_u32_e32 v3, 1, v1
	s_delay_alu instid0(VALU_DEP_2) | instskip(NEXT) | instid1(VALU_DEP_1)
	v_sub_nc_u32_e32 v2, v0, v2
	v_subrev_nc_u32_e32 v5, s3, v2
	v_cmp_le_u32_e32 vcc_lo, s3, v2
	s_delay_alu instid0(VALU_DEP_2) | instskip(NEXT) | instid1(VALU_DEP_1)
	v_dual_cndmask_b32 v2, v2, v5 :: v_dual_cndmask_b32 v1, v1, v3
	v_cmp_le_u32_e32 vcc_lo, s3, v2
	s_delay_alu instid0(VALU_DEP_2) | instskip(NEXT) | instid1(VALU_DEP_1)
	v_add_nc_u32_e32 v3, 1, v1
	v_cndmask_b32_e32 v1, v1, v3, vcc_lo
	s_delay_alu instid0(VALU_DEP_1) | instskip(NEXT) | instid1(VALU_DEP_1)
	v_xor_b32_e32 v1, s21, v1
	v_subrev_nc_u32_e32 v1, s21, v1
	s_delay_alu instid0(VALU_DEP_1) | instskip(SKIP_1) | instid1(VALU_DEP_2)
	v_ashrrev_i32_e32 v2, 31, v1
	v_mul_lo_u32 v3, v1, s20
	v_lshlrev_b64 v[7:8], 5, v[1:2]
	s_delay_alu instid0(VALU_DEP_2) | instskip(NEXT) | instid1(VALU_DEP_2)
	v_sub_nc_u32_e32 v3, v0, v3
	v_add_co_u32 v5, vcc_lo, v7, 32
	s_delay_alu instid0(VALU_DEP_3) | instskip(NEXT) | instid1(VALU_DEP_1)
	v_add_co_ci_u32_e32 v6, vcc_lo, 0, v8, vcc_lo
	v_cmp_gt_i64_e32 vcc_lo, s[8:9], v[5:6]
	v_cndmask_b32_e32 v6, s9, v6, vcc_lo
	v_cndmask_b32_e32 v5, s8, v5, vcc_lo
	v_add_co_u32 v7, vcc_lo, v7, v3
	v_add_co_ci_u32_e32 v8, vcc_lo, 0, v8, vcc_lo
	s_delay_alu instid0(VALU_DEP_3) | instskip(SKIP_2) | instid1(VALU_DEP_1)
	v_ashrrev_i32_e32 v10, 31, v5
	v_mov_b32_e32 v9, v5
	s_mov_b32 s9, exec_lo
	v_cmpx_lt_i64_e64 v[7:8], v[9:10]
	s_cbranch_execz .LBB20_26
; %bb.17:
	v_lshlrev_b64 v[11:12], 9, v[1:2]
	v_lshlrev_b64 v[13:14], 4, v[3:4]
	v_mov_b32_e32 v4, 0
	s_lshl_b64 s[22:23], s[20:21], 6
	s_mul_hi_i32 s13, s20, 3
	s_mul_i32 s35, s20, 3
	s_lshl_b64 s[24:25], s[20:21], 1
	v_add_co_u32 v21, vcc_lo, v11, v13
	v_add_co_ci_u32_e32 v22, vcc_lo, v12, v14, vcc_lo
	v_dual_mov_b32 v12, v8 :: v_dual_mov_b32 v11, v7
	s_lshl_b64 s[26:27], s[20:21], 4
	s_mov_b32 s36, 0
                                        ; implicit-def: $sgpr37
	s_branch .LBB20_21
.LBB20_18:                              ;   in Loop: Header=BB20_21 Depth=1
	s_or_b32 exec_lo, exec_lo, s40
	s_delay_alu instid0(SALU_CYCLE_1)
	s_or_not1_b32 s3, s3, exec_lo
.LBB20_19:                              ;   in Loop: Header=BB20_21 Depth=1
	s_or_b32 exec_lo, exec_lo, s39
	s_delay_alu instid0(SALU_CYCLE_1) | instskip(SKIP_1) | instid1(SALU_CYCLE_1)
	s_and_not1_b32 s37, s37, exec_lo
	s_and_b32 s3, s3, exec_lo
	s_or_b32 s37, s37, s3
.LBB20_20:                              ;   in Loop: Header=BB20_21 Depth=1
	s_or_b32 exec_lo, exec_lo, s38
	s_delay_alu instid0(SALU_CYCLE_1) | instskip(NEXT) | instid1(SALU_CYCLE_1)
	s_and_b32 s3, exec_lo, s37
	s_or_b32 s36, s3, s36
	s_delay_alu instid0(SALU_CYCLE_1)
	s_and_not1_b32 exec_lo, exec_lo, s36
	s_cbranch_execz .LBB20_25
.LBB20_21:                              ; =>This Inner Loop Header: Depth=1
	v_add_co_u32 v15, vcc_lo, s28, v21
	v_add_co_ci_u32_e32 v16, vcc_lo, s29, v22, vcc_lo
	v_add_co_u32 v19, vcc_lo, s30, v21
	v_add_co_ci_u32_e32 v20, vcc_lo, s31, v22, vcc_lo
	v_add_co_u32 v17, vcc_lo, s10, v21
	global_load_b128 v[23:26], v[15:16], off
	global_load_b128 v[29:32], v[19:20], off
	v_add_co_ci_u32_e32 v18, vcc_lo, s11, v22, vcc_lo
	s_or_b32 s37, s37, exec_lo
	s_mov_b32 s38, exec_lo
	global_load_b128 v[33:36], v[17:18], off
	s_waitcnt vmcnt(1)
	v_dual_add_f32 v13, v23, v29 :: v_dual_add_f32 v14, v24, v30
	v_dual_add_f32 v23, v25, v31 :: v_dual_add_f32 v24, v26, v32
	s_waitcnt lgkmcnt(0)
	s_delay_alu instid0(VALU_DEP_2) | instskip(NEXT) | instid1(VALU_DEP_3)
	v_mul_f32_e32 v14, v28, v14
	v_mul_f32_e32 v13, v28, v13
	s_delay_alu instid0(VALU_DEP_3) | instskip(SKIP_2) | instid1(VALU_DEP_3)
	v_mul_f32_e32 v23, v28, v23
	v_mul_f32_e32 v24, v28, v24
	s_waitcnt vmcnt(0)
	v_dual_mul_f32 v26, v34, v14 :: v_dual_mul_f32 v25, v33, v13
	s_delay_alu instid0(VALU_DEP_2) | instskip(SKIP_1) | instid1(VALU_DEP_3)
	v_dual_mul_f32 v23, v35, v23 :: v_dual_mul_f32 v24, v36, v24
	v_add_co_u32 v13, vcc_lo, v11, s20
	v_max3_f32 v4, v4, |v25|, |v26|
	v_add_co_ci_u32_e32 v14, vcc_lo, s21, v12, vcc_lo
	s_delay_alu instid0(VALU_DEP_2) | instskip(NEXT) | instid1(VALU_DEP_2)
	v_max3_f32 v4, v4, |v23|, |v24|
	v_cmpx_lt_i64_e64 v[13:14], v[9:10]
	s_cbranch_execz .LBB20_20
; %bb.22:                               ;   in Loop: Header=BB20_21 Depth=1
	v_add_co_u32 v15, vcc_lo, v15, s26
	v_add_co_ci_u32_e32 v16, vcc_lo, s27, v16, vcc_lo
	v_add_co_u32 v19, vcc_lo, v19, s26
	v_add_co_ci_u32_e32 v20, vcc_lo, s27, v20, vcc_lo
	v_add_co_u32 v17, vcc_lo, v17, s26
	global_load_b128 v[23:26], v[15:16], off
	global_load_b128 v[29:32], v[19:20], off
	v_add_co_ci_u32_e32 v18, vcc_lo, s27, v18, vcc_lo
	s_mov_b32 s3, -1
	s_mov_b32 s39, exec_lo
	global_load_b128 v[33:36], v[17:18], off
	s_waitcnt vmcnt(1)
	v_dual_add_f32 v23, v23, v29 :: v_dual_add_f32 v24, v24, v30
	v_dual_add_f32 v25, v25, v31 :: v_dual_add_f32 v26, v26, v32
	s_delay_alu instid0(VALU_DEP_2) | instskip(NEXT) | instid1(VALU_DEP_3)
	v_mul_f32_e32 v23, v28, v23
	v_mul_f32_e32 v24, v28, v24
	s_delay_alu instid0(VALU_DEP_3) | instskip(SKIP_1) | instid1(VALU_DEP_3)
	v_mul_f32_e32 v25, v28, v25
	s_waitcnt vmcnt(0)
	v_dual_mul_f32 v27, v33, v23 :: v_dual_mul_f32 v26, v28, v26
	s_delay_alu instid0(VALU_DEP_3) | instskip(NEXT) | instid1(VALU_DEP_3)
	v_mul_f32_e32 v29, v34, v24
	v_mul_f32_e32 v25, v35, v25
	v_add_co_u32 v23, vcc_lo, s24, v11
	s_delay_alu instid0(VALU_DEP_4) | instskip(NEXT) | instid1(VALU_DEP_4)
	v_mul_f32_e32 v26, v36, v26
	v_max3_f32 v4, v4, |v27|, |v29|
	v_add_co_ci_u32_e32 v24, vcc_lo, s25, v12, vcc_lo
	s_delay_alu instid0(VALU_DEP_2) | instskip(NEXT) | instid1(VALU_DEP_2)
	v_max3_f32 v4, v4, |v25|, |v26|
	v_cmpx_lt_i64_e64 v[23:24], v[9:10]
	s_cbranch_execz .LBB20_19
; %bb.23:                               ;   in Loop: Header=BB20_21 Depth=1
	v_add_co_u32 v15, vcc_lo, v15, s26
	v_add_co_ci_u32_e32 v16, vcc_lo, s27, v16, vcc_lo
	v_add_co_u32 v19, vcc_lo, v19, s26
	v_add_co_ci_u32_e32 v20, vcc_lo, s27, v20, vcc_lo
	v_add_co_u32 v17, vcc_lo, v17, s26
	global_load_b128 v[23:26], v[15:16], off
	global_load_b128 v[29:32], v[19:20], off
	v_add_co_ci_u32_e32 v18, vcc_lo, s27, v18, vcc_lo
	v_add_co_u32 v11, vcc_lo, s35, v11
	v_add_co_ci_u32_e32 v12, vcc_lo, s13, v12, vcc_lo
	global_load_b128 v[33:36], v[17:18], off
	v_cmp_lt_i64_e32 vcc_lo, v[11:12], v[9:10]
                                        ; implicit-def: $vgpr11_vgpr12
	s_waitcnt vmcnt(1)
	v_dual_add_f32 v23, v23, v29 :: v_dual_add_f32 v24, v24, v30
	v_dual_add_f32 v25, v25, v31 :: v_dual_add_f32 v26, v26, v32
	s_delay_alu instid0(VALU_DEP_2) | instskip(NEXT) | instid1(VALU_DEP_3)
	v_mul_f32_e32 v24, v28, v24
	v_mul_f32_e32 v23, v28, v23
	s_delay_alu instid0(VALU_DEP_3) | instskip(NEXT) | instid1(VALU_DEP_4)
	v_mul_f32_e32 v25, v28, v25
	v_mul_f32_e32 v26, v28, v26
	s_waitcnt vmcnt(0)
	s_delay_alu instid0(VALU_DEP_3) | instskip(NEXT) | instid1(VALU_DEP_3)
	v_dual_mul_f32 v24, v34, v24 :: v_dual_mul_f32 v23, v33, v23
	v_mul_f32_e32 v25, v35, v25
	s_delay_alu instid0(VALU_DEP_2) | instskip(SKIP_1) | instid1(VALU_DEP_1)
	v_max3_f32 v4, v4, |v23|, |v24|
	v_mul_f32_e32 v23, v36, v26
	v_max3_f32 v4, v4, |v25|, |v23|
	s_and_saveexec_b32 s40, vcc_lo
	s_delay_alu instid0(SALU_CYCLE_1)
	s_xor_b32 s40, exec_lo, s40
	s_cbranch_execz .LBB20_18
; %bb.24:                               ;   in Loop: Header=BB20_21 Depth=1
	v_add_co_u32 v11, vcc_lo, v15, s26
	v_add_co_ci_u32_e32 v12, vcc_lo, s27, v16, vcc_lo
	v_add_co_u32 v15, vcc_lo, v19, s26
	v_add_co_ci_u32_e32 v16, vcc_lo, s27, v20, vcc_lo
	s_add_u32 s3, s20, s20
	global_load_b128 v[23:26], v[11:12], off
	global_load_b128 v[29:32], v[15:16], off
	v_add_co_u32 v11, vcc_lo, v17, s26
	v_add_co_ci_u32_e32 v12, vcc_lo, s27, v18, vcc_lo
	s_addc_u32 s41, s21, s21
	s_add_u32 s3, s3, s20
	s_addc_u32 s41, s41, s21
	global_load_b128 v[15:18], v[11:12], off
	s_waitcnt vmcnt(1)
	v_dual_add_f32 v11, v23, v29 :: v_dual_add_f32 v12, v24, v30
	v_dual_add_f32 v19, v25, v31 :: v_dual_add_f32 v20, v26, v32
	s_delay_alu instid0(VALU_DEP_1) | instskip(NEXT) | instid1(VALU_DEP_2)
	v_mul_f32_e32 v19, v28, v19
	v_mul_f32_e32 v20, v28, v20
	s_delay_alu instid0(VALU_DEP_4) | instskip(SKIP_1) | instid1(VALU_DEP_1)
	v_mul_f32_e32 v11, v28, v11
	s_waitcnt vmcnt(0)
	v_dual_mul_f32 v12, v28, v12 :: v_dual_mul_f32 v15, v15, v11
	s_delay_alu instid0(VALU_DEP_1) | instskip(SKIP_3) | instid1(VALU_DEP_4)
	v_mul_f32_e32 v16, v16, v12
	v_add_co_u32 v11, vcc_lo, s3, v13
	v_add_co_ci_u32_e32 v12, vcc_lo, s41, v14, vcc_lo
	v_dual_mul_f32 v13, v17, v19 :: v_dual_mul_f32 v14, v18, v20
	v_max3_f32 v4, v4, |v15|, |v16|
	s_delay_alu instid0(VALU_DEP_3) | instskip(SKIP_1) | instid1(VALU_DEP_1)
	v_cmp_ge_i64_e32 vcc_lo, v[11:12], v[9:10]
	v_add_co_u32 v21, s3, v21, s22
	v_add_co_ci_u32_e64 v22, s3, s23, v22, s3
	s_delay_alu instid0(VALU_DEP_4)
	v_max3_f32 v4, v4, |v13|, |v14|
	s_or_not1_b32 s3, vcc_lo, exec_lo
	s_branch .LBB20_18
.LBB20_25:
	s_or_b32 exec_lo, exec_lo, s36
.LBB20_26:
	s_delay_alu instid0(SALU_CYCLE_1)
	s_or_b32 exec_lo, exec_lo, s9
	s_lshr_b32 s9, s33, 5
	v_lshlrev_b32_e32 v29, 2, v0
	v_cvt_f32_u32_e32 v9, s9
	s_sub_i32 s13, 0, s9
	s_add_i32 s22, s12, s9
	s_delay_alu instid0(SALU_CYCLE_1) | instskip(NEXT) | instid1(VALU_DEP_1)
	s_add_i32 s22, s22, -1
	v_rcp_iflag_f32_e32 v9, v9
	s_abs_i32 s23, s22
	s_ashr_i32 s22, s22, 31
	ds_store_b32 v29, v4
	s_waitcnt lgkmcnt(0)
	s_barrier
	buffer_gl0_inv
	v_mul_f32_e32 v9, 0x4f7ffffe, v9
	s_delay_alu instid0(VALU_DEP_1) | instskip(NEXT) | instid1(VALU_DEP_1)
	v_cvt_u32_f32_e32 v9, v9
	v_readfirstlane_b32 s3, v9
	s_delay_alu instid0(VALU_DEP_1) | instskip(NEXT) | instid1(SALU_CYCLE_1)
	s_mul_i32 s13, s13, s3
	s_mul_hi_u32 s13, s3, s13
	s_delay_alu instid0(SALU_CYCLE_1) | instskip(NEXT) | instid1(SALU_CYCLE_1)
	s_add_i32 s3, s3, s13
	s_mul_hi_u32 s3, s23, s3
	s_delay_alu instid0(SALU_CYCLE_1) | instskip(NEXT) | instid1(SALU_CYCLE_1)
	s_mul_i32 s13, s3, s9
	s_sub_i32 s13, s23, s13
	s_add_i32 s23, s3, 1
	s_sub_i32 s24, s13, s9
	s_cmp_ge_u32 s13, s9
	s_cselect_b32 s3, s23, s3
	s_cselect_b32 s13, s24, s13
	s_add_i32 s23, s3, 1
	s_cmp_ge_u32 s13, s9
	s_cselect_b32 s3, s23, s3
	s_delay_alu instid0(SALU_CYCLE_1) | instskip(NEXT) | instid1(SALU_CYCLE_1)
	s_xor_b32 s3, s3, s22
	s_sub_i32 s22, s3, s22
	s_delay_alu instid0(SALU_CYCLE_1) | instskip(NEXT) | instid1(SALU_CYCLE_1)
	s_ashr_i32 s23, s22, 31
	v_cmp_lt_i64_e64 s3, s[22:23], 1
	s_delay_alu instid0(VALU_DEP_1)
	s_and_b32 vcc_lo, exec_lo, s3
	s_cbranch_vccnz .LBB20_46
; %bb.27:
	v_lshrrev_b32_e32 v9, 5, v0
	v_and_b32_e32 v4, 31, v0
	s_ashr_i32 s13, s12, 31
	s_mov_b64 s[24:25], 0
	s_mov_b64 s[26:27], src_shared_base
	v_mul_lo_u32 v19, s20, v9
	v_add_co_u32 v11, s3, v4, 16
	s_delay_alu instid0(VALU_DEP_1) | instskip(SKIP_1) | instid1(VALU_DEP_1)
	v_add_co_ci_u32_e64 v12, null, 0, 0, s3
	v_add_co_u32 v13, s3, v4, 8
	v_add_co_ci_u32_e64 v14, null, 0, 0, s3
	v_add_co_u32 v15, s3, v4, 4
	v_dual_mov_b32 v10, 0 :: v_dual_lshlrev_b32 v21, 2, v19
	v_lshlrev_b32_e32 v22, 2, v4
	v_add_co_ci_u32_e64 v16, null, 0, 0, s3
	v_add_co_u32 v17, s3, v4, 2
	s_delay_alu instid0(VALU_DEP_1) | instskip(SKIP_1) | instid1(VALU_DEP_1)
	v_add_co_ci_u32_e64 v18, null, 0, 0, s3
	v_add_co_u32 v19, s3, v4, 1
	v_add_co_ci_u32_e64 v20, null, 0, 0, s3
	v_add3_u32 v30, v21, v22, 0x80
	s_mul_i32 s3, s20, s9
	s_delay_alu instid0(SALU_CYCLE_1)
	s_lshl_b32 s35, s3, 2
	s_branch .LBB20_30
.LBB20_28:                              ;   in Loop: Header=BB20_30 Depth=1
	s_or_b32 exec_lo, exec_lo, s3
	v_mov_b32_e32 v22, s27
	flat_load_b32 v21, v[21:22] glc dlc
	s_waitcnt vmcnt(0)
.LBB20_29:                              ;   in Loop: Header=BB20_30 Depth=1
	s_or_b32 exec_lo, exec_lo, s26
	s_add_u32 s24, s24, 1
	v_add_nc_u32_e32 v30, s35, v30
	s_addc_u32 s25, s25, 0
	s_delay_alu instid0(SALU_CYCLE_1)
	s_cmp_eq_u64 s[24:25], s[22:23]
	s_cbranch_scc1 .LBB20_46
.LBB20_30:                              ; =>This Loop Header: Depth=1
                                        ;     Child Loop BB20_33 Depth 2
	s_waitcnt lgkmcnt(0)
	v_mad_u64_u32 v[21:22], null, s24, s9, v[9:10]
	s_mov_b32 s26, exec_lo
	s_delay_alu instid0(VALU_DEP_1) | instskip(NEXT) | instid1(VALU_DEP_1)
	v_mad_u64_u32 v[23:24], null, s25, s9, v[22:23]
	v_mov_b32_e32 v22, v23
	s_delay_alu instid0(VALU_DEP_1)
	v_cmpx_gt_i64_e64 s[12:13], v[21:22]
	s_cbranch_execz .LBB20_29
; %bb.31:                               ;   in Loop: Header=BB20_30 Depth=1
	v_mul_lo_u32 v24, v22, s20
	v_mul_lo_u32 v25, v21, s21
	v_mad_u64_u32 v[22:23], null, v21, s20, 0
	s_delay_alu instid0(VALU_DEP_1) | instskip(NEXT) | instid1(VALU_DEP_2)
	v_add3_u32 v23, v23, v25, v24
	v_add_co_u32 v24, vcc_lo, v22, s20
	v_add_co_u32 v31, s3, v22, v4
	s_delay_alu instid0(VALU_DEP_3) | instskip(SKIP_2) | instid1(VALU_DEP_2)
	v_add_co_ci_u32_e32 v25, vcc_lo, s21, v23, vcc_lo
	v_add_co_ci_u32_e64 v21, s3, 0, v23, s3
	s_mov_b32 s3, exec_lo
	v_cmp_gt_i64_e32 vcc_lo, s[18:19], v[24:25]
	v_cndmask_b32_e32 v25, s19, v25, vcc_lo
	v_cndmask_b32_e32 v24, s18, v24, vcc_lo
	v_add_co_u32 v26, vcc_lo, v31, 32
	v_add_co_ci_u32_e32 v27, vcc_lo, 0, v21, vcc_lo
	v_lshlrev_b32_e32 v21, 2, v31
	s_delay_alu instid0(VALU_DEP_2)
	v_cmpx_lt_i64_e64 v[26:27], v[24:25]
	s_cbranch_execz .LBB20_34
; %bb.32:                               ;   in Loop: Header=BB20_30 Depth=1
	ds_load_b32 v33, v21
	v_mov_b32_e32 v32, v30
	s_mov_b32 s36, 0
.LBB20_33:                              ;   Parent Loop BB20_30 Depth=1
                                        ; =>  This Inner Loop Header: Depth=2
	ds_load_b32 v34, v32
	v_add_co_u32 v26, vcc_lo, v26, 32
	v_add_co_ci_u32_e32 v27, vcc_lo, 0, v27, vcc_lo
	s_waitcnt lgkmcnt(1)
	v_dual_max_f32 v33, v33, v33 :: v_dual_add_nc_u32 v32, 0x80, v32
	s_delay_alu instid0(VALU_DEP_2) | instskip(SKIP_3) | instid1(VALU_DEP_1)
	v_cmp_ge_i64_e32 vcc_lo, v[26:27], v[24:25]
	s_or_b32 s36, vcc_lo, s36
	s_waitcnt lgkmcnt(0)
	v_max_f32_e32 v34, v34, v34
	v_max_f32_e32 v33, v33, v34
	ds_store_b32 v21, v33
	s_and_not1_b32 exec_lo, exec_lo, s36
	s_cbranch_execnz .LBB20_33
.LBB20_34:                              ;   in Loop: Header=BB20_30 Depth=1
	s_or_b32 exec_lo, exec_lo, s3
	v_sub_co_u32 v22, vcc_lo, v24, v22
	v_sub_co_ci_u32_e32 v23, vcc_lo, v25, v23, vcc_lo
	s_mov_b32 s3, exec_lo
	s_delay_alu instid0(VALU_DEP_1) | instskip(SKIP_1) | instid1(VALU_DEP_1)
	v_cmp_gt_i64_e32 vcc_lo, 32, v[22:23]
	v_dual_cndmask_b32 v24, 0, v23 :: v_dual_cndmask_b32 v23, 32, v22
	v_cmpx_lt_i64_e64 v[11:12], v[23:24]
	s_cbranch_execz .LBB20_36
; %bb.35:                               ;   in Loop: Header=BB20_30 Depth=1
	v_dual_mov_b32 v22, s27 :: v_dual_add_nc_u32 v25, 64, v21
	v_mov_b32_e32 v26, s27
	flat_load_b32 v27, v[21:22] glc dlc
	s_waitcnt vmcnt(0)
	flat_load_b32 v25, v[25:26] glc dlc
	s_waitcnt vmcnt(0) lgkmcnt(0)
	v_dual_max_f32 v26, v27, v27 :: v_dual_max_f32 v25, v25, v25
	s_delay_alu instid0(VALU_DEP_1)
	v_max_f32_e32 v25, v26, v25
	flat_store_b32 v[21:22], v25 dlc
	s_waitcnt_vscnt null, 0x0
.LBB20_36:                              ;   in Loop: Header=BB20_30 Depth=1
	s_or_b32 exec_lo, exec_lo, s3
	s_delay_alu instid0(SALU_CYCLE_1)
	s_mov_b32 s3, exec_lo
	v_cmpx_lt_i64_e64 v[13:14], v[23:24]
	s_cbranch_execz .LBB20_38
; %bb.37:                               ;   in Loop: Header=BB20_30 Depth=1
	v_dual_mov_b32 v22, s27 :: v_dual_add_nc_u32 v25, 32, v21
	v_mov_b32_e32 v26, s27
	flat_load_b32 v27, v[21:22] glc dlc
	s_waitcnt vmcnt(0)
	flat_load_b32 v25, v[25:26] glc dlc
	s_waitcnt vmcnt(0) lgkmcnt(0)
	v_dual_max_f32 v26, v27, v27 :: v_dual_max_f32 v25, v25, v25
	s_delay_alu instid0(VALU_DEP_1)
	v_max_f32_e32 v25, v26, v25
	flat_store_b32 v[21:22], v25 dlc
	s_waitcnt_vscnt null, 0x0
.LBB20_38:                              ;   in Loop: Header=BB20_30 Depth=1
	s_or_b32 exec_lo, exec_lo, s3
	s_delay_alu instid0(SALU_CYCLE_1)
	s_mov_b32 s3, exec_lo
	v_cmpx_ge_i64_e64 v[15:16], v[23:24]
	s_xor_b32 s3, exec_lo, s3
; %bb.39:                               ;   in Loop: Header=BB20_30 Depth=1
                                        ; implicit-def: $vgpr21
; %bb.40:                               ;   in Loop: Header=BB20_30 Depth=1
	s_delay_alu instid0(SALU_CYCLE_1)
	s_and_not1_saveexec_b32 s3, s3
	s_cbranch_execz .LBB20_42
; %bb.41:                               ;   in Loop: Header=BB20_30 Depth=1
	v_dual_mov_b32 v22, s27 :: v_dual_add_nc_u32 v25, 16, v21
	v_mov_b32_e32 v26, s27
	flat_load_b32 v27, v[21:22] glc dlc
	s_waitcnt vmcnt(0)
	flat_load_b32 v25, v[25:26] glc dlc
	s_waitcnt vmcnt(0) lgkmcnt(0)
	v_dual_max_f32 v26, v27, v27 :: v_dual_max_f32 v25, v25, v25
	s_delay_alu instid0(VALU_DEP_1)
	v_max_f32_e32 v25, v26, v25
	flat_store_b32 v[21:22], v25 dlc
	s_waitcnt_vscnt null, 0x0
.LBB20_42:                              ;   in Loop: Header=BB20_30 Depth=1
	s_or_b32 exec_lo, exec_lo, s3
	v_lshlrev_b32_e32 v21, 2, v31
	s_mov_b32 s3, exec_lo
	v_cmpx_lt_i64_e64 v[17:18], v[23:24]
	s_cbranch_execz .LBB20_44
; %bb.43:                               ;   in Loop: Header=BB20_30 Depth=1
	s_delay_alu instid0(VALU_DEP_2)
	v_dual_mov_b32 v22, s27 :: v_dual_add_nc_u32 v25, 8, v21
	v_mov_b32_e32 v26, s27
	flat_load_b32 v27, v[21:22] glc dlc
	s_waitcnt vmcnt(0)
	flat_load_b32 v25, v[25:26] glc dlc
	s_waitcnt vmcnt(0) lgkmcnt(0)
	v_dual_max_f32 v26, v27, v27 :: v_dual_max_f32 v25, v25, v25
	s_delay_alu instid0(VALU_DEP_1)
	v_max_f32_e32 v25, v26, v25
	flat_store_b32 v[21:22], v25 dlc
	s_waitcnt_vscnt null, 0x0
.LBB20_44:                              ;   in Loop: Header=BB20_30 Depth=1
	s_or_b32 exec_lo, exec_lo, s3
	s_delay_alu instid0(SALU_CYCLE_1)
	s_mov_b32 s3, exec_lo
	v_cmpx_lt_i64_e64 v[19:20], v[23:24]
	s_cbranch_execz .LBB20_28
; %bb.45:                               ;   in Loop: Header=BB20_30 Depth=1
	v_dual_mov_b32 v22, s27 :: v_dual_add_nc_u32 v23, 4, v21
	v_mov_b32_e32 v24, s27
	flat_load_b32 v25, v[21:22] glc dlc
	s_waitcnt vmcnt(0)
	flat_load_b32 v23, v[23:24] glc dlc
	s_waitcnt vmcnt(0) lgkmcnt(0)
	v_dual_max_f32 v24, v25, v25 :: v_dual_max_f32 v23, v23, v23
	s_delay_alu instid0(VALU_DEP_1)
	v_max_f32_e32 v23, v24, v23
	flat_store_b32 v[21:22], v23 dlc
	s_waitcnt_vscnt null, 0x0
	s_branch .LBB20_28
.LBB20_46:
	s_load_b64 s[12:13], s[0:1], 0x40
	v_cmp_lt_i64_e32 vcc_lo, v[7:8], v[5:6]
	v_cmp_eq_u32_e64 s3, 0, v3
	s_waitcnt lgkmcnt(0)
	s_barrier
	buffer_gl0_inv
	s_and_b32 s9, s3, vcc_lo
	s_delay_alu instid0(SALU_CYCLE_1)
	s_and_saveexec_b32 s3, s9
	s_cbranch_execz .LBB20_53
; %bb.47:
	s_load_b64 s[0:1], s[0:1], 0x20
	ds_load_b32 v5, v29
	s_waitcnt lgkmcnt(0)
	s_cmp_eq_u64 s[0:1], 0
	s_cbranch_scc1 .LBB20_49
; %bb.48:
	s_load_b32 s0, s[0:1], 0x0
	v_max_f32_e32 v3, v5, v5
	s_waitcnt lgkmcnt(0)
	v_max_f32_e64 v4, s0, s0
	s_delay_alu instid0(VALU_DEP_1)
	v_min_f32_e32 v5, v3, v4
.LBB20_49:
	s_add_u32 s0, s12, s34
	s_addc_u32 s1, s13, 0
	s_add_u32 s18, s0, -1
	s_addc_u32 s19, s1, -1
	s_delay_alu instid0(SALU_CYCLE_1) | instskip(SKIP_1) | instid1(SALU_CYCLE_1)
	s_or_b64 s[20:21], s[18:19], s[12:13]
	s_mov_b32 s20, 0
	s_cmp_lg_u64 s[20:21], 0
	s_cbranch_scc0 .LBB20_66
; %bb.50:
	s_ashr_i32 s0, s13, 31
	s_delay_alu instid0(SALU_CYCLE_1) | instskip(SKIP_2) | instid1(SALU_CYCLE_1)
	s_add_u32 s22, s12, s0
	s_mov_b32 s1, s0
	s_addc_u32 s23, s13, s0
	s_xor_b64 s[0:1], s[22:23], s[0:1]
	s_delay_alu instid0(SALU_CYCLE_1) | instskip(SKIP_3) | instid1(VALU_DEP_1)
	v_cvt_f32_u32_e32 v3, s0
	v_cvt_f32_u32_e32 v4, s1
	s_sub_u32 s22, 0, s0
	s_subb_u32 s23, 0, s1
	v_fmamk_f32 v3, v4, 0x4f800000, v3
	s_delay_alu instid0(VALU_DEP_1) | instskip(SKIP_2) | instid1(VALU_DEP_1)
	v_rcp_f32_e32 v3, v3
	s_waitcnt_depctr 0xfff
	v_mul_f32_e32 v3, 0x5f7ffffc, v3
	v_mul_f32_e32 v4, 0x2f800000, v3
	s_delay_alu instid0(VALU_DEP_1) | instskip(NEXT) | instid1(VALU_DEP_1)
	v_trunc_f32_e32 v4, v4
	v_fmamk_f32 v3, v4, 0xcf800000, v3
	v_cvt_u32_f32_e32 v4, v4
	s_delay_alu instid0(VALU_DEP_2) | instskip(NEXT) | instid1(VALU_DEP_2)
	v_cvt_u32_f32_e32 v3, v3
	v_readfirstlane_b32 s9, v4
	s_delay_alu instid0(VALU_DEP_2) | instskip(NEXT) | instid1(VALU_DEP_2)
	v_readfirstlane_b32 s21, v3
	s_mul_i32 s24, s22, s9
	s_delay_alu instid0(VALU_DEP_1)
	s_mul_hi_u32 s26, s22, s21
	s_mul_i32 s25, s23, s21
	s_add_i32 s24, s26, s24
	s_mul_i32 s27, s22, s21
	s_add_i32 s24, s24, s25
	s_mul_hi_u32 s26, s21, s27
	s_mul_hi_u32 s35, s9, s27
	s_mul_i32 s25, s9, s27
	s_mul_hi_u32 s27, s21, s24
	s_mul_i32 s21, s21, s24
	s_mul_hi_u32 s36, s9, s24
	s_add_u32 s21, s26, s21
	s_addc_u32 s26, 0, s27
	s_add_u32 s21, s21, s25
	s_mul_i32 s24, s9, s24
	s_addc_u32 s21, s26, s35
	s_addc_u32 s25, s36, 0
	s_add_u32 s21, s21, s24
	s_addc_u32 s24, 0, s25
	v_add_co_u32 v3, s21, v3, s21
	s_delay_alu instid0(VALU_DEP_1) | instskip(SKIP_1) | instid1(VALU_DEP_1)
	s_cmp_lg_u32 s21, 0
	s_addc_u32 s9, s9, s24
	v_readfirstlane_b32 s21, v3
	s_mul_i32 s24, s22, s9
	s_delay_alu instid0(VALU_DEP_1)
	s_mul_hi_u32 s25, s22, s21
	s_mul_i32 s23, s23, s21
	s_add_i32 s24, s25, s24
	s_mul_i32 s22, s22, s21
	s_add_i32 s24, s24, s23
	s_mul_hi_u32 s25, s9, s22
	s_mul_i32 s26, s9, s22
	s_mul_hi_u32 s22, s21, s22
	s_mul_hi_u32 s27, s21, s24
	s_mul_i32 s21, s21, s24
	s_mul_hi_u32 s23, s9, s24
	s_add_u32 s21, s22, s21
	s_addc_u32 s22, 0, s27
	s_add_u32 s21, s21, s26
	s_mul_i32 s24, s9, s24
	s_addc_u32 s21, s22, s25
	s_addc_u32 s22, s23, 0
	s_add_u32 s21, s21, s24
	s_addc_u32 s22, 0, s22
	v_add_co_u32 v3, s21, v3, s21
	s_delay_alu instid0(VALU_DEP_1) | instskip(SKIP_2) | instid1(VALU_DEP_1)
	s_cmp_lg_u32 s21, 0
	s_addc_u32 s9, s9, s22
	s_ashr_i32 s22, s19, 31
	v_readfirstlane_b32 s21, v3
	s_add_u32 s24, s18, s22
	s_mov_b32 s23, s22
	s_addc_u32 s25, s19, s22
	s_delay_alu instid0(SALU_CYCLE_1) | instskip(NEXT) | instid1(SALU_CYCLE_1)
	s_xor_b64 s[24:25], s[24:25], s[22:23]
	s_mul_i32 s26, s24, s9
	s_mul_hi_u32 s27, s24, s21
	s_mul_hi_u32 s23, s24, s9
	;; [unrolled: 1-line block ×3, first 2 shown]
	s_mul_i32 s21, s25, s21
	s_add_u32 s26, s27, s26
	s_addc_u32 s23, 0, s23
	s_mul_hi_u32 s35, s25, s9
	s_add_u32 s21, s26, s21
	s_mul_i32 s9, s25, s9
	s_addc_u32 s21, s23, s36
	s_addc_u32 s23, s35, 0
	s_add_u32 s9, s21, s9
	s_addc_u32 s21, 0, s23
	s_mul_hi_u32 s23, s0, s9
	s_mul_i32 s21, s0, s21
	s_mul_i32 s26, s1, s9
	;; [unrolled: 1-line block ×3, first 2 shown]
	s_add_i32 s21, s23, s21
	v_sub_co_u32 v3, s9, s24, s9
	s_add_i32 s21, s21, s26
	s_delay_alu instid0(SALU_CYCLE_1) | instskip(SKIP_1) | instid1(VALU_DEP_1)
	s_sub_i32 s23, s25, s21
	s_cmp_lg_u32 s9, 0
	v_sub_co_u32 v4, s24, v3, s0
	s_subb_u32 s23, s23, s1
	s_cmp_lg_u32 s24, 0
	s_subb_u32 s26, s23, 0
	s_delay_alu instid0(VALU_DEP_1)
	v_cmp_le_u32_e32 vcc_lo, s0, v4
	s_cmp_ge_u32 s26, s1
	s_cselect_b32 s27, -1, 0
	s_cmp_eq_u32 s26, s1
	v_cndmask_b32_e64 v6, 0, -1, vcc_lo
	s_cselect_b32 vcc_lo, -1, 0
	s_cmp_lg_u32 s24, 0
	v_sub_co_u32 v7, s24, v4, s0
	s_subb_u32 s23, s23, s1
	s_cmp_lg_u32 s24, 0
	v_cndmask_b32_e32 v6, s27, v6, vcc_lo
	s_subb_u32 s23, s23, 0
	s_cmp_lg_u32 s9, 0
	v_cmp_le_u32_e32 vcc_lo, s0, v3
	s_subb_u32 s9, s25, s21
	s_delay_alu instid0(SALU_CYCLE_1)
	s_cmp_ge_u32 s9, s1
	v_cndmask_b32_e64 v8, 0, -1, vcc_lo
	s_cselect_b32 s21, -1, 0
	s_cmp_eq_u32 s9, s1
	v_cmp_ne_u32_e32 vcc_lo, 0, v6
	v_mov_b32_e32 v6, s23
	s_cselect_b32 s0, -1, 0
	s_delay_alu instid0(SALU_CYCLE_1) | instskip(SKIP_1) | instid1(VALU_DEP_3)
	v_cndmask_b32_e64 v8, s21, v8, s0
	v_cndmask_b32_e32 v4, v4, v7, vcc_lo
	v_cndmask_b32_e32 v6, s26, v6, vcc_lo
	s_delay_alu instid0(VALU_DEP_3) | instskip(NEXT) | instid1(VALU_DEP_3)
	v_cmp_ne_u32_e32 vcc_lo, 0, v8
	v_cndmask_b32_e32 v3, v3, v4, vcc_lo
	s_delay_alu instid0(VALU_DEP_3) | instskip(NEXT) | instid1(VALU_DEP_2)
	v_cndmask_b32_e32 v6, s9, v6, vcc_lo
	v_xor_b32_e32 v3, s22, v3
	s_delay_alu instid0(VALU_DEP_2) | instskip(NEXT) | instid1(VALU_DEP_2)
	v_xor_b32_e32 v4, s22, v6
	v_sub_co_u32 v3, vcc_lo, v3, s22
	s_delay_alu instid0(VALU_DEP_2)
	v_subrev_co_ci_u32_e32 v4, vcc_lo, s22, v4, vcc_lo
	s_and_not1_b32 vcc_lo, exec_lo, s20
	s_cbranch_vccnz .LBB20_52
.LBB20_51:
	v_cvt_f32_u32_e32 v3, s12
	s_sub_i32 s0, 0, s12
	s_delay_alu instid0(VALU_DEP_1) | instskip(SKIP_2) | instid1(VALU_DEP_1)
	v_rcp_iflag_f32_e32 v3, v3
	s_waitcnt_depctr 0xfff
	v_mul_f32_e32 v3, 0x4f7ffffe, v3
	v_cvt_u32_f32_e32 v3, v3
	s_delay_alu instid0(VALU_DEP_1) | instskip(NEXT) | instid1(VALU_DEP_1)
	v_mul_lo_u32 v4, s0, v3
	v_mul_hi_u32 v4, v3, v4
	s_delay_alu instid0(VALU_DEP_1) | instskip(NEXT) | instid1(VALU_DEP_1)
	v_add_nc_u32_e32 v3, v3, v4
	v_mul_hi_u32 v3, s18, v3
	s_delay_alu instid0(VALU_DEP_1) | instskip(NEXT) | instid1(VALU_DEP_1)
	v_mul_lo_u32 v3, v3, s12
	v_sub_nc_u32_e32 v3, s18, v3
	s_delay_alu instid0(VALU_DEP_1) | instskip(SKIP_1) | instid1(VALU_DEP_2)
	v_subrev_nc_u32_e32 v4, s12, v3
	v_cmp_le_u32_e32 vcc_lo, s12, v3
	v_cndmask_b32_e32 v3, v3, v4, vcc_lo
	s_delay_alu instid0(VALU_DEP_1) | instskip(SKIP_1) | instid1(VALU_DEP_2)
	v_subrev_nc_u32_e32 v4, s12, v3
	v_cmp_le_u32_e32 vcc_lo, s12, v3
	v_dual_cndmask_b32 v3, v3, v4 :: v_dual_mov_b32 v4, 0
.LBB20_52:
	v_div_scale_f32 v6, null, 0x42fe0000, 0x42fe0000, v5
	v_div_scale_f32 v9, vcc_lo, v5, 0x42fe0000, v5
	s_delay_alu instid0(VALU_DEP_3) | instskip(NEXT) | instid1(VALU_DEP_3)
	v_sub_co_u32 v10, s0, s18, v3
	v_rcp_f32_e32 v7, v6
	v_sub_co_ci_u32_e64 v3, s0, s19, v4, s0
	s_lshl_b64 s[0:1], s[16:17], 2
	s_delay_alu instid0(SALU_CYCLE_1) | instskip(NEXT) | instid1(VALU_DEP_1)
	s_add_u32 s0, s0, s6
	v_mul_lo_u32 v11, v3, v1
	s_addc_u32 s1, s1, s7
	s_waitcnt_depctr 0xfff
	v_fma_f32 v8, -v6, v7, 1.0
	s_delay_alu instid0(VALU_DEP_1) | instskip(NEXT) | instid1(VALU_DEP_1)
	v_fmac_f32_e32 v7, v8, v7
	v_mul_f32_e32 v8, v9, v7
	s_delay_alu instid0(VALU_DEP_1) | instskip(NEXT) | instid1(VALU_DEP_1)
	v_fma_f32 v4, -v6, v8, v9
	v_fmac_f32_e32 v8, v4, v7
	v_mul_lo_u32 v4, v10, v2
	v_mad_u64_u32 v[2:3], null, v10, v1, 0
	s_delay_alu instid0(VALU_DEP_3) | instskip(NEXT) | instid1(VALU_DEP_2)
	v_fma_f32 v1, -v6, v8, v9
	v_add3_u32 v3, v3, v4, v11
	s_delay_alu instid0(VALU_DEP_2) | instskip(NEXT) | instid1(VALU_DEP_1)
	v_div_fmas_f32 v1, v1, v7, v8
	v_div_fixup_f32 v4, v1, 0x42fe0000, v5
	s_delay_alu instid0(VALU_DEP_3) | instskip(NEXT) | instid1(VALU_DEP_2)
	v_lshlrev_b64 v[1:2], 2, v[2:3]
	v_max_f32_e32 v3, 0x34000000, v4
	s_delay_alu instid0(VALU_DEP_2) | instskip(NEXT) | instid1(VALU_DEP_3)
	v_add_co_u32 v1, vcc_lo, s0, v1
	v_add_co_ci_u32_e32 v2, vcc_lo, s1, v2, vcc_lo
	global_store_b32 v[1:2], v3, off
.LBB20_53:
	s_or_b32 exec_lo, exec_lo, s3
	s_waitcnt_vscnt null, 0x0
	s_barrier
	buffer_gl0_inv
	s_and_saveexec_b32 s0, s2
	s_cbranch_execz .LBB20_65
; %bb.54:
	s_add_u32 s0, s12, s34
	s_addc_u32 s1, s13, 0
	s_add_u32 s2, s0, -1
	s_addc_u32 s3, s1, -1
	s_delay_alu instid0(SALU_CYCLE_1) | instskip(SKIP_1) | instid1(SALU_CYCLE_1)
	s_or_b64 s[18:19], s[2:3], s[12:13]
	s_mov_b32 s18, 0
	s_cmp_lg_u64 s[18:19], 0
	s_cbranch_scc0 .LBB20_67
; %bb.55:
	s_ashr_i32 s0, s13, 31
	s_delay_alu instid0(SALU_CYCLE_1) | instskip(SKIP_2) | instid1(SALU_CYCLE_1)
	s_add_u32 s20, s12, s0
	s_mov_b32 s1, s0
	s_addc_u32 s21, s13, s0
	s_xor_b64 s[0:1], s[20:21], s[0:1]
	s_delay_alu instid0(SALU_CYCLE_1) | instskip(SKIP_3) | instid1(VALU_DEP_1)
	v_cvt_f32_u32_e32 v1, s0
	v_cvt_f32_u32_e32 v2, s1
	s_sub_u32 s19, 0, s0
	s_subb_u32 s20, 0, s1
	v_fmamk_f32 v1, v2, 0x4f800000, v1
	s_delay_alu instid0(VALU_DEP_1) | instskip(SKIP_2) | instid1(VALU_DEP_1)
	v_rcp_f32_e32 v1, v1
	s_waitcnt_depctr 0xfff
	v_mul_f32_e32 v1, 0x5f7ffffc, v1
	v_mul_f32_e32 v2, 0x2f800000, v1
	s_delay_alu instid0(VALU_DEP_1) | instskip(NEXT) | instid1(VALU_DEP_1)
	v_trunc_f32_e32 v2, v2
	v_fmamk_f32 v1, v2, 0xcf800000, v1
	v_cvt_u32_f32_e32 v2, v2
	s_delay_alu instid0(VALU_DEP_2) | instskip(NEXT) | instid1(VALU_DEP_2)
	v_cvt_u32_f32_e32 v1, v1
	v_readfirstlane_b32 s9, v2
	s_delay_alu instid0(VALU_DEP_2) | instskip(NEXT) | instid1(VALU_DEP_2)
	v_readfirstlane_b32 s13, v1
	s_mul_i32 s21, s19, s9
	s_delay_alu instid0(VALU_DEP_1)
	s_mul_hi_u32 s23, s19, s13
	s_mul_i32 s22, s20, s13
	s_add_i32 s21, s23, s21
	s_mul_i32 s24, s19, s13
	s_add_i32 s21, s21, s22
	s_mul_hi_u32 s23, s13, s24
	s_mul_hi_u32 s25, s9, s24
	s_mul_i32 s22, s9, s24
	s_mul_hi_u32 s24, s13, s21
	s_mul_i32 s13, s13, s21
	s_mul_hi_u32 s26, s9, s21
	s_add_u32 s13, s23, s13
	s_addc_u32 s23, 0, s24
	s_add_u32 s13, s13, s22
	s_mul_i32 s21, s9, s21
	s_addc_u32 s13, s23, s25
	s_addc_u32 s22, s26, 0
	s_add_u32 s13, s13, s21
	s_addc_u32 s21, 0, s22
	v_add_co_u32 v1, s13, v1, s13
	s_delay_alu instid0(VALU_DEP_1) | instskip(SKIP_1) | instid1(VALU_DEP_1)
	s_cmp_lg_u32 s13, 0
	s_addc_u32 s9, s9, s21
	v_readfirstlane_b32 s13, v1
	s_mul_i32 s21, s19, s9
	s_delay_alu instid0(VALU_DEP_1)
	s_mul_hi_u32 s22, s19, s13
	s_mul_i32 s20, s20, s13
	s_add_i32 s21, s22, s21
	s_mul_i32 s19, s19, s13
	s_add_i32 s21, s21, s20
	s_mul_hi_u32 s22, s9, s19
	s_mul_i32 s23, s9, s19
	s_mul_hi_u32 s19, s13, s19
	s_mul_hi_u32 s24, s13, s21
	s_mul_i32 s13, s13, s21
	s_mul_hi_u32 s20, s9, s21
	s_add_u32 s13, s19, s13
	s_addc_u32 s19, 0, s24
	s_add_u32 s13, s13, s23
	s_mul_i32 s21, s9, s21
	s_addc_u32 s13, s19, s22
	s_addc_u32 s19, s20, 0
	s_add_u32 s13, s13, s21
	s_addc_u32 s19, 0, s19
	v_add_co_u32 v1, s13, v1, s13
	s_delay_alu instid0(VALU_DEP_1) | instskip(SKIP_2) | instid1(VALU_DEP_1)
	s_cmp_lg_u32 s13, 0
	s_addc_u32 s9, s9, s19
	s_ashr_i32 s20, s3, 31
	v_readfirstlane_b32 s13, v1
	s_add_u32 s22, s2, s20
	s_mov_b32 s21, s20
	s_addc_u32 s23, s3, s20
	s_delay_alu instid0(SALU_CYCLE_1) | instskip(NEXT) | instid1(SALU_CYCLE_1)
	s_xor_b64 s[22:23], s[22:23], s[20:21]
	s_mul_i32 s21, s22, s9
	s_mul_hi_u32 s24, s22, s13
	s_mul_hi_u32 s19, s22, s9
	;; [unrolled: 1-line block ×3, first 2 shown]
	s_mul_i32 s13, s23, s13
	s_add_u32 s21, s24, s21
	s_addc_u32 s19, 0, s19
	s_mul_hi_u32 s25, s23, s9
	s_add_u32 s13, s21, s13
	s_mul_i32 s9, s23, s9
	s_addc_u32 s13, s19, s26
	s_addc_u32 s19, s25, 0
	s_add_u32 s9, s13, s9
	s_addc_u32 s13, 0, s19
	s_mul_hi_u32 s19, s0, s9
	s_mul_i32 s13, s0, s13
	s_mul_i32 s21, s1, s9
	;; [unrolled: 1-line block ×3, first 2 shown]
	s_add_i32 s13, s19, s13
	v_sub_co_u32 v1, s9, s22, s9
	s_add_i32 s13, s13, s21
	s_delay_alu instid0(SALU_CYCLE_1) | instskip(SKIP_1) | instid1(VALU_DEP_1)
	s_sub_i32 s19, s23, s13
	s_cmp_lg_u32 s9, 0
	v_sub_co_u32 v2, s21, v1, s0
	s_subb_u32 s19, s19, s1
	s_cmp_lg_u32 s21, 0
	s_subb_u32 s22, s19, 0
	s_delay_alu instid0(VALU_DEP_1)
	v_cmp_le_u32_e32 vcc_lo, s0, v2
	s_cmp_ge_u32 s22, s1
	s_cselect_b32 s24, -1, 0
	s_cmp_eq_u32 s22, s1
	v_cndmask_b32_e64 v3, 0, -1, vcc_lo
	s_cselect_b32 vcc_lo, -1, 0
	s_cmp_lg_u32 s21, 0
	v_sub_co_u32 v4, s21, v2, s0
	s_subb_u32 s19, s19, s1
	s_cmp_lg_u32 s21, 0
	v_cndmask_b32_e32 v3, s24, v3, vcc_lo
	s_subb_u32 s19, s19, 0
	s_cmp_lg_u32 s9, 0
	v_cmp_le_u32_e32 vcc_lo, s0, v1
	s_subb_u32 s9, s23, s13
	s_delay_alu instid0(SALU_CYCLE_1)
	s_cmp_ge_u32 s9, s1
	v_cndmask_b32_e64 v5, 0, -1, vcc_lo
	s_cselect_b32 s13, -1, 0
	s_cmp_eq_u32 s9, s1
	v_cmp_ne_u32_e32 vcc_lo, 0, v3
	v_mov_b32_e32 v3, s19
	s_cselect_b32 s0, -1, 0
	s_delay_alu instid0(SALU_CYCLE_1) | instskip(SKIP_1) | instid1(VALU_DEP_3)
	v_cndmask_b32_e64 v5, s13, v5, s0
	v_cndmask_b32_e32 v2, v2, v4, vcc_lo
	v_cndmask_b32_e32 v3, s22, v3, vcc_lo
	s_delay_alu instid0(VALU_DEP_3) | instskip(NEXT) | instid1(VALU_DEP_3)
	v_cmp_ne_u32_e32 vcc_lo, 0, v5
	v_cndmask_b32_e32 v1, v1, v2, vcc_lo
	s_delay_alu instid0(VALU_DEP_3) | instskip(NEXT) | instid1(VALU_DEP_2)
	v_cndmask_b32_e32 v3, s9, v3, vcc_lo
	v_xor_b32_e32 v1, s20, v1
	s_delay_alu instid0(VALU_DEP_2) | instskip(NEXT) | instid1(VALU_DEP_2)
	v_xor_b32_e32 v2, s20, v3
	v_sub_co_u32 v1, vcc_lo, v1, s20
	s_delay_alu instid0(VALU_DEP_2)
	v_subrev_co_ci_u32_e32 v2, vcc_lo, s20, v2, vcc_lo
	s_and_not1_b32 vcc_lo, exec_lo, s18
	s_cbranch_vccnz .LBB20_57
.LBB20_56:
	v_cvt_f32_u32_e32 v1, s12
	s_sub_i32 s0, 0, s12
	s_delay_alu instid0(VALU_DEP_1) | instskip(SKIP_2) | instid1(VALU_DEP_1)
	v_rcp_iflag_f32_e32 v1, v1
	s_waitcnt_depctr 0xfff
	v_mul_f32_e32 v1, 0x4f7ffffe, v1
	v_cvt_u32_f32_e32 v1, v1
	s_delay_alu instid0(VALU_DEP_1) | instskip(NEXT) | instid1(VALU_DEP_1)
	v_mul_lo_u32 v2, s0, v1
	v_mul_hi_u32 v2, v1, v2
	s_delay_alu instid0(VALU_DEP_1) | instskip(NEXT) | instid1(VALU_DEP_1)
	v_add_nc_u32_e32 v1, v1, v2
	v_mul_hi_u32 v1, s2, v1
	s_delay_alu instid0(VALU_DEP_1) | instskip(NEXT) | instid1(VALU_DEP_1)
	v_mul_lo_u32 v1, v1, s12
	v_sub_nc_u32_e32 v1, s2, v1
	s_delay_alu instid0(VALU_DEP_1) | instskip(SKIP_1) | instid1(VALU_DEP_2)
	v_subrev_nc_u32_e32 v2, s12, v1
	v_cmp_le_u32_e32 vcc_lo, s12, v1
	v_cndmask_b32_e32 v1, v1, v2, vcc_lo
	s_delay_alu instid0(VALU_DEP_1) | instskip(SKIP_1) | instid1(VALU_DEP_2)
	v_subrev_nc_u32_e32 v2, s12, v1
	v_cmp_le_u32_e32 vcc_lo, s12, v1
	v_dual_cndmask_b32 v1, v1, v2 :: v_dual_mov_b32 v2, 0
.LBB20_57:
	s_delay_alu instid0(VALU_DEP_1)
	v_sub_co_u32 v5, vcc_lo, s2, v1
	s_add_u32 s0, s4, s14
	s_addc_u32 s1, s5, s15
	s_lshl_b64 s[4:5], s[16:17], 2
	v_sub_co_ci_u32_e32 v6, vcc_lo, s3, v2, vcc_lo
	v_mov_b32_e32 v1, 0
	s_add_u32 s4, s6, s4
	s_addc_u32 s5, s7, s5
	s_mul_i32 s2, s33, 3
	s_lshl_b32 s3, s33, 1
	s_mov_b32 s6, 0
	s_add_i32 s7, s33, s33
                                        ; implicit-def: $sgpr9
	s_branch .LBB20_61
.LBB20_58:                              ;   in Loop: Header=BB20_61 Depth=1
	s_or_b32 exec_lo, exec_lo, s14
	s_delay_alu instid0(SALU_CYCLE_1)
	s_or_not1_b32 s14, s15, exec_lo
.LBB20_59:                              ;   in Loop: Header=BB20_61 Depth=1
	s_or_b32 exec_lo, exec_lo, s13
	s_delay_alu instid0(SALU_CYCLE_1) | instskip(SKIP_1) | instid1(SALU_CYCLE_1)
	s_and_not1_b32 s9, s9, exec_lo
	s_and_b32 s13, s14, exec_lo
	s_or_b32 s9, s9, s13
.LBB20_60:                              ;   in Loop: Header=BB20_61 Depth=1
	s_or_b32 exec_lo, exec_lo, s12
	s_delay_alu instid0(SALU_CYCLE_1) | instskip(NEXT) | instid1(SALU_CYCLE_1)
	s_and_b32 s12, exec_lo, s9
	s_or_b32 s6, s12, s6
	s_delay_alu instid0(SALU_CYCLE_1)
	s_and_not1_b32 exec_lo, exec_lo, s6
	s_cbranch_execz .LBB20_65
.LBB20_61:                              ; =>This Inner Loop Header: Depth=1
	v_bfe_u32 v4, v0, 5, 25
	s_or_b32 s9, s9, exec_lo
	s_mov_b32 s12, exec_lo
	s_delay_alu instid0(VALU_DEP_1) | instskip(NEXT) | instid1(VALU_DEP_1)
	v_mad_u64_u32 v[2:3], null, v5, v4, 0
	v_mad_u64_u32 v[7:8], null, v6, v4, v[3:4]
	s_delay_alu instid0(VALU_DEP_1) | instskip(NEXT) | instid1(VALU_DEP_1)
	v_mov_b32_e32 v3, v7
	v_lshlrev_b64 v[2:3], 2, v[2:3]
	s_delay_alu instid0(VALU_DEP_1) | instskip(NEXT) | instid1(VALU_DEP_2)
	v_add_co_u32 v2, vcc_lo, s4, v2
	v_add_co_ci_u32_e32 v3, vcc_lo, s5, v3, vcc_lo
	global_load_b32 v4, v[2:3], off
	v_lshlrev_b64 v[2:3], 4, v[0:1]
	s_delay_alu instid0(VALU_DEP_1) | instskip(NEXT) | instid1(VALU_DEP_2)
	v_add_co_u32 v7, vcc_lo, s28, v2
	v_add_co_ci_u32_e32 v8, vcc_lo, s29, v3, vcc_lo
	v_add_co_u32 v19, vcc_lo, s30, v2
	v_add_co_ci_u32_e32 v20, vcc_lo, s31, v3, vcc_lo
	global_load_b128 v[7:10], v[7:8], off
	global_load_b128 v[11:14], v[19:20], off
	v_add_co_u32 v2, vcc_lo, s10, v2
	v_add_co_ci_u32_e32 v3, vcc_lo, s11, v3, vcc_lo
	global_load_b128 v[15:18], v[2:3], off
	s_waitcnt vmcnt(3)
	v_div_scale_f32 v2, null, v4, v4, 1.0
	v_div_scale_f32 v22, vcc_lo, 1.0, v4, 1.0
	s_delay_alu instid0(VALU_DEP_2) | instskip(SKIP_4) | instid1(VALU_DEP_2)
	v_rcp_f32_e32 v3, v2
	s_waitcnt_depctr 0xfff
	v_fma_f32 v21, -v2, v3, 1.0
	s_waitcnt vmcnt(1)
	v_add_f32_e32 v8, v8, v12
	v_dual_add_f32 v10, v10, v14 :: v_dual_fmac_f32 v3, v21, v3
	s_delay_alu instid0(VALU_DEP_1) | instskip(NEXT) | instid1(VALU_DEP_1)
	v_dual_mul_f32 v12, v28, v8 :: v_dual_mul_f32 v21, v22, v3
	v_fma_f32 v23, -v2, v21, v22
	s_delay_alu instid0(VALU_DEP_1) | instskip(NEXT) | instid1(VALU_DEP_1)
	v_fmac_f32_e32 v21, v23, v3
	v_fma_f32 v2, -v2, v21, v22
	s_delay_alu instid0(VALU_DEP_1) | instskip(NEXT) | instid1(VALU_DEP_1)
	v_div_fmas_f32 v2, v2, v3, v21
	v_div_fixup_f32 v2, v2, v4, 1.0
	s_waitcnt vmcnt(0)
	v_dual_mul_f32 v4, v16, v12 :: v_dual_add_f32 v9, v9, v13
	v_mul_f32_e32 v13, v28, v10
	s_delay_alu instid0(VALU_DEP_2) | instskip(NEXT) | instid1(VALU_DEP_1)
	v_dual_add_f32 v7, v7, v11 :: v_dual_mul_f32 v4, v4, v2
	v_dual_mul_f32 v12, v18, v13 :: v_dual_mul_f32 v3, v28, v7
	global_store_b128 v[19:20], v[7:10], off
	v_rndne_f32_e32 v4, v4
	v_mul_f32_e32 v11, v28, v9
	v_mul_f32_e32 v3, v15, v3
	s_delay_alu instid0(VALU_DEP_2) | instskip(NEXT) | instid1(VALU_DEP_2)
	v_mul_f32_e32 v11, v17, v11
	v_mul_f32_e32 v3, v3, v2
	s_delay_alu instid0(VALU_DEP_2) | instskip(SKIP_1) | instid1(VALU_DEP_3)
	v_mul_f32_e32 v11, v11, v2
	v_mul_f32_e32 v2, v12, v2
	v_rndne_f32_e32 v3, v3
	s_delay_alu instid0(VALU_DEP_3) | instskip(NEXT) | instid1(VALU_DEP_3)
	v_rndne_f32_e32 v11, v11
	v_rndne_f32_e32 v2, v2
	s_delay_alu instid0(VALU_DEP_2)
	v_cmp_nlt_f32_e32 vcc_lo, 0x42fe0000, v11
	v_cndmask_b32_e32 v12, 0x42fe0000, v11, vcc_lo
	v_cmp_nlt_f32_e32 vcc_lo, 0x42fe0000, v3
	v_cndmask_b32_e32 v13, 0x42fe0000, v3, vcc_lo
	;; [unrolled: 2-line block ×3, first 2 shown]
	v_cmp_ngt_f32_e32 vcc_lo, 0xc3000000, v11
	v_cndmask_b32_e32 v11, 0xc3000000, v12, vcc_lo
	v_cmp_nlt_f32_e32 vcc_lo, 0x42fe0000, v2
	s_delay_alu instid0(VALU_DEP_2) | instskip(SKIP_2) | instid1(VALU_DEP_3)
	v_cvt_i32_f32_e32 v11, v11
	v_cndmask_b32_e32 v12, 0x42fe0000, v2, vcc_lo
	v_cmp_ngt_f32_e32 vcc_lo, 0xc3000000, v4
	v_and_b32_e32 v11, 0xff, v11
	v_cndmask_b32_e32 v4, 0xc3000000, v14, vcc_lo
	v_cmp_ngt_f32_e32 vcc_lo, 0xc3000000, v3
	s_delay_alu instid0(VALU_DEP_3) | instskip(NEXT) | instid1(VALU_DEP_3)
	v_lshlrev_b32_e32 v11, 16, v11
	v_cvt_i32_f32_e32 v4, v4
	v_cndmask_b32_e32 v3, 0xc3000000, v13, vcc_lo
	v_cmp_ngt_f32_e32 vcc_lo, 0xc3000000, v2
	s_delay_alu instid0(VALU_DEP_3) | instskip(SKIP_1) | instid1(VALU_DEP_4)
	v_and_b32_e32 v13, 0xff, v4
	v_cndmask_b32_e32 v2, 0xc3000000, v12, vcc_lo
	v_cvt_i32_f32_e32 v12, v3
	v_lshlrev_b64 v[3:4], 2, v[0:1]
	s_delay_alu instid0(VALU_DEP_4) | instskip(NEXT) | instid1(VALU_DEP_4)
	v_lshlrev_b32_e32 v13, 8, v13
	v_cvt_i32_f32_e32 v2, v2
	s_delay_alu instid0(VALU_DEP_4) | instskip(NEXT) | instid1(VALU_DEP_4)
	v_and_b32_e32 v12, 0xff, v12
	v_add_co_u32 v3, vcc_lo, s0, v3
	s_delay_alu instid0(VALU_DEP_3) | instskip(SKIP_2) | instid1(VALU_DEP_3)
	v_lshl_or_b32 v11, v2, 24, v11
	v_add_nc_u32_e32 v2, s33, v0
	v_add_co_ci_u32_e32 v4, vcc_lo, s1, v4, vcc_lo
	v_or3_b32 v11, v11, v13, v12
	global_store_b32 v[3:4], v11, off
	v_cmpx_gt_u32_e64 s8, v2
	s_cbranch_execz .LBB20_60
; %bb.62:                               ;   in Loop: Header=BB20_61 Depth=1
	v_bfe_u32 v9, v2, 5, 25
	s_mov_b32 s14, -1
	s_mov_b32 s13, exec_lo
	s_delay_alu instid0(VALU_DEP_1) | instskip(NEXT) | instid1(VALU_DEP_1)
	v_mad_u64_u32 v[3:4], null, v5, v9, 0
	v_mad_u64_u32 v[7:8], null, v6, v9, v[4:5]
	s_delay_alu instid0(VALU_DEP_1) | instskip(NEXT) | instid1(VALU_DEP_1)
	v_mov_b32_e32 v4, v7
	v_lshlrev_b64 v[3:4], 2, v[3:4]
	s_delay_alu instid0(VALU_DEP_1) | instskip(NEXT) | instid1(VALU_DEP_2)
	v_add_co_u32 v3, vcc_lo, s4, v3
	v_add_co_ci_u32_e32 v4, vcc_lo, s5, v4, vcc_lo
	global_load_b32 v4, v[3:4], off
	v_mov_b32_e32 v3, v1
	s_delay_alu instid0(VALU_DEP_1) | instskip(NEXT) | instid1(VALU_DEP_1)
	v_lshlrev_b64 v[15:16], 4, v[2:3]
	v_add_co_u32 v7, vcc_lo, s28, v15
	s_delay_alu instid0(VALU_DEP_2)
	v_add_co_ci_u32_e32 v8, vcc_lo, s29, v16, vcc_lo
	v_add_co_u32 v19, vcc_lo, s30, v15
	v_add_co_ci_u32_e32 v20, vcc_lo, s31, v16, vcc_lo
	global_load_b128 v[7:10], v[7:8], off
	global_load_b128 v[11:14], v[19:20], off
	v_add_co_u32 v15, vcc_lo, s10, v15
	v_add_co_ci_u32_e32 v16, vcc_lo, s11, v16, vcc_lo
	global_load_b128 v[15:18], v[15:16], off
	s_waitcnt vmcnt(3)
	v_div_scale_f32 v21, null, v4, v4, 1.0
	v_div_scale_f32 v24, vcc_lo, 1.0, v4, 1.0
	s_delay_alu instid0(VALU_DEP_2) | instskip(SKIP_3) | instid1(VALU_DEP_1)
	v_rcp_f32_e32 v22, v21
	s_waitcnt_depctr 0xfff
	v_fma_f32 v23, -v21, v22, 1.0
	s_waitcnt vmcnt(1)
	v_dual_fmac_f32 v22, v23, v22 :: v_dual_add_f32 v9, v9, v13
	v_dual_add_f32 v7, v7, v11 :: v_dual_add_f32 v8, v8, v12
	v_add_f32_e32 v10, v10, v14
	s_delay_alu instid0(VALU_DEP_3) | instskip(NEXT) | instid1(VALU_DEP_4)
	v_mul_f32_e32 v12, v28, v9
	v_mul_f32_e32 v23, v24, v22
	s_delay_alu instid0(VALU_DEP_4)
	v_mul_f32_e32 v13, v28, v7
	global_store_b128 v[19:20], v[7:10], off
	v_mul_f32_e32 v14, v28, v8
	s_waitcnt vmcnt(0)
	v_mul_f32_e32 v12, v17, v12
	v_fma_f32 v25, -v21, v23, v24
	s_delay_alu instid0(VALU_DEP_1) | instskip(NEXT) | instid1(VALU_DEP_1)
	v_fmac_f32_e32 v23, v25, v22
	v_fma_f32 v11, -v21, v23, v24
	s_delay_alu instid0(VALU_DEP_1) | instskip(NEXT) | instid1(VALU_DEP_1)
	v_div_fmas_f32 v11, v11, v22, v23
	v_div_fixup_f32 v4, v11, v4, 1.0
	v_mul_f32_e32 v11, v15, v13
	v_mul_f32_e32 v21, v28, v10
	;; [unrolled: 1-line block ×3, first 2 shown]
	s_delay_alu instid0(VALU_DEP_4) | instskip(NEXT) | instid1(VALU_DEP_3)
	v_mul_f32_e32 v12, v12, v4
	v_dual_mul_f32 v11, v11, v4 :: v_dual_mul_f32 v14, v18, v21
	s_delay_alu instid0(VALU_DEP_3) | instskip(NEXT) | instid1(VALU_DEP_3)
	v_mul_f32_e32 v13, v13, v4
	v_rndne_f32_e32 v12, v12
	s_delay_alu instid0(VALU_DEP_3) | instskip(NEXT) | instid1(VALU_DEP_4)
	v_rndne_f32_e32 v11, v11
	v_mul_f32_e32 v4, v14, v4
	s_delay_alu instid0(VALU_DEP_4) | instskip(NEXT) | instid1(VALU_DEP_4)
	v_rndne_f32_e32 v13, v13
	v_cmp_nlt_f32_e32 vcc_lo, 0x42fe0000, v12
	s_delay_alu instid0(VALU_DEP_3)
	v_rndne_f32_e32 v4, v4
	v_cndmask_b32_e32 v14, 0x42fe0000, v12, vcc_lo
	v_cmp_nlt_f32_e32 vcc_lo, 0x42fe0000, v11
	v_cndmask_b32_e32 v15, 0x42fe0000, v11, vcc_lo
	v_cmp_nlt_f32_e32 vcc_lo, 0x42fe0000, v13
	v_cndmask_b32_e32 v16, 0x42fe0000, v13, vcc_lo
	v_cmp_ngt_f32_e32 vcc_lo, 0xc3000000, v12
	v_cndmask_b32_e32 v12, 0xc3000000, v14, vcc_lo
	v_cmp_nlt_f32_e32 vcc_lo, 0x42fe0000, v4
	s_delay_alu instid0(VALU_DEP_2) | instskip(SKIP_2) | instid1(VALU_DEP_3)
	v_cvt_i32_f32_e32 v12, v12
	v_cndmask_b32_e32 v14, 0x42fe0000, v4, vcc_lo
	v_cmp_ngt_f32_e32 vcc_lo, 0xc3000000, v13
	v_and_b32_e32 v12, 0xff, v12
	v_cndmask_b32_e32 v13, 0xc3000000, v16, vcc_lo
	v_cmp_ngt_f32_e32 vcc_lo, 0xc3000000, v11
	s_delay_alu instid0(VALU_DEP_2) | instskip(SKIP_3) | instid1(VALU_DEP_4)
	v_cvt_i32_f32_e32 v13, v13
	v_cndmask_b32_e32 v11, 0xc3000000, v15, vcc_lo
	v_lshlrev_b32_e32 v15, 16, v12
	v_cmp_ngt_f32_e32 vcc_lo, 0xc3000000, v4
	v_and_b32_e32 v13, 0xff, v13
	v_cndmask_b32_e32 v4, 0xc3000000, v14, vcc_lo
	v_cvt_i32_f32_e32 v14, v11
	v_lshlrev_b64 v[11:12], 2, v[2:3]
	s_delay_alu instid0(VALU_DEP_4) | instskip(SKIP_4) | instid1(VALU_DEP_3)
	v_lshlrev_b32_e32 v13, 8, v13
	v_add_nc_u32_e32 v3, s3, v0
	v_cvt_i32_f32_e32 v4, v4
	v_and_b32_e32 v14, 0xff, v14
	v_add_co_u32 v11, vcc_lo, s0, v11
	v_lshl_or_b32 v4, v4, 24, v15
	v_add_co_ci_u32_e32 v12, vcc_lo, s1, v12, vcc_lo
	s_delay_alu instid0(VALU_DEP_2)
	v_or3_b32 v4, v4, v13, v14
	global_store_b32 v[11:12], v4, off
	v_cmpx_gt_u32_e64 s8, v3
	s_cbranch_execz .LBB20_59
; %bb.63:                               ;   in Loop: Header=BB20_61 Depth=1
	v_bfe_u32 v10, v3, 5, 25
	v_add_nc_u32_e32 v0, s2, v0
	s_mov_b32 s15, -1
	s_mov_b32 s14, exec_lo
	s_delay_alu instid0(VALU_DEP_2) | instskip(NEXT) | instid1(VALU_DEP_1)
	v_mad_u64_u32 v[7:8], null, v5, v10, 0
	v_mov_b32_e32 v4, v8
	s_delay_alu instid0(VALU_DEP_1) | instskip(NEXT) | instid1(VALU_DEP_1)
	v_mad_u64_u32 v[8:9], null, v6, v10, v[4:5]
	v_lshlrev_b64 v[7:8], 2, v[7:8]
	s_delay_alu instid0(VALU_DEP_1) | instskip(NEXT) | instid1(VALU_DEP_2)
	v_add_co_u32 v7, vcc_lo, s4, v7
	v_add_co_ci_u32_e32 v8, vcc_lo, s5, v8, vcc_lo
	global_load_b32 v21, v[7:8], off
	s_waitcnt vmcnt(0)
	v_div_scale_f32 v22, null, v21, v21, 1.0
	s_delay_alu instid0(VALU_DEP_1) | instskip(SKIP_2) | instid1(VALU_DEP_1)
	v_rcp_f32_e32 v23, v22
	s_waitcnt_depctr 0xfff
	v_fma_f32 v24, -v22, v23, 1.0
	v_dual_mov_b32 v4, v1 :: v_dual_fmac_f32 v23, v24, v23
	s_delay_alu instid0(VALU_DEP_1) | instskip(SKIP_1) | instid1(VALU_DEP_2)
	v_lshlrev_b64 v[15:16], 4, v[3:4]
	v_lshlrev_b64 v[3:4], 2, v[3:4]
	v_add_co_u32 v7, vcc_lo, s28, v15
	s_delay_alu instid0(VALU_DEP_3)
	v_add_co_ci_u32_e32 v8, vcc_lo, s29, v16, vcc_lo
	v_add_co_u32 v19, vcc_lo, s30, v15
	v_add_co_ci_u32_e32 v20, vcc_lo, s31, v16, vcc_lo
	global_load_b128 v[7:10], v[7:8], off
	global_load_b128 v[11:14], v[19:20], off
	v_add_co_u32 v15, vcc_lo, s10, v15
	v_add_co_ci_u32_e32 v16, vcc_lo, s11, v16, vcc_lo
	v_div_scale_f32 v25, vcc_lo, 1.0, v21, 1.0
	global_load_b128 v[15:18], v[15:16], off
	s_waitcnt vmcnt(1)
	v_dual_add_f32 v7, v7, v11 :: v_dual_add_f32 v8, v8, v12
	v_dual_add_f32 v9, v9, v13 :: v_dual_add_f32 v10, v10, v14
	s_delay_alu instid0(VALU_DEP_2)
	v_mul_f32_e32 v13, v28, v7
	v_mul_f32_e32 v24, v25, v23
	global_store_b128 v[19:20], v[7:10], off
	s_waitcnt vmcnt(0)
	v_mul_f32_e32 v13, v15, v13
	v_fma_f32 v26, -v22, v24, v25
	s_delay_alu instid0(VALU_DEP_1) | instskip(NEXT) | instid1(VALU_DEP_1)
	v_fmac_f32_e32 v24, v26, v23
	v_fma_f32 v11, -v22, v24, v25
	s_delay_alu instid0(VALU_DEP_1) | instskip(NEXT) | instid1(VALU_DEP_1)
	v_div_fmas_f32 v11, v11, v23, v24
	v_div_fixup_f32 v11, v11, v21, 1.0
	v_mul_f32_e32 v14, v28, v8
	v_mul_f32_e32 v22, v28, v10
	s_delay_alu instid0(VALU_DEP_3) | instskip(NEXT) | instid1(VALU_DEP_3)
	v_dual_mul_f32 v12, v28, v9 :: v_dual_mul_f32 v13, v13, v11
	v_mul_f32_e32 v14, v16, v14
	s_delay_alu instid0(VALU_DEP_3) | instskip(NEXT) | instid1(VALU_DEP_3)
	v_mul_f32_e32 v15, v18, v22
	v_rndne_f32_e32 v13, v13
	s_delay_alu instid0(VALU_DEP_3) | instskip(NEXT) | instid1(VALU_DEP_1)
	v_mul_f32_e32 v14, v14, v11
	v_rndne_f32_e32 v14, v14
	v_mul_f32_e32 v12, v17, v12
	s_delay_alu instid0(VALU_DEP_1) | instskip(SKIP_1) | instid1(VALU_DEP_2)
	v_mul_f32_e32 v12, v12, v11
	v_mul_f32_e32 v11, v15, v11
	v_rndne_f32_e32 v12, v12
	s_delay_alu instid0(VALU_DEP_2) | instskip(NEXT) | instid1(VALU_DEP_2)
	v_rndne_f32_e32 v11, v11
	v_cmp_nlt_f32_e32 vcc_lo, 0x42fe0000, v12
	v_cndmask_b32_e32 v15, 0x42fe0000, v12, vcc_lo
	v_cmp_nlt_f32_e32 vcc_lo, 0x42fe0000, v13
	v_cndmask_b32_e32 v16, 0x42fe0000, v13, vcc_lo
	;; [unrolled: 2-line block ×3, first 2 shown]
	v_cmp_ngt_f32_e32 vcc_lo, 0xc3000000, v12
	v_cndmask_b32_e32 v12, 0xc3000000, v15, vcc_lo
	v_cmp_nlt_f32_e32 vcc_lo, 0x42fe0000, v11
	s_delay_alu instid0(VALU_DEP_2) | instskip(SKIP_2) | instid1(VALU_DEP_3)
	v_cvt_i32_f32_e32 v12, v12
	v_cndmask_b32_e32 v15, 0x42fe0000, v11, vcc_lo
	v_cmp_ngt_f32_e32 vcc_lo, 0xc3000000, v14
	v_and_b32_e32 v12, 0xff, v12
	v_cndmask_b32_e32 v14, 0xc3000000, v17, vcc_lo
	v_cmp_ngt_f32_e32 vcc_lo, 0xc3000000, v13
	s_delay_alu instid0(VALU_DEP_3) | instskip(NEXT) | instid1(VALU_DEP_3)
	v_lshlrev_b32_e32 v12, 16, v12
	v_cvt_i32_f32_e32 v14, v14
	v_cndmask_b32_e32 v13, 0xc3000000, v16, vcc_lo
	v_cmp_ngt_f32_e32 vcc_lo, 0xc3000000, v11
	s_delay_alu instid0(VALU_DEP_3) | instskip(NEXT) | instid1(VALU_DEP_3)
	v_and_b32_e32 v14, 0xff, v14
	v_cvt_i32_f32_e32 v13, v13
	v_cndmask_b32_e32 v11, 0xc3000000, v15, vcc_lo
	v_add_co_u32 v3, vcc_lo, s0, v3
	s_delay_alu instid0(VALU_DEP_4) | instskip(NEXT) | instid1(VALU_DEP_4)
	v_lshlrev_b32_e32 v14, 8, v14
	v_and_b32_e32 v13, 0xff, v13
	s_delay_alu instid0(VALU_DEP_4) | instskip(SKIP_1) | instid1(VALU_DEP_2)
	v_cvt_i32_f32_e32 v11, v11
	v_add_co_ci_u32_e32 v4, vcc_lo, s1, v4, vcc_lo
	v_lshl_or_b32 v11, v11, 24, v12
	s_delay_alu instid0(VALU_DEP_1)
	v_or3_b32 v11, v11, v14, v13
	global_store_b32 v[3:4], v11, off
	v_cmpx_gt_u32_e64 s8, v0
	s_cbranch_execz .LBB20_58
; %bb.64:                               ;   in Loop: Header=BB20_61 Depth=1
	v_bfe_u32 v9, v0, 5, 25
	s_delay_alu instid0(VALU_DEP_1) | instskip(NEXT) | instid1(VALU_DEP_1)
	v_mad_u64_u32 v[3:4], null, v5, v9, 0
	v_mad_u64_u32 v[7:8], null, v6, v9, v[4:5]
	s_delay_alu instid0(VALU_DEP_1) | instskip(NEXT) | instid1(VALU_DEP_1)
	v_mov_b32_e32 v4, v7
	v_lshlrev_b64 v[3:4], 2, v[3:4]
	s_delay_alu instid0(VALU_DEP_1) | instskip(NEXT) | instid1(VALU_DEP_2)
	v_add_co_u32 v3, vcc_lo, s4, v3
	v_add_co_ci_u32_e32 v4, vcc_lo, s5, v4, vcc_lo
	global_load_b32 v21, v[3:4], off
	v_lshlrev_b64 v[3:4], 4, v[0:1]
	s_delay_alu instid0(VALU_DEP_1) | instskip(NEXT) | instid1(VALU_DEP_2)
	v_add_co_u32 v7, vcc_lo, s28, v3
	v_add_co_ci_u32_e32 v8, vcc_lo, s29, v4, vcc_lo
	v_add_co_u32 v19, vcc_lo, s30, v3
	v_add_co_ci_u32_e32 v20, vcc_lo, s31, v4, vcc_lo
	global_load_b128 v[7:10], v[7:8], off
	global_load_b128 v[11:14], v[19:20], off
	v_add_co_u32 v3, vcc_lo, s10, v3
	v_add_co_ci_u32_e32 v4, vcc_lo, s11, v4, vcc_lo
	global_load_b128 v[15:18], v[3:4], off
	s_waitcnt vmcnt(3)
	v_div_scale_f32 v3, null, v21, v21, 1.0
	v_div_scale_f32 v23, vcc_lo, 1.0, v21, 1.0
	s_delay_alu instid0(VALU_DEP_2) | instskip(SKIP_4) | instid1(VALU_DEP_2)
	v_rcp_f32_e32 v4, v3
	s_waitcnt_depctr 0xfff
	v_fma_f32 v22, -v3, v4, 1.0
	s_waitcnt vmcnt(1)
	v_add_f32_e32 v9, v9, v13
	v_dual_add_f32 v7, v7, v11 :: v_dual_fmac_f32 v4, v22, v4
	s_delay_alu instid0(VALU_DEP_1) | instskip(SKIP_1) | instid1(VALU_DEP_1)
	v_dual_mul_f32 v11, v28, v9 :: v_dual_mul_f32 v22, v23, v4
	s_waitcnt vmcnt(0)
	v_mul_f32_e32 v11, v17, v11
	s_delay_alu instid0(VALU_DEP_2) | instskip(NEXT) | instid1(VALU_DEP_1)
	v_fma_f32 v24, -v3, v22, v23
	v_fmac_f32_e32 v22, v24, v4
	s_delay_alu instid0(VALU_DEP_1) | instskip(NEXT) | instid1(VALU_DEP_1)
	v_fma_f32 v3, -v3, v22, v23
	v_div_fmas_f32 v3, v3, v4, v22
	s_delay_alu instid0(VALU_DEP_1) | instskip(NEXT) | instid1(VALU_DEP_1)
	v_div_fixup_f32 v3, v3, v21, 1.0
	v_dual_add_f32 v10, v10, v14 :: v_dual_mul_f32 v11, v11, v3
	s_delay_alu instid0(VALU_DEP_1) | instskip(SKIP_1) | instid1(VALU_DEP_3)
	v_mul_f32_e32 v13, v28, v10
	v_add_f32_e32 v8, v8, v12
	v_rndne_f32_e32 v11, v11
	s_delay_alu instid0(VALU_DEP_2) | instskip(SKIP_3) | instid1(VALU_DEP_1)
	v_dual_mul_f32 v13, v18, v13 :: v_dual_mul_f32 v12, v28, v8
	global_store_b128 v[19:20], v[7:10], off
	v_cmp_nlt_f32_e32 vcc_lo, 0x42fe0000, v11
	v_mul_f32_e32 v12, v16, v12
	v_mul_f32_e32 v12, v12, v3
	s_delay_alu instid0(VALU_DEP_1) | instskip(SKIP_1) | instid1(VALU_DEP_1)
	v_rndne_f32_e32 v12, v12
	v_mul_f32_e32 v4, v28, v7
	v_mul_f32_e32 v4, v15, v4
	s_delay_alu instid0(VALU_DEP_1) | instskip(SKIP_2) | instid1(VALU_DEP_3)
	v_mul_f32_e32 v4, v4, v3
	v_mul_f32_e32 v3, v13, v3
	v_cndmask_b32_e32 v13, 0x42fe0000, v11, vcc_lo
	v_rndne_f32_e32 v4, v4
	s_delay_alu instid0(VALU_DEP_3) | instskip(NEXT) | instid1(VALU_DEP_2)
	v_rndne_f32_e32 v3, v3
	v_cmp_nlt_f32_e32 vcc_lo, 0x42fe0000, v4
	v_cndmask_b32_e32 v14, 0x42fe0000, v4, vcc_lo
	v_cmp_nlt_f32_e32 vcc_lo, 0x42fe0000, v12
	v_cndmask_b32_e32 v15, 0x42fe0000, v12, vcc_lo
	v_cmp_ngt_f32_e32 vcc_lo, 0xc3000000, v11
	v_cndmask_b32_e32 v11, 0xc3000000, v13, vcc_lo
	v_cmp_nlt_f32_e32 vcc_lo, 0x42fe0000, v3
	s_delay_alu instid0(VALU_DEP_2) | instskip(SKIP_2) | instid1(VALU_DEP_3)
	v_cvt_i32_f32_e32 v11, v11
	v_cndmask_b32_e32 v13, 0x42fe0000, v3, vcc_lo
	v_cmp_ngt_f32_e32 vcc_lo, 0xc3000000, v12
	v_and_b32_e32 v11, 0xff, v11
	v_cndmask_b32_e32 v12, 0xc3000000, v15, vcc_lo
	v_cmp_ngt_f32_e32 vcc_lo, 0xc3000000, v4
	s_delay_alu instid0(VALU_DEP_3) | instskip(NEXT) | instid1(VALU_DEP_3)
	v_lshlrev_b32_e32 v11, 16, v11
	v_cvt_i32_f32_e32 v12, v12
	v_cndmask_b32_e32 v4, 0xc3000000, v14, vcc_lo
	v_cmp_ngt_f32_e32 vcc_lo, 0xc3000000, v3
	s_delay_alu instid0(VALU_DEP_3) | instskip(NEXT) | instid1(VALU_DEP_1)
	v_and_b32_e32 v12, 0xff, v12
	v_dual_cndmask_b32 v3, 0xc3000000, v13 :: v_dual_lshlrev_b32 v12, 8, v12
	s_delay_alu instid0(VALU_DEP_4) | instskip(NEXT) | instid1(VALU_DEP_2)
	v_cvt_i32_f32_e32 v13, v4
	v_cvt_i32_f32_e32 v14, v3
	v_lshlrev_b64 v[3:4], 2, v[0:1]
	v_add3_u32 v0, s7, s33, v2
	s_delay_alu instid0(VALU_DEP_4) | instskip(NEXT) | instid1(VALU_DEP_4)
	v_and_b32_e32 v13, 0xff, v13
	v_lshl_or_b32 v11, v14, 24, v11
	s_delay_alu instid0(VALU_DEP_4) | instskip(SKIP_2) | instid1(VALU_DEP_4)
	v_add_co_u32 v2, vcc_lo, s0, v3
	v_add_co_ci_u32_e32 v3, vcc_lo, s1, v4, vcc_lo
	v_cmp_le_u32_e32 vcc_lo, s8, v0
	v_or3_b32 v4, v11, v12, v13
	s_or_not1_b32 s15, vcc_lo, exec_lo
	global_store_b32 v[2:3], v4, off
	s_branch .LBB20_58
.LBB20_65:
	s_nop 0
	s_sendmsg sendmsg(MSG_DEALLOC_VGPRS)
	s_endpgm
.LBB20_66:
                                        ; implicit-def: $vgpr3_vgpr4
	s_branch .LBB20_51
.LBB20_67:
                                        ; implicit-def: $vgpr1_vgpr2
	s_branch .LBB20_56
	.section	.rodata,"a",@progbits
	.p2align	6, 0x0
	.amdhsa_kernel _ZN4vllm31rms_norm_per_block_quant_kernelIfaLb1ELb1ELi128EEEvPT0_PfPKT_S6_PKffiiPS4_l
		.amdhsa_group_segment_fixed_size 4228
		.amdhsa_private_segment_fixed_size 0
		.amdhsa_kernarg_size 328
		.amdhsa_user_sgpr_count 15
		.amdhsa_user_sgpr_dispatch_ptr 0
		.amdhsa_user_sgpr_queue_ptr 0
		.amdhsa_user_sgpr_kernarg_segment_ptr 1
		.amdhsa_user_sgpr_dispatch_id 0
		.amdhsa_user_sgpr_private_segment_size 0
		.amdhsa_wavefront_size32 1
		.amdhsa_uses_dynamic_stack 0
		.amdhsa_enable_private_segment 0
		.amdhsa_system_sgpr_workgroup_id_x 1
		.amdhsa_system_sgpr_workgroup_id_y 0
		.amdhsa_system_sgpr_workgroup_id_z 0
		.amdhsa_system_sgpr_workgroup_info 0
		.amdhsa_system_vgpr_workitem_id 0
		.amdhsa_next_free_vgpr 37
		.amdhsa_next_free_sgpr 42
		.amdhsa_reserve_vcc 1
		.amdhsa_float_round_mode_32 0
		.amdhsa_float_round_mode_16_64 0
		.amdhsa_float_denorm_mode_32 3
		.amdhsa_float_denorm_mode_16_64 3
		.amdhsa_dx10_clamp 1
		.amdhsa_ieee_mode 1
		.amdhsa_fp16_overflow 0
		.amdhsa_workgroup_processor_mode 1
		.amdhsa_memory_ordered 1
		.amdhsa_forward_progress 0
		.amdhsa_shared_vgpr_count 0
		.amdhsa_exception_fp_ieee_invalid_op 0
		.amdhsa_exception_fp_denorm_src 0
		.amdhsa_exception_fp_ieee_div_zero 0
		.amdhsa_exception_fp_ieee_overflow 0
		.amdhsa_exception_fp_ieee_underflow 0
		.amdhsa_exception_fp_ieee_inexact 0
		.amdhsa_exception_int_div_zero 0
	.end_amdhsa_kernel
	.section	.text._ZN4vllm31rms_norm_per_block_quant_kernelIfaLb1ELb1ELi128EEEvPT0_PfPKT_S6_PKffiiPS4_l,"axG",@progbits,_ZN4vllm31rms_norm_per_block_quant_kernelIfaLb1ELb1ELi128EEEvPT0_PfPKT_S6_PKffiiPS4_l,comdat
.Lfunc_end20:
	.size	_ZN4vllm31rms_norm_per_block_quant_kernelIfaLb1ELb1ELi128EEEvPT0_PfPKT_S6_PKffiiPS4_l, .Lfunc_end20-_ZN4vllm31rms_norm_per_block_quant_kernelIfaLb1ELb1ELi128EEEvPT0_PfPKT_S6_PKffiiPS4_l
                                        ; -- End function
	.section	.AMDGPU.csdata,"",@progbits
; Kernel info:
; codeLenInByte = 8656
; NumSgprs: 44
; NumVgprs: 37
; ScratchSize: 0
; MemoryBound: 0
; FloatMode: 240
; IeeeMode: 1
; LDSByteSize: 4228 bytes/workgroup (compile time only)
; SGPRBlocks: 5
; VGPRBlocks: 4
; NumSGPRsForWavesPerEU: 44
; NumVGPRsForWavesPerEU: 37
; Occupancy: 16
; WaveLimiterHint : 0
; COMPUTE_PGM_RSRC2:SCRATCH_EN: 0
; COMPUTE_PGM_RSRC2:USER_SGPR: 15
; COMPUTE_PGM_RSRC2:TRAP_HANDLER: 0
; COMPUTE_PGM_RSRC2:TGID_X_EN: 1
; COMPUTE_PGM_RSRC2:TGID_Y_EN: 0
; COMPUTE_PGM_RSRC2:TGID_Z_EN: 0
; COMPUTE_PGM_RSRC2:TIDIG_COMP_CNT: 0
	.section	.text._ZN4vllm31rms_norm_per_block_quant_kernelIfN3c1013Float8_e4m3fnELb1ELb0ELi128EEEvPT0_PfPKT_S8_PKffiiPS6_l,"axG",@progbits,_ZN4vllm31rms_norm_per_block_quant_kernelIfN3c1013Float8_e4m3fnELb1ELb0ELi128EEEvPT0_PfPKT_S8_PKffiiPS6_l,comdat
	.protected	_ZN4vllm31rms_norm_per_block_quant_kernelIfN3c1013Float8_e4m3fnELb1ELb0ELi128EEEvPT0_PfPKT_S8_PKffiiPS6_l ; -- Begin function _ZN4vllm31rms_norm_per_block_quant_kernelIfN3c1013Float8_e4m3fnELb1ELb0ELi128EEEvPT0_PfPKT_S8_PKffiiPS6_l
	.globl	_ZN4vllm31rms_norm_per_block_quant_kernelIfN3c1013Float8_e4m3fnELb1ELb0ELi128EEEvPT0_PfPKT_S8_PKffiiPS6_l
	.p2align	8
	.type	_ZN4vllm31rms_norm_per_block_quant_kernelIfN3c1013Float8_e4m3fnELb1ELb0ELi128EEEvPT0_PfPKT_S8_PKffiiPS6_l,@function
_ZN4vllm31rms_norm_per_block_quant_kernelIfN3c1013Float8_e4m3fnELb1ELb0ELi128EEEvPT0_PfPKT_S8_PKffiiPS6_l: ; @_ZN4vllm31rms_norm_per_block_quant_kernelIfN3c1013Float8_e4m3fnELb1ELb0ELi128EEEvPT0_PfPKT_S8_PKffiiPS6_l
; %bb.0:
	s_clause 0x2
	s_load_b128 s[16:19], s[0:1], 0x28
	s_load_b256 s[4:11], s[0:1], 0x0
	s_load_b64 s[2:3], s[0:1], 0x38
	v_mov_b32_e32 v6, 0
	s_waitcnt lgkmcnt(0)
	s_ashr_i32 s12, s18, 31
	s_mul_hi_u32 s13, s18, s15
	s_mul_i32 s20, s18, s15
	s_mul_i32 s18, s12, s15
	s_ashr_i32 s19, s17, 31
	s_add_i32 s21, s13, s18
	s_mul_hi_u32 s14, s17, s15
	s_mul_i32 s13, s19, s15
	s_lshl_b64 s[20:21], s[20:21], 2
	s_mul_i32 s12, s17, s15
	s_add_i32 s13, s14, s13
	s_add_u32 s28, s8, s20
	s_addc_u32 s29, s9, s21
	s_lshl_b64 s[8:9], s[12:13], 2
	s_mov_b32 s18, s17
	s_add_u32 s30, s2, s8
	s_addc_u32 s31, s3, s9
	s_ashr_i32 s8, s17, 2
	s_add_u32 s20, s0, 0x48
	v_cmp_gt_u32_e64 s2, s8, v0
	s_mov_b32 s3, 0
	s_addc_u32 s21, s1, 0
	s_delay_alu instid0(VALU_DEP_1)
	s_and_saveexec_b32 s9, s2
	s_cbranch_execz .LBB21_10
; %bb.1:
	s_load_b32 s14, s[20:21], 0x0
	v_dual_mov_b32 v2, 0 :: v_dual_mov_b32 v1, v0
	s_waitcnt lgkmcnt(0)
	s_cmp_lt_u32 s15, s14
	s_cselect_b32 s14, 12, 18
	s_delay_alu instid0(SALU_CYCLE_1)
	s_add_u32 s22, s20, s14
	s_addc_u32 s23, s21, 0
                                        ; implicit-def: $sgpr14
	global_load_u16 v7, v2, s[22:23]
	s_waitcnt vmcnt(0)
	v_lshlrev_b32_e32 v9, 1, v7
	v_mul_lo_u32 v8, v7, 3
	v_add_nc_u32_e32 v10, v7, v7
	v_mov_b32_e32 v6, v2
	s_branch .LBB21_5
.LBB21_2:                               ;   in Loop: Header=BB21_5 Depth=1
	s_or_b32 exec_lo, exec_lo, s23
	s_delay_alu instid0(SALU_CYCLE_1)
	s_or_not1_b32 s23, s24, exec_lo
.LBB21_3:                               ;   in Loop: Header=BB21_5 Depth=1
	s_or_b32 exec_lo, exec_lo, s22
	s_delay_alu instid0(SALU_CYCLE_1) | instskip(SKIP_1) | instid1(SALU_CYCLE_1)
	s_and_not1_b32 s14, s14, exec_lo
	s_and_b32 s22, s23, exec_lo
	s_or_b32 s14, s14, s22
.LBB21_4:                               ;   in Loop: Header=BB21_5 Depth=1
	s_or_b32 exec_lo, exec_lo, s17
	s_delay_alu instid0(SALU_CYCLE_1) | instskip(NEXT) | instid1(SALU_CYCLE_1)
	s_and_b32 s17, exec_lo, s14
	s_or_b32 s3, s17, s3
	s_delay_alu instid0(SALU_CYCLE_1)
	s_and_not1_b32 exec_lo, exec_lo, s3
	s_cbranch_execz .LBB21_9
.LBB21_5:                               ; =>This Inner Loop Header: Depth=1
	v_lshlrev_b64 v[3:4], 4, v[1:2]
	s_or_b32 s14, s14, exec_lo
	s_mov_b32 s17, exec_lo
	s_delay_alu instid0(VALU_DEP_1) | instskip(NEXT) | instid1(VALU_DEP_2)
	v_add_co_u32 v11, vcc_lo, s28, v3
	v_add_co_ci_u32_e32 v12, vcc_lo, s29, v4, vcc_lo
	v_add_co_u32 v3, vcc_lo, s30, v3
	v_add_co_ci_u32_e32 v4, vcc_lo, s31, v4, vcc_lo
	global_load_b128 v[11:14], v[11:12], off
	global_load_b128 v[15:18], v[3:4], off
	s_waitcnt vmcnt(0)
	v_dual_add_f32 v3, v11, v15 :: v_dual_add_f32 v4, v12, v16
	s_delay_alu instid0(VALU_DEP_1) | instskip(NEXT) | instid1(VALU_DEP_1)
	v_dual_fmac_f32 v6, v3, v3 :: v_dual_add_f32 v3, v13, v17
	v_fmac_f32_e32 v6, v4, v4
	v_add_f32_e32 v4, v14, v18
	s_delay_alu instid0(VALU_DEP_2) | instskip(NEXT) | instid1(VALU_DEP_1)
	v_fmac_f32_e32 v6, v3, v3
	v_dual_fmac_f32 v6, v4, v4 :: v_dual_add_nc_u32 v3, v1, v7
	s_delay_alu instid0(VALU_DEP_1)
	v_cmpx_gt_u32_e64 s8, v3
	s_cbranch_execz .LBB21_4
; %bb.6:                                ;   in Loop: Header=BB21_5 Depth=1
	v_mov_b32_e32 v4, v2
	s_mov_b32 s23, -1
	s_mov_b32 s22, exec_lo
	s_delay_alu instid0(VALU_DEP_1) | instskip(NEXT) | instid1(VALU_DEP_1)
	v_lshlrev_b64 v[4:5], 4, v[3:4]
	v_add_co_u32 v11, vcc_lo, s28, v4
	s_delay_alu instid0(VALU_DEP_2)
	v_add_co_ci_u32_e32 v12, vcc_lo, s29, v5, vcc_lo
	v_add_co_u32 v4, vcc_lo, s30, v4
	v_add_co_ci_u32_e32 v5, vcc_lo, s31, v5, vcc_lo
	global_load_b128 v[11:14], v[11:12], off
	global_load_b128 v[15:18], v[4:5], off
	s_waitcnt vmcnt(0)
	v_dual_add_f32 v5, v12, v16 :: v_dual_add_f32 v4, v11, v15
	s_delay_alu instid0(VALU_DEP_1) | instskip(SKIP_1) | instid1(VALU_DEP_2)
	v_fmac_f32_e32 v6, v4, v4
	v_add_f32_e32 v4, v13, v17
	v_dual_fmac_f32 v6, v5, v5 :: v_dual_add_f32 v5, v14, v18
	s_delay_alu instid0(VALU_DEP_1) | instskip(SKIP_1) | instid1(VALU_DEP_2)
	v_fmac_f32_e32 v6, v4, v4
	v_add_nc_u32_e32 v4, v9, v1
	v_fmac_f32_e32 v6, v5, v5
	s_delay_alu instid0(VALU_DEP_2)
	v_cmpx_gt_u32_e64 s8, v4
	s_cbranch_execz .LBB21_3
; %bb.7:                                ;   in Loop: Header=BB21_5 Depth=1
	v_mov_b32_e32 v5, v2
	v_add_nc_u32_e32 v1, v8, v1
	s_mov_b32 s24, -1
	s_mov_b32 s23, exec_lo
	s_delay_alu instid0(VALU_DEP_2) | instskip(NEXT) | instid1(VALU_DEP_1)
	v_lshlrev_b64 v[4:5], 4, v[4:5]
	v_add_co_u32 v11, vcc_lo, s28, v4
	s_delay_alu instid0(VALU_DEP_2)
	v_add_co_ci_u32_e32 v12, vcc_lo, s29, v5, vcc_lo
	v_add_co_u32 v4, vcc_lo, s30, v4
	v_add_co_ci_u32_e32 v5, vcc_lo, s31, v5, vcc_lo
	global_load_b128 v[11:14], v[11:12], off
	global_load_b128 v[15:18], v[4:5], off
	s_waitcnt vmcnt(0)
	v_dual_add_f32 v4, v11, v15 :: v_dual_add_f32 v5, v12, v16
	s_delay_alu instid0(VALU_DEP_1) | instskip(SKIP_1) | instid1(VALU_DEP_2)
	v_fmac_f32_e32 v6, v4, v4
	v_add_f32_e32 v4, v13, v17
	v_dual_fmac_f32 v6, v5, v5 :: v_dual_add_f32 v5, v14, v18
	s_delay_alu instid0(VALU_DEP_1) | instskip(NEXT) | instid1(VALU_DEP_1)
	v_fmac_f32_e32 v6, v4, v4
	v_fmac_f32_e32 v6, v5, v5
	v_cmpx_gt_u32_e64 s8, v1
	s_xor_b32 s23, exec_lo, s23
	s_cbranch_execz .LBB21_2
; %bb.8:                                ;   in Loop: Header=BB21_5 Depth=1
	v_lshlrev_b64 v[4:5], 4, v[1:2]
	s_delay_alu instid0(VALU_DEP_1) | instskip(NEXT) | instid1(VALU_DEP_2)
	v_add_co_u32 v11, vcc_lo, s28, v4
	v_add_co_ci_u32_e32 v12, vcc_lo, s29, v5, vcc_lo
	v_add_co_u32 v4, vcc_lo, s30, v4
	v_add_co_ci_u32_e32 v5, vcc_lo, s31, v5, vcc_lo
	global_load_b128 v[11:14], v[11:12], off
	global_load_b128 v[15:18], v[4:5], off
	s_waitcnt vmcnt(0)
	v_dual_add_f32 v1, v11, v15 :: v_dual_add_f32 v4, v12, v16
	s_delay_alu instid0(VALU_DEP_1) | instskip(SKIP_2) | instid1(VALU_DEP_3)
	v_fmac_f32_e32 v6, v1, v1
	v_add3_u32 v1, v10, v7, v3
	v_add_f32_e32 v3, v14, v18
	v_dual_add_f32 v5, v13, v17 :: v_dual_fmac_f32 v6, v4, v4
	s_delay_alu instid0(VALU_DEP_3) | instskip(NEXT) | instid1(VALU_DEP_2)
	v_cmp_le_u32_e32 vcc_lo, s8, v1
	v_fmac_f32_e32 v6, v5, v5
	s_or_not1_b32 s24, vcc_lo, exec_lo
	s_delay_alu instid0(VALU_DEP_1)
	v_fmac_f32_e32 v6, v3, v3
	s_branch .LBB21_2
.LBB21_9:
	s_or_b32 exec_lo, exec_lo, s3
.LBB21_10:
	s_delay_alu instid0(SALU_CYCLE_1) | instskip(SKIP_3) | instid1(VALU_DEP_2)
	s_or_b32 exec_lo, exec_lo, s9
	v_mbcnt_lo_u32_b32 v1, -1, 0
	s_load_b32 s3, s[20:21], 0xc
	v_and_b32_e32 v7, 0x3e0, v0
	v_cmp_ne_u32_e32 vcc_lo, 31, v1
	v_add_nc_u32_e32 v3, 1, v1
	v_add_co_ci_u32_e32 v2, vcc_lo, 0, v1, vcc_lo
	v_cmp_gt_u32_e32 vcc_lo, 30, v1
	s_delay_alu instid0(VALU_DEP_2)
	v_lshlrev_b32_e32 v2, 2, v2
	v_cndmask_b32_e64 v5, 0, 1, vcc_lo
	ds_bpermute_b32 v4, v2, v6
	s_waitcnt lgkmcnt(0)
	s_and_b32 s33, s3, 0xffff
	v_lshlrev_b32_e32 v5, 1, v5
	v_sub_nc_u32_e64 v12, s33, v7 clamp
	s_mov_b32 s3, exec_lo
	s_delay_alu instid0(VALU_DEP_1) | instskip(SKIP_2) | instid1(VALU_DEP_2)
	v_cmp_lt_u32_e32 vcc_lo, v3, v12
	v_add_f32_e32 v7, v6, v4
	v_add_lshl_u32 v4, v5, v1, 2
	v_cndmask_b32_e32 v7, v6, v7, vcc_lo
	v_cmp_gt_u32_e32 vcc_lo, 28, v1
	v_cndmask_b32_e64 v5, 0, 1, vcc_lo
	s_delay_alu instid0(VALU_DEP_1) | instskip(SKIP_2) | instid1(VALU_DEP_1)
	v_lshlrev_b32_e32 v8, 2, v5
	ds_bpermute_b32 v6, v4, v7
	v_add_nc_u32_e32 v5, 2, v1
	v_cmp_lt_u32_e32 vcc_lo, v5, v12
	s_waitcnt lgkmcnt(0)
	v_add_f32_e32 v9, v7, v6
	v_add_lshl_u32 v6, v8, v1, 2
	s_delay_alu instid0(VALU_DEP_2) | instskip(SKIP_3) | instid1(VALU_DEP_1)
	v_cndmask_b32_e32 v9, v7, v9, vcc_lo
	v_cmp_gt_u32_e32 vcc_lo, 24, v1
	ds_bpermute_b32 v8, v6, v9
	v_cndmask_b32_e64 v7, 0, 1, vcc_lo
	v_lshlrev_b32_e32 v10, 3, v7
	v_add_nc_u32_e32 v7, 4, v1
	s_delay_alu instid0(VALU_DEP_1) | instskip(SKIP_3) | instid1(VALU_DEP_2)
	v_cmp_lt_u32_e32 vcc_lo, v7, v12
	s_waitcnt lgkmcnt(0)
	v_add_f32_e32 v11, v9, v8
	v_add_lshl_u32 v8, v10, v1, 2
	v_cndmask_b32_e32 v11, v9, v11, vcc_lo
	v_cmp_gt_u32_e32 vcc_lo, 16, v1
	ds_bpermute_b32 v10, v8, v11
	v_cndmask_b32_e64 v9, 0, 1, vcc_lo
	s_delay_alu instid0(VALU_DEP_1) | instskip(SKIP_1) | instid1(VALU_DEP_1)
	v_lshlrev_b32_e32 v13, 4, v9
	v_add_nc_u32_e32 v9, 8, v1
	v_cmp_lt_u32_e32 vcc_lo, v9, v12
	s_waitcnt lgkmcnt(0)
	v_add_f32_e32 v14, v11, v10
	v_add_lshl_u32 v10, v13, v1, 2
	s_delay_alu instid0(VALU_DEP_2)
	v_cndmask_b32_e32 v13, v11, v14, vcc_lo
	v_add_nc_u32_e32 v11, 16, v1
	ds_bpermute_b32 v14, v10, v13
	v_cmp_lt_u32_e32 vcc_lo, v11, v12
	s_waitcnt lgkmcnt(0)
	v_add_f32_e32 v14, v13, v14
	s_delay_alu instid0(VALU_DEP_1)
	v_cndmask_b32_e32 v12, v13, v14, vcc_lo
	v_cmpx_eq_u32_e32 0, v1
	s_cbranch_execz .LBB21_12
; %bb.11:
	v_lshrrev_b32_e32 v13, 3, v0
	s_delay_alu instid0(VALU_DEP_1)
	v_and_b32_e32 v13, 0x7c, v13
	ds_store_b32 v13, v12 offset:4096
.LBB21_12:
	s_or_b32 exec_lo, exec_lo, s3
	s_delay_alu instid0(SALU_CYCLE_1)
	s_mov_b32 s3, exec_lo
	s_waitcnt lgkmcnt(0)
	s_barrier
	buffer_gl0_inv
	v_cmpx_gt_u32_e32 32, v0
	s_cbranch_execz .LBB21_14
; %bb.13:
	v_lshlrev_b32_e32 v1, 2, v1
	s_add_i32 s9, s33, 31
	s_delay_alu instid0(SALU_CYCLE_1) | instskip(NEXT) | instid1(SALU_CYCLE_1)
	s_lshr_b32 s9, s9, 5
	v_cmp_gt_u32_e32 vcc_lo, s9, v3
	ds_load_b32 v1, v1 offset:4096
	s_waitcnt lgkmcnt(0)
	ds_bpermute_b32 v2, v2, v1
	s_waitcnt lgkmcnt(0)
	v_add_f32_e32 v2, v1, v2
	s_delay_alu instid0(VALU_DEP_1) | instskip(SKIP_4) | instid1(VALU_DEP_1)
	v_cndmask_b32_e32 v1, v1, v2, vcc_lo
	v_cmp_gt_u32_e32 vcc_lo, s9, v5
	ds_bpermute_b32 v2, v4, v1
	s_waitcnt lgkmcnt(0)
	v_add_f32_e32 v2, v1, v2
	v_cndmask_b32_e32 v1, v1, v2, vcc_lo
	v_cmp_gt_u32_e32 vcc_lo, s9, v7
	ds_bpermute_b32 v2, v6, v1
	s_waitcnt lgkmcnt(0)
	v_add_f32_e32 v2, v1, v2
	s_delay_alu instid0(VALU_DEP_1) | instskip(SKIP_4) | instid1(VALU_DEP_1)
	v_cndmask_b32_e32 v1, v1, v2, vcc_lo
	v_cmp_gt_u32_e32 vcc_lo, s9, v9
	ds_bpermute_b32 v2, v8, v1
	s_waitcnt lgkmcnt(0)
	v_add_f32_e32 v2, v1, v2
	v_cndmask_b32_e32 v1, v1, v2, vcc_lo
	v_cmp_gt_u32_e32 vcc_lo, s9, v11
	ds_bpermute_b32 v2, v10, v1
	s_waitcnt lgkmcnt(0)
	v_add_f32_e32 v2, v1, v2
	s_delay_alu instid0(VALU_DEP_1)
	v_cndmask_b32_e32 v12, v1, v2, vcc_lo
.LBB21_14:
	s_or_b32 exec_lo, exec_lo, s3
	s_delay_alu instid0(SALU_CYCLE_1)
	s_mov_b32 s3, exec_lo
	v_cmpx_eq_u32_e32 0, v0
	s_cbranch_execz .LBB21_16
; %bb.15:
	v_cvt_f32_i32_e32 v1, s18
	s_delay_alu instid0(VALU_DEP_1) | instskip(SKIP_1) | instid1(VALU_DEP_2)
	v_div_scale_f32 v2, null, v1, v1, v12
	v_div_scale_f32 v5, vcc_lo, v12, v1, v12
	v_rcp_f32_e32 v3, v2
	s_waitcnt_depctr 0xfff
	v_fma_f32 v4, -v2, v3, 1.0
	s_delay_alu instid0(VALU_DEP_1) | instskip(NEXT) | instid1(VALU_DEP_1)
	v_fmac_f32_e32 v3, v4, v3
	v_mul_f32_e32 v4, v5, v3
	s_delay_alu instid0(VALU_DEP_1) | instskip(NEXT) | instid1(VALU_DEP_1)
	v_fma_f32 v6, -v2, v4, v5
	v_fmac_f32_e32 v4, v6, v3
	s_delay_alu instid0(VALU_DEP_1) | instskip(NEXT) | instid1(VALU_DEP_1)
	v_fma_f32 v2, -v2, v4, v5
	v_div_fmas_f32 v2, v2, v3, v4
	s_delay_alu instid0(VALU_DEP_1) | instskip(NEXT) | instid1(VALU_DEP_1)
	v_div_fixup_f32 v1, v2, v1, v12
	v_add_f32_e32 v1, s16, v1
	s_delay_alu instid0(VALU_DEP_1) | instskip(SKIP_1) | instid1(VALU_DEP_2)
	v_mul_f32_e32 v2, 0x4b800000, v1
	v_cmp_gt_f32_e32 vcc_lo, 0x800000, v1
	v_cndmask_b32_e32 v1, v1, v2, vcc_lo
	s_delay_alu instid0(VALU_DEP_1) | instskip(SKIP_2) | instid1(VALU_DEP_1)
	v_rsq_f32_e32 v1, v1
	s_waitcnt_depctr 0xfff
	v_mul_f32_e32 v2, 0x45800000, v1
	v_dual_cndmask_b32 v1, v1, v2 :: v_dual_mov_b32 v2, 0
	ds_store_b32 v2, v1 offset:4224
.LBB21_16:
	s_or_b32 exec_lo, exec_lo, s3
	s_ashr_i32 s3, s18, 31
	s_waitcnt lgkmcnt(0)
	s_lshr_b32 s3, s3, 25
	s_barrier
	s_add_i32 s3, s18, s3
	buffer_gl0_inv
	s_ashr_i32 s16, s3, 7
	s_ashr_i32 s3, s3, 31
	s_abs_i32 s9, s16
	s_delay_alu instid0(SALU_CYCLE_1) | instskip(SKIP_1) | instid1(VALU_DEP_1)
	v_cvt_f32_u32_e32 v1, s9
	s_sub_i32 s17, 0, s9
	v_rcp_iflag_f32_e32 v1, v1
	s_waitcnt_depctr 0xfff
	v_mul_f32_e32 v1, 0x4f7ffffe, v1
	s_delay_alu instid0(VALU_DEP_1) | instskip(NEXT) | instid1(VALU_DEP_1)
	v_cvt_u32_f32_e32 v1, v1
	v_readfirstlane_b32 s14, v1
	s_delay_alu instid0(VALU_DEP_1) | instskip(NEXT) | instid1(SALU_CYCLE_1)
	s_mul_i32 s17, s17, s14
	s_mul_hi_u32 s17, s14, s17
	s_delay_alu instid0(SALU_CYCLE_1) | instskip(NEXT) | instid1(SALU_CYCLE_1)
	s_add_i32 s14, s14, s17
	s_mul_hi_u32 s14, s33, s14
	s_delay_alu instid0(SALU_CYCLE_1) | instskip(SKIP_2) | instid1(SALU_CYCLE_1)
	s_mul_i32 s17, s14, s9
	s_add_i32 s20, s14, 1
	s_sub_i32 s17, s33, s17
	s_sub_i32 s21, s17, s9
	s_cmp_ge_u32 s17, s9
	s_cselect_b32 s14, s20, s14
	s_cselect_b32 s17, s21, s17
	s_add_i32 s20, s14, 1
	s_cmp_ge_u32 s17, s9
	s_cselect_b32 s9, s20, s14
	s_delay_alu instid0(SALU_CYCLE_1) | instskip(NEXT) | instid1(SALU_CYCLE_1)
	s_xor_b32 s9, s9, s3
	s_sub_i32 s20, s9, s3
	s_delay_alu instid0(SALU_CYCLE_1) | instskip(SKIP_3) | instid1(VALU_DEP_1)
	s_abs_i32 s3, s20
	s_ashr_i32 s21, s20, 31
	v_cvt_f32_u32_e32 v1, s3
	s_sub_i32 s9, 0, s3
	v_rcp_iflag_f32_e32 v1, v1
	s_waitcnt_depctr 0xfff
	v_mul_f32_e32 v1, 0x4f7ffffe, v1
	s_delay_alu instid0(VALU_DEP_1) | instskip(NEXT) | instid1(VALU_DEP_1)
	v_cvt_u32_f32_e32 v1, v1
	v_mul_lo_u32 v2, s9, v1
	s_ashr_i32 s9, s8, 31
	s_delay_alu instid0(VALU_DEP_1) | instskip(NEXT) | instid1(VALU_DEP_1)
	v_mul_hi_u32 v2, v1, v2
	v_add_nc_u32_e32 v1, v1, v2
	s_delay_alu instid0(VALU_DEP_1) | instskip(NEXT) | instid1(VALU_DEP_1)
	v_mul_hi_u32 v1, v0, v1
	v_mul_lo_u32 v2, v1, s3
	v_add_nc_u32_e32 v3, 1, v1
	s_delay_alu instid0(VALU_DEP_2) | instskip(NEXT) | instid1(VALU_DEP_1)
	v_sub_nc_u32_e32 v2, v0, v2
	v_subrev_nc_u32_e32 v4, s3, v2
	v_cmp_le_u32_e32 vcc_lo, s3, v2
	s_delay_alu instid0(VALU_DEP_2) | instskip(NEXT) | instid1(VALU_DEP_1)
	v_dual_cndmask_b32 v1, v1, v3 :: v_dual_cndmask_b32 v2, v2, v4
	v_dual_mov_b32 v4, 0 :: v_dual_add_nc_u32 v3, 1, v1
	s_delay_alu instid0(VALU_DEP_2) | instskip(SKIP_2) | instid1(VALU_DEP_1)
	v_cmp_le_u32_e32 vcc_lo, s3, v2
	ds_load_b32 v28, v4 offset:4224
	v_cndmask_b32_e32 v1, v1, v3, vcc_lo
	v_xor_b32_e32 v1, s21, v1
	s_delay_alu instid0(VALU_DEP_1) | instskip(NEXT) | instid1(VALU_DEP_1)
	v_subrev_nc_u32_e32 v1, s21, v1
	v_ashrrev_i32_e32 v2, 31, v1
	v_mul_lo_u32 v3, v1, s20
	s_delay_alu instid0(VALU_DEP_2) | instskip(NEXT) | instid1(VALU_DEP_2)
	v_lshlrev_b64 v[7:8], 5, v[1:2]
	v_sub_nc_u32_e32 v3, v0, v3
	s_delay_alu instid0(VALU_DEP_2) | instskip(NEXT) | instid1(VALU_DEP_3)
	v_add_co_u32 v5, vcc_lo, v7, 32
	v_add_co_ci_u32_e32 v6, vcc_lo, 0, v8, vcc_lo
	s_delay_alu instid0(VALU_DEP_1) | instskip(SKIP_4) | instid1(VALU_DEP_3)
	v_cmp_gt_i64_e32 vcc_lo, s[8:9], v[5:6]
	v_cndmask_b32_e32 v6, s9, v6, vcc_lo
	v_cndmask_b32_e32 v5, s8, v5, vcc_lo
	v_add_co_u32 v7, vcc_lo, v7, v3
	v_add_co_ci_u32_e32 v8, vcc_lo, 0, v8, vcc_lo
	v_ashrrev_i32_e32 v10, 31, v5
	v_mov_b32_e32 v9, v5
	s_mov_b32 s9, exec_lo
	s_delay_alu instid0(VALU_DEP_1)
	v_cmpx_lt_i64_e64 v[7:8], v[9:10]
	s_cbranch_execz .LBB21_26
; %bb.17:
	v_lshlrev_b64 v[11:12], 9, v[1:2]
	v_lshlrev_b64 v[13:14], 4, v[3:4]
	v_mov_b32_e32 v4, 0
	s_lshl_b64 s[22:23], s[20:21], 6
	s_mul_hi_i32 s14, s20, 3
	s_mul_i32 s17, s20, 3
	s_lshl_b64 s[24:25], s[20:21], 1
	v_add_co_u32 v21, vcc_lo, v11, v13
	v_add_co_ci_u32_e32 v22, vcc_lo, v12, v14, vcc_lo
	v_dual_mov_b32 v12, v8 :: v_dual_mov_b32 v11, v7
	s_lshl_b64 s[26:27], s[20:21], 4
	s_mov_b32 s34, 0
                                        ; implicit-def: $sgpr35
	s_branch .LBB21_21
.LBB21_18:                              ;   in Loop: Header=BB21_21 Depth=1
	s_or_b32 exec_lo, exec_lo, s38
	s_delay_alu instid0(SALU_CYCLE_1)
	s_or_not1_b32 s3, s3, exec_lo
.LBB21_19:                              ;   in Loop: Header=BB21_21 Depth=1
	s_or_b32 exec_lo, exec_lo, s37
	s_delay_alu instid0(SALU_CYCLE_1) | instskip(SKIP_1) | instid1(SALU_CYCLE_1)
	s_and_not1_b32 s35, s35, exec_lo
	s_and_b32 s3, s3, exec_lo
	s_or_b32 s35, s35, s3
.LBB21_20:                              ;   in Loop: Header=BB21_21 Depth=1
	s_or_b32 exec_lo, exec_lo, s36
	s_delay_alu instid0(SALU_CYCLE_1) | instskip(NEXT) | instid1(SALU_CYCLE_1)
	s_and_b32 s3, exec_lo, s35
	s_or_b32 s34, s3, s34
	s_delay_alu instid0(SALU_CYCLE_1)
	s_and_not1_b32 exec_lo, exec_lo, s34
	s_cbranch_execz .LBB21_25
.LBB21_21:                              ; =>This Inner Loop Header: Depth=1
	v_add_co_u32 v15, vcc_lo, s28, v21
	v_add_co_ci_u32_e32 v16, vcc_lo, s29, v22, vcc_lo
	v_add_co_u32 v19, vcc_lo, s30, v21
	v_add_co_ci_u32_e32 v20, vcc_lo, s31, v22, vcc_lo
	v_add_co_u32 v17, vcc_lo, s10, v21
	global_load_b128 v[23:26], v[15:16], off
	global_load_b128 v[29:32], v[19:20], off
	v_add_co_ci_u32_e32 v18, vcc_lo, s11, v22, vcc_lo
	s_or_b32 s35, s35, exec_lo
	s_mov_b32 s36, exec_lo
	global_load_b128 v[33:36], v[17:18], off
	s_waitcnt vmcnt(1)
	v_dual_add_f32 v13, v23, v29 :: v_dual_add_f32 v14, v24, v30
	v_dual_add_f32 v23, v25, v31 :: v_dual_add_f32 v24, v26, v32
	s_waitcnt lgkmcnt(0)
	s_delay_alu instid0(VALU_DEP_2) | instskip(NEXT) | instid1(VALU_DEP_3)
	v_mul_f32_e32 v14, v28, v14
	v_mul_f32_e32 v13, v28, v13
	s_delay_alu instid0(VALU_DEP_3) | instskip(SKIP_2) | instid1(VALU_DEP_3)
	v_mul_f32_e32 v23, v28, v23
	v_mul_f32_e32 v24, v28, v24
	s_waitcnt vmcnt(0)
	v_dual_mul_f32 v26, v34, v14 :: v_dual_mul_f32 v25, v33, v13
	s_delay_alu instid0(VALU_DEP_2) | instskip(SKIP_1) | instid1(VALU_DEP_3)
	v_dual_mul_f32 v23, v35, v23 :: v_dual_mul_f32 v24, v36, v24
	v_add_co_u32 v13, vcc_lo, v11, s20
	v_max3_f32 v4, v4, |v25|, |v26|
	v_add_co_ci_u32_e32 v14, vcc_lo, s21, v12, vcc_lo
	s_delay_alu instid0(VALU_DEP_2) | instskip(NEXT) | instid1(VALU_DEP_2)
	v_max3_f32 v4, v4, |v23|, |v24|
	v_cmpx_lt_i64_e64 v[13:14], v[9:10]
	s_cbranch_execz .LBB21_20
; %bb.22:                               ;   in Loop: Header=BB21_21 Depth=1
	v_add_co_u32 v15, vcc_lo, v15, s26
	v_add_co_ci_u32_e32 v16, vcc_lo, s27, v16, vcc_lo
	v_add_co_u32 v19, vcc_lo, v19, s26
	v_add_co_ci_u32_e32 v20, vcc_lo, s27, v20, vcc_lo
	v_add_co_u32 v17, vcc_lo, v17, s26
	global_load_b128 v[23:26], v[15:16], off
	global_load_b128 v[29:32], v[19:20], off
	v_add_co_ci_u32_e32 v18, vcc_lo, s27, v18, vcc_lo
	s_mov_b32 s3, -1
	s_mov_b32 s37, exec_lo
	global_load_b128 v[33:36], v[17:18], off
	s_waitcnt vmcnt(1)
	v_dual_add_f32 v23, v23, v29 :: v_dual_add_f32 v24, v24, v30
	v_dual_add_f32 v25, v25, v31 :: v_dual_add_f32 v26, v26, v32
	s_delay_alu instid0(VALU_DEP_2) | instskip(NEXT) | instid1(VALU_DEP_3)
	v_mul_f32_e32 v23, v28, v23
	v_mul_f32_e32 v24, v28, v24
	s_delay_alu instid0(VALU_DEP_3) | instskip(SKIP_1) | instid1(VALU_DEP_3)
	v_mul_f32_e32 v25, v28, v25
	s_waitcnt vmcnt(0)
	v_dual_mul_f32 v27, v33, v23 :: v_dual_mul_f32 v26, v28, v26
	s_delay_alu instid0(VALU_DEP_3) | instskip(NEXT) | instid1(VALU_DEP_3)
	v_mul_f32_e32 v29, v34, v24
	v_mul_f32_e32 v25, v35, v25
	v_add_co_u32 v23, vcc_lo, s24, v11
	s_delay_alu instid0(VALU_DEP_4) | instskip(NEXT) | instid1(VALU_DEP_4)
	v_mul_f32_e32 v26, v36, v26
	v_max3_f32 v4, v4, |v27|, |v29|
	v_add_co_ci_u32_e32 v24, vcc_lo, s25, v12, vcc_lo
	s_delay_alu instid0(VALU_DEP_2) | instskip(NEXT) | instid1(VALU_DEP_2)
	v_max3_f32 v4, v4, |v25|, |v26|
	v_cmpx_lt_i64_e64 v[23:24], v[9:10]
	s_cbranch_execz .LBB21_19
; %bb.23:                               ;   in Loop: Header=BB21_21 Depth=1
	v_add_co_u32 v15, vcc_lo, v15, s26
	v_add_co_ci_u32_e32 v16, vcc_lo, s27, v16, vcc_lo
	v_add_co_u32 v19, vcc_lo, v19, s26
	v_add_co_ci_u32_e32 v20, vcc_lo, s27, v20, vcc_lo
	v_add_co_u32 v17, vcc_lo, v17, s26
	global_load_b128 v[23:26], v[15:16], off
	global_load_b128 v[29:32], v[19:20], off
	v_add_co_ci_u32_e32 v18, vcc_lo, s27, v18, vcc_lo
	v_add_co_u32 v11, vcc_lo, s17, v11
	v_add_co_ci_u32_e32 v12, vcc_lo, s14, v12, vcc_lo
	global_load_b128 v[33:36], v[17:18], off
	v_cmp_lt_i64_e32 vcc_lo, v[11:12], v[9:10]
                                        ; implicit-def: $vgpr11_vgpr12
	s_waitcnt vmcnt(1)
	v_dual_add_f32 v23, v23, v29 :: v_dual_add_f32 v24, v24, v30
	v_dual_add_f32 v25, v25, v31 :: v_dual_add_f32 v26, v26, v32
	s_delay_alu instid0(VALU_DEP_2) | instskip(NEXT) | instid1(VALU_DEP_3)
	v_mul_f32_e32 v24, v28, v24
	v_mul_f32_e32 v23, v28, v23
	s_delay_alu instid0(VALU_DEP_3) | instskip(NEXT) | instid1(VALU_DEP_4)
	v_mul_f32_e32 v25, v28, v25
	v_mul_f32_e32 v26, v28, v26
	s_waitcnt vmcnt(0)
	s_delay_alu instid0(VALU_DEP_3) | instskip(NEXT) | instid1(VALU_DEP_3)
	v_dual_mul_f32 v24, v34, v24 :: v_dual_mul_f32 v23, v33, v23
	v_mul_f32_e32 v25, v35, v25
	s_delay_alu instid0(VALU_DEP_2) | instskip(SKIP_1) | instid1(VALU_DEP_1)
	v_max3_f32 v4, v4, |v23|, |v24|
	v_mul_f32_e32 v23, v36, v26
	v_max3_f32 v4, v4, |v25|, |v23|
	s_and_saveexec_b32 s38, vcc_lo
	s_delay_alu instid0(SALU_CYCLE_1)
	s_xor_b32 s38, exec_lo, s38
	s_cbranch_execz .LBB21_18
; %bb.24:                               ;   in Loop: Header=BB21_21 Depth=1
	v_add_co_u32 v11, vcc_lo, v15, s26
	v_add_co_ci_u32_e32 v12, vcc_lo, s27, v16, vcc_lo
	v_add_co_u32 v15, vcc_lo, v19, s26
	v_add_co_ci_u32_e32 v16, vcc_lo, s27, v20, vcc_lo
	s_add_u32 s3, s20, s20
	global_load_b128 v[23:26], v[11:12], off
	global_load_b128 v[29:32], v[15:16], off
	v_add_co_u32 v11, vcc_lo, v17, s26
	v_add_co_ci_u32_e32 v12, vcc_lo, s27, v18, vcc_lo
	s_addc_u32 s39, s21, s21
	s_add_u32 s3, s3, s20
	s_addc_u32 s39, s39, s21
	global_load_b128 v[15:18], v[11:12], off
	s_waitcnt vmcnt(1)
	v_dual_add_f32 v11, v23, v29 :: v_dual_add_f32 v12, v24, v30
	v_dual_add_f32 v19, v25, v31 :: v_dual_add_f32 v20, v26, v32
	s_delay_alu instid0(VALU_DEP_1) | instskip(NEXT) | instid1(VALU_DEP_2)
	v_mul_f32_e32 v19, v28, v19
	v_mul_f32_e32 v20, v28, v20
	s_delay_alu instid0(VALU_DEP_4) | instskip(SKIP_1) | instid1(VALU_DEP_1)
	v_mul_f32_e32 v11, v28, v11
	s_waitcnt vmcnt(0)
	v_dual_mul_f32 v12, v28, v12 :: v_dual_mul_f32 v15, v15, v11
	s_delay_alu instid0(VALU_DEP_1) | instskip(SKIP_3) | instid1(VALU_DEP_4)
	v_mul_f32_e32 v16, v16, v12
	v_add_co_u32 v11, vcc_lo, s3, v13
	v_add_co_ci_u32_e32 v12, vcc_lo, s39, v14, vcc_lo
	v_dual_mul_f32 v13, v17, v19 :: v_dual_mul_f32 v14, v18, v20
	v_max3_f32 v4, v4, |v15|, |v16|
	s_delay_alu instid0(VALU_DEP_3) | instskip(SKIP_1) | instid1(VALU_DEP_1)
	v_cmp_ge_i64_e32 vcc_lo, v[11:12], v[9:10]
	v_add_co_u32 v21, s3, v21, s22
	v_add_co_ci_u32_e64 v22, s3, s23, v22, s3
	s_delay_alu instid0(VALU_DEP_4)
	v_max3_f32 v4, v4, |v13|, |v14|
	s_or_not1_b32 s3, vcc_lo, exec_lo
	s_branch .LBB21_18
.LBB21_25:
	s_or_b32 exec_lo, exec_lo, s34
.LBB21_26:
	s_delay_alu instid0(SALU_CYCLE_1)
	s_or_b32 exec_lo, exec_lo, s9
	s_lshr_b32 s9, s33, 5
	v_lshlrev_b32_e32 v29, 2, v0
	v_cvt_f32_u32_e32 v9, s9
	s_sub_i32 s14, 0, s9
	s_add_i32 s17, s16, s9
	s_delay_alu instid0(SALU_CYCLE_1) | instskip(NEXT) | instid1(VALU_DEP_1)
	s_add_i32 s22, s17, -1
	v_rcp_iflag_f32_e32 v9, v9
	s_abs_i32 s23, s22
	s_ashr_i32 s17, s16, 31
	s_ashr_i32 s22, s22, 31
	ds_store_b32 v29, v4
	s_waitcnt lgkmcnt(0)
	s_barrier
	buffer_gl0_inv
	v_mul_f32_e32 v9, 0x4f7ffffe, v9
	s_delay_alu instid0(VALU_DEP_1) | instskip(NEXT) | instid1(VALU_DEP_1)
	v_cvt_u32_f32_e32 v9, v9
	v_readfirstlane_b32 s3, v9
	s_delay_alu instid0(VALU_DEP_1) | instskip(NEXT) | instid1(SALU_CYCLE_1)
	s_mul_i32 s14, s14, s3
	s_mul_hi_u32 s14, s3, s14
	s_delay_alu instid0(SALU_CYCLE_1) | instskip(NEXT) | instid1(SALU_CYCLE_1)
	s_add_i32 s3, s3, s14
	s_mul_hi_u32 s3, s23, s3
	s_delay_alu instid0(SALU_CYCLE_1) | instskip(NEXT) | instid1(SALU_CYCLE_1)
	s_mul_i32 s14, s3, s9
	s_sub_i32 s14, s23, s14
	s_add_i32 s23, s3, 1
	s_sub_i32 s24, s14, s9
	s_cmp_ge_u32 s14, s9
	s_cselect_b32 s3, s23, s3
	s_cselect_b32 s14, s24, s14
	s_add_i32 s23, s3, 1
	s_cmp_ge_u32 s14, s9
	s_cselect_b32 s3, s23, s3
	s_delay_alu instid0(SALU_CYCLE_1) | instskip(NEXT) | instid1(SALU_CYCLE_1)
	s_xor_b32 s3, s3, s22
	s_sub_i32 s22, s3, s22
	s_delay_alu instid0(SALU_CYCLE_1) | instskip(NEXT) | instid1(SALU_CYCLE_1)
	s_ashr_i32 s23, s22, 31
	v_cmp_lt_i64_e64 s3, s[22:23], 1
	s_delay_alu instid0(VALU_DEP_1)
	s_and_b32 vcc_lo, exec_lo, s3
	s_cbranch_vccnz .LBB21_46
; %bb.27:
	v_lshrrev_b32_e32 v9, 5, v0
	v_and_b32_e32 v4, 31, v0
	s_mov_b64 s[24:25], 0
	s_mov_b64 s[26:27], src_shared_base
	s_delay_alu instid0(VALU_DEP_2) | instskip(NEXT) | instid1(VALU_DEP_2)
	v_mul_lo_u32 v19, s20, v9
	v_add_co_u32 v11, s3, v4, 16
	s_delay_alu instid0(VALU_DEP_1) | instskip(SKIP_1) | instid1(VALU_DEP_1)
	v_add_co_ci_u32_e64 v12, null, 0, 0, s3
	v_add_co_u32 v13, s3, v4, 8
	v_add_co_ci_u32_e64 v14, null, 0, 0, s3
	v_add_co_u32 v15, s3, v4, 4
	v_dual_mov_b32 v10, 0 :: v_dual_lshlrev_b32 v21, 2, v19
	v_lshlrev_b32_e32 v22, 2, v4
	v_add_co_ci_u32_e64 v16, null, 0, 0, s3
	v_add_co_u32 v17, s3, v4, 2
	s_delay_alu instid0(VALU_DEP_1) | instskip(SKIP_1) | instid1(VALU_DEP_1)
	v_add_co_ci_u32_e64 v18, null, 0, 0, s3
	v_add_co_u32 v19, s3, v4, 1
	v_add_co_ci_u32_e64 v20, null, 0, 0, s3
	v_add3_u32 v30, v21, v22, 0x80
	s_mul_i32 s3, s20, s9
	s_delay_alu instid0(SALU_CYCLE_1)
	s_lshl_b32 s14, s3, 2
	s_branch .LBB21_30
.LBB21_28:                              ;   in Loop: Header=BB21_30 Depth=1
	s_or_b32 exec_lo, exec_lo, s3
	v_mov_b32_e32 v22, s27
	flat_load_b32 v21, v[21:22] glc dlc
	s_waitcnt vmcnt(0)
.LBB21_29:                              ;   in Loop: Header=BB21_30 Depth=1
	s_or_b32 exec_lo, exec_lo, s26
	s_add_u32 s24, s24, 1
	v_add_nc_u32_e32 v30, s14, v30
	s_addc_u32 s25, s25, 0
	s_delay_alu instid0(SALU_CYCLE_1)
	s_cmp_eq_u64 s[24:25], s[22:23]
	s_cbranch_scc1 .LBB21_46
.LBB21_30:                              ; =>This Loop Header: Depth=1
                                        ;     Child Loop BB21_33 Depth 2
	s_waitcnt lgkmcnt(0)
	v_mad_u64_u32 v[21:22], null, s24, s9, v[9:10]
	s_mov_b32 s26, exec_lo
	s_delay_alu instid0(VALU_DEP_1) | instskip(NEXT) | instid1(VALU_DEP_1)
	v_mad_u64_u32 v[23:24], null, s25, s9, v[22:23]
	v_mov_b32_e32 v22, v23
	s_delay_alu instid0(VALU_DEP_1)
	v_cmpx_gt_i64_e64 s[16:17], v[21:22]
	s_cbranch_execz .LBB21_29
; %bb.31:                               ;   in Loop: Header=BB21_30 Depth=1
	v_mul_lo_u32 v24, v22, s20
	v_mul_lo_u32 v25, v21, s21
	v_mad_u64_u32 v[22:23], null, v21, s20, 0
	s_delay_alu instid0(VALU_DEP_1) | instskip(NEXT) | instid1(VALU_DEP_2)
	v_add3_u32 v23, v23, v25, v24
	v_add_co_u32 v24, vcc_lo, v22, s20
	v_add_co_u32 v31, s3, v22, v4
	s_delay_alu instid0(VALU_DEP_3) | instskip(SKIP_2) | instid1(VALU_DEP_2)
	v_add_co_ci_u32_e32 v25, vcc_lo, s21, v23, vcc_lo
	v_add_co_ci_u32_e64 v21, s3, 0, v23, s3
	s_mov_b32 s3, exec_lo
	v_cmp_gt_i64_e32 vcc_lo, s[18:19], v[24:25]
	v_cndmask_b32_e32 v25, s19, v25, vcc_lo
	v_cndmask_b32_e32 v24, s18, v24, vcc_lo
	v_add_co_u32 v26, vcc_lo, v31, 32
	v_add_co_ci_u32_e32 v27, vcc_lo, 0, v21, vcc_lo
	v_lshlrev_b32_e32 v21, 2, v31
	s_delay_alu instid0(VALU_DEP_2)
	v_cmpx_lt_i64_e64 v[26:27], v[24:25]
	s_cbranch_execz .LBB21_34
; %bb.32:                               ;   in Loop: Header=BB21_30 Depth=1
	ds_load_b32 v33, v21
	v_mov_b32_e32 v32, v30
	s_mov_b32 s34, 0
.LBB21_33:                              ;   Parent Loop BB21_30 Depth=1
                                        ; =>  This Inner Loop Header: Depth=2
	ds_load_b32 v34, v32
	v_add_co_u32 v26, vcc_lo, v26, 32
	v_add_co_ci_u32_e32 v27, vcc_lo, 0, v27, vcc_lo
	s_waitcnt lgkmcnt(1)
	v_dual_max_f32 v33, v33, v33 :: v_dual_add_nc_u32 v32, 0x80, v32
	s_delay_alu instid0(VALU_DEP_2) | instskip(SKIP_3) | instid1(VALU_DEP_1)
	v_cmp_ge_i64_e32 vcc_lo, v[26:27], v[24:25]
	s_or_b32 s34, vcc_lo, s34
	s_waitcnt lgkmcnt(0)
	v_max_f32_e32 v34, v34, v34
	v_max_f32_e32 v33, v33, v34
	ds_store_b32 v21, v33
	s_and_not1_b32 exec_lo, exec_lo, s34
	s_cbranch_execnz .LBB21_33
.LBB21_34:                              ;   in Loop: Header=BB21_30 Depth=1
	s_or_b32 exec_lo, exec_lo, s3
	v_sub_co_u32 v22, vcc_lo, v24, v22
	v_sub_co_ci_u32_e32 v23, vcc_lo, v25, v23, vcc_lo
	s_mov_b32 s3, exec_lo
	s_delay_alu instid0(VALU_DEP_1) | instskip(SKIP_1) | instid1(VALU_DEP_1)
	v_cmp_gt_i64_e32 vcc_lo, 32, v[22:23]
	v_dual_cndmask_b32 v24, 0, v23 :: v_dual_cndmask_b32 v23, 32, v22
	v_cmpx_lt_i64_e64 v[11:12], v[23:24]
	s_cbranch_execz .LBB21_36
; %bb.35:                               ;   in Loop: Header=BB21_30 Depth=1
	v_dual_mov_b32 v22, s27 :: v_dual_add_nc_u32 v25, 64, v21
	v_mov_b32_e32 v26, s27
	flat_load_b32 v27, v[21:22] glc dlc
	s_waitcnt vmcnt(0)
	flat_load_b32 v25, v[25:26] glc dlc
	s_waitcnt vmcnt(0) lgkmcnt(0)
	v_dual_max_f32 v26, v27, v27 :: v_dual_max_f32 v25, v25, v25
	s_delay_alu instid0(VALU_DEP_1)
	v_max_f32_e32 v25, v26, v25
	flat_store_b32 v[21:22], v25 dlc
	s_waitcnt_vscnt null, 0x0
.LBB21_36:                              ;   in Loop: Header=BB21_30 Depth=1
	s_or_b32 exec_lo, exec_lo, s3
	s_delay_alu instid0(SALU_CYCLE_1)
	s_mov_b32 s3, exec_lo
	v_cmpx_lt_i64_e64 v[13:14], v[23:24]
	s_cbranch_execz .LBB21_38
; %bb.37:                               ;   in Loop: Header=BB21_30 Depth=1
	v_dual_mov_b32 v22, s27 :: v_dual_add_nc_u32 v25, 32, v21
	v_mov_b32_e32 v26, s27
	flat_load_b32 v27, v[21:22] glc dlc
	s_waitcnt vmcnt(0)
	flat_load_b32 v25, v[25:26] glc dlc
	s_waitcnt vmcnt(0) lgkmcnt(0)
	v_dual_max_f32 v26, v27, v27 :: v_dual_max_f32 v25, v25, v25
	s_delay_alu instid0(VALU_DEP_1)
	v_max_f32_e32 v25, v26, v25
	flat_store_b32 v[21:22], v25 dlc
	s_waitcnt_vscnt null, 0x0
.LBB21_38:                              ;   in Loop: Header=BB21_30 Depth=1
	s_or_b32 exec_lo, exec_lo, s3
	s_delay_alu instid0(SALU_CYCLE_1)
	s_mov_b32 s3, exec_lo
	v_cmpx_ge_i64_e64 v[15:16], v[23:24]
	s_xor_b32 s3, exec_lo, s3
; %bb.39:                               ;   in Loop: Header=BB21_30 Depth=1
                                        ; implicit-def: $vgpr21
; %bb.40:                               ;   in Loop: Header=BB21_30 Depth=1
	s_delay_alu instid0(SALU_CYCLE_1)
	s_and_not1_saveexec_b32 s3, s3
	s_cbranch_execz .LBB21_42
; %bb.41:                               ;   in Loop: Header=BB21_30 Depth=1
	v_dual_mov_b32 v22, s27 :: v_dual_add_nc_u32 v25, 16, v21
	v_mov_b32_e32 v26, s27
	flat_load_b32 v27, v[21:22] glc dlc
	s_waitcnt vmcnt(0)
	flat_load_b32 v25, v[25:26] glc dlc
	s_waitcnt vmcnt(0) lgkmcnt(0)
	v_dual_max_f32 v26, v27, v27 :: v_dual_max_f32 v25, v25, v25
	s_delay_alu instid0(VALU_DEP_1)
	v_max_f32_e32 v25, v26, v25
	flat_store_b32 v[21:22], v25 dlc
	s_waitcnt_vscnt null, 0x0
.LBB21_42:                              ;   in Loop: Header=BB21_30 Depth=1
	s_or_b32 exec_lo, exec_lo, s3
	v_lshlrev_b32_e32 v21, 2, v31
	s_mov_b32 s3, exec_lo
	v_cmpx_lt_i64_e64 v[17:18], v[23:24]
	s_cbranch_execz .LBB21_44
; %bb.43:                               ;   in Loop: Header=BB21_30 Depth=1
	s_delay_alu instid0(VALU_DEP_2)
	v_dual_mov_b32 v22, s27 :: v_dual_add_nc_u32 v25, 8, v21
	v_mov_b32_e32 v26, s27
	flat_load_b32 v27, v[21:22] glc dlc
	s_waitcnt vmcnt(0)
	flat_load_b32 v25, v[25:26] glc dlc
	s_waitcnt vmcnt(0) lgkmcnt(0)
	v_dual_max_f32 v26, v27, v27 :: v_dual_max_f32 v25, v25, v25
	s_delay_alu instid0(VALU_DEP_1)
	v_max_f32_e32 v25, v26, v25
	flat_store_b32 v[21:22], v25 dlc
	s_waitcnt_vscnt null, 0x0
.LBB21_44:                              ;   in Loop: Header=BB21_30 Depth=1
	s_or_b32 exec_lo, exec_lo, s3
	s_delay_alu instid0(SALU_CYCLE_1)
	s_mov_b32 s3, exec_lo
	v_cmpx_lt_i64_e64 v[19:20], v[23:24]
	s_cbranch_execz .LBB21_28
; %bb.45:                               ;   in Loop: Header=BB21_30 Depth=1
	v_dual_mov_b32 v22, s27 :: v_dual_add_nc_u32 v23, 4, v21
	v_mov_b32_e32 v24, s27
	flat_load_b32 v25, v[21:22] glc dlc
	s_waitcnt vmcnt(0)
	flat_load_b32 v23, v[23:24] glc dlc
	s_waitcnt vmcnt(0) lgkmcnt(0)
	v_dual_max_f32 v24, v25, v25 :: v_dual_max_f32 v23, v23, v23
	s_delay_alu instid0(VALU_DEP_1)
	v_max_f32_e32 v23, v24, v23
	flat_store_b32 v[21:22], v23 dlc
	s_waitcnt_vscnt null, 0x0
	s_branch .LBB21_28
.LBB21_46:
	v_cmp_lt_i64_e32 vcc_lo, v[7:8], v[5:6]
	v_cmp_eq_u32_e64 s3, 0, v3
	s_mul_i32 s9, s17, s15
	s_mul_hi_u32 s17, s16, s15
	s_mul_i32 s14, s16, s15
	s_waitcnt lgkmcnt(0)
	s_and_b32 s18, s3, vcc_lo
	s_barrier
	buffer_gl0_inv
	s_and_saveexec_b32 s3, s18
	s_cbranch_execz .LBB21_50
; %bb.47:
	s_load_b64 s[0:1], s[0:1], 0x20
	ds_load_b32 v3, v29
	s_waitcnt lgkmcnt(0)
	s_cmp_eq_u64 s[0:1], 0
	s_cbranch_scc1 .LBB21_49
; %bb.48:
	s_load_b32 s0, s[0:1], 0x0
	v_max_f32_e32 v3, v3, v3
	s_waitcnt lgkmcnt(0)
	v_max_f32_e64 v4, s0, s0
	s_delay_alu instid0(VALU_DEP_1)
	v_min_f32_e32 v3, v3, v4
.LBB21_49:
	s_delay_alu instid0(VALU_DEP_1) | instskip(SKIP_2) | instid1(VALU_DEP_2)
	v_div_scale_f32 v4, null, 0x43e00000, 0x43e00000, v3
	v_div_scale_f32 v7, vcc_lo, v3, 0x43e00000, v3
	s_add_i32 s15, s17, s9
	v_rcp_f32_e32 v5, v4
	v_lshlrev_b64 v[1:2], 2, v[1:2]
	s_lshl_b64 s[0:1], s[14:15], 2
	s_delay_alu instid0(SALU_CYCLE_1) | instskip(SKIP_3) | instid1(VALU_DEP_1)
	s_add_u32 s0, s6, s0
	s_addc_u32 s1, s7, s1
	s_waitcnt_depctr 0xfff
	v_fma_f32 v6, -v4, v5, 1.0
	v_fmac_f32_e32 v5, v6, v5
	s_delay_alu instid0(VALU_DEP_1) | instskip(NEXT) | instid1(VALU_DEP_1)
	v_mul_f32_e32 v6, v7, v5
	v_fma_f32 v8, -v4, v6, v7
	s_delay_alu instid0(VALU_DEP_1) | instskip(NEXT) | instid1(VALU_DEP_1)
	v_fmac_f32_e32 v6, v8, v5
	v_fma_f32 v4, -v4, v6, v7
	s_delay_alu instid0(VALU_DEP_1) | instskip(SKIP_2) | instid1(VALU_DEP_3)
	v_div_fmas_f32 v4, v4, v5, v6
	v_add_co_u32 v1, vcc_lo, s0, v1
	v_add_co_ci_u32_e32 v2, vcc_lo, s1, v2, vcc_lo
	v_div_fixup_f32 v3, v4, 0x43e00000, v3
	s_delay_alu instid0(VALU_DEP_1)
	v_max_f32_e32 v3, 0x36924925, v3
	global_store_b32 v[1:2], v3, off
.LBB21_50:
	s_or_b32 exec_lo, exec_lo, s3
	s_waitcnt_vscnt null, 0x0
	s_barrier
	buffer_gl0_inv
	s_and_saveexec_b32 s0, s2
	s_cbranch_execz .LBB21_155
; %bb.51:
	s_add_u32 s2, s4, s12
	s_addc_u32 s3, s5, s13
	s_add_i32 s15, s17, s9
	v_mov_b32_e32 v1, 0
	s_lshl_b64 s[0:1], s[14:15], 2
	s_mul_i32 s4, s33, 3
	s_add_u32 s0, s6, s0
	s_addc_u32 s1, s7, s1
	s_lshl_b32 s5, s33, 1
	s_mov_b32 s6, 0
	s_mov_b32 s7, 0x43e00000
	s_add_i32 s9, s33, s33
	s_branch .LBB21_57
.LBB21_52:                              ;   in Loop: Header=BB21_57 Depth=1
	s_or_b32 exec_lo, exec_lo, s16
.LBB21_53:                              ;   in Loop: Header=BB21_57 Depth=1
	s_delay_alu instid0(SALU_CYCLE_1)
	s_or_b32 exec_lo, exec_lo, s15
	v_lshrrev_b32_e32 v7, 24, v7
	v_lshrrev_b32_e32 v3, 24, v3
	;; [unrolled: 1-line block ×3, first 2 shown]
	v_lshlrev_b32_e32 v4, 24, v4
	v_and_b32_e32 v5, 0x80000000, v5
	v_and_b32_e32 v7, 0x80, v7
	;; [unrolled: 1-line block ×3, first 2 shown]
	s_delay_alu instid0(VALU_DEP_2) | instskip(NEXT) | instid1(VALU_DEP_2)
	v_and_or_b32 v6, 0xff, v6, v7
	v_and_or_b32 v9, 0xff, v2, v3
	v_lshlrev_b64 v[2:3], 2, v[0:1]
	v_and_b32_e32 v7, 0xff, v11
	v_add3_u32 v0, s9, s33, v10
	v_lshlrev_b32_e32 v6, 16, v6
	s_delay_alu instid0(VALU_DEP_3) | instskip(SKIP_1) | instid1(VALU_DEP_3)
	v_and_or_b32 v7, 0x80, v8, v7
	v_lshlrev_b32_e32 v8, 8, v9
	v_or3_b32 v4, v5, v4, v6
	v_add_co_u32 v2, vcc_lo, s2, v2
	v_add_co_ci_u32_e32 v3, vcc_lo, s3, v3, vcc_lo
	v_cmp_le_u32_e32 vcc_lo, s8, v0
	s_delay_alu instid0(VALU_DEP_4)
	v_or3_b32 v4, v4, v8, v7
	s_or_not1_b32 s15, vcc_lo, exec_lo
	global_store_b32 v[2:3], v4, off
.LBB21_54:                              ;   in Loop: Header=BB21_57 Depth=1
	s_or_b32 exec_lo, exec_lo, s14
	s_delay_alu instid0(SALU_CYCLE_1)
	s_or_not1_b32 s14, s15, exec_lo
.LBB21_55:                              ;   in Loop: Header=BB21_57 Depth=1
	s_or_b32 exec_lo, exec_lo, s13
	s_delay_alu instid0(SALU_CYCLE_1)
	s_or_not1_b32 s13, s14, exec_lo
.LBB21_56:                              ;   in Loop: Header=BB21_57 Depth=1
	s_or_b32 exec_lo, exec_lo, s12
	s_delay_alu instid0(SALU_CYCLE_1) | instskip(NEXT) | instid1(SALU_CYCLE_1)
	s_and_b32 s12, exec_lo, s13
	s_or_b32 s6, s12, s6
	s_delay_alu instid0(SALU_CYCLE_1)
	s_and_not1_b32 exec_lo, exec_lo, s6
	s_cbranch_execz .LBB21_155
.LBB21_57:                              ; =>This Inner Loop Header: Depth=1
	v_lshlrev_b64 v[2:3], 4, v[0:1]
	s_mov_b32 s12, exec_lo
	s_delay_alu instid0(VALU_DEP_1) | instskip(NEXT) | instid1(VALU_DEP_2)
	v_add_co_u32 v4, vcc_lo, s28, v2
	v_add_co_ci_u32_e32 v5, vcc_lo, s29, v3, vcc_lo
	v_add_co_u32 v17, vcc_lo, s30, v2
	v_add_co_ci_u32_e32 v18, vcc_lo, s31, v3, vcc_lo
	v_add_co_u32 v2, vcc_lo, s10, v2
	global_load_b128 v[6:9], v[4:5], off
	global_load_b128 v[13:16], v[17:18], off
	v_lshrrev_b32_e32 v4, 3, v0
	v_add_co_ci_u32_e32 v3, vcc_lo, s11, v3, vcc_lo
	s_delay_alu instid0(VALU_DEP_2)
	v_and_b32_e32 v10, 0x7fffffc, v4
	global_load_b128 v[2:5], v[2:3], off
	global_load_b32 v12, v10, s[0:1]
	s_waitcnt vmcnt(2)
	v_add_f32_e32 v6, v6, v13
	v_dual_add_f32 v8, v8, v15 :: v_dual_add_f32 v9, v9, v16
	v_add_f32_e32 v7, v7, v14
	s_delay_alu instid0(VALU_DEP_3) | instskip(SKIP_1) | instid1(VALU_DEP_1)
	v_mul_f32_e32 v10, v28, v6
	s_waitcnt vmcnt(1)
	v_mul_f32_e32 v2, v2, v10
	s_waitcnt vmcnt(0)
	s_delay_alu instid0(VALU_DEP_1) | instskip(SKIP_1) | instid1(VALU_DEP_2)
	v_div_scale_f32 v10, null, v12, v12, v2
	v_div_scale_f32 v19, vcc_lo, v2, v12, v2
	v_rcp_f32_e32 v11, v10
	s_waitcnt_depctr 0xfff
	v_fma_f32 v13, -v10, v11, 1.0
	s_delay_alu instid0(VALU_DEP_1) | instskip(NEXT) | instid1(VALU_DEP_1)
	v_fmac_f32_e32 v11, v13, v11
	v_mul_f32_e32 v13, v19, v11
	global_store_b128 v[17:18], v[6:9], off
	v_fma_f32 v20, -v10, v13, v19
	s_delay_alu instid0(VALU_DEP_1) | instskip(NEXT) | instid1(VALU_DEP_1)
	v_fmac_f32_e32 v13, v20, v11
	v_fma_f32 v10, -v10, v13, v19
	s_delay_alu instid0(VALU_DEP_1) | instskip(NEXT) | instid1(VALU_DEP_1)
	v_div_fmas_f32 v10, v10, v11, v13
	v_div_fixup_f32 v2, v10, v12, v2
	v_mov_b32_e32 v10, 0x7f
	s_delay_alu instid0(VALU_DEP_2) | instskip(SKIP_1) | instid1(VALU_DEP_2)
	v_minmax_f32 v11, v2, s7, 0xc3e00000
	v_mov_b32_e32 v2, 0x7f
	v_and_b32_e32 v13, 0x7fffffff, v11
	s_delay_alu instid0(VALU_DEP_1)
	v_cmpx_gt_u32_e32 0x43f00000, v13
	s_cbranch_execz .LBB21_63
; %bb.58:                               ;   in Loop: Header=BB21_57 Depth=1
	s_mov_b32 s13, exec_lo
                                        ; implicit-def: $vgpr10
	v_cmpx_lt_u32_e32 0x3c7fffff, v13
	s_xor_b32 s13, exec_lo, s13
; %bb.59:                               ;   in Loop: Header=BB21_57 Depth=1
	v_bfe_u32 v6, v11, 20, 1
	s_delay_alu instid0(VALU_DEP_1) | instskip(NEXT) | instid1(VALU_DEP_1)
	v_add3_u32 v6, v11, v6, 0x407ffff
	v_lshrrev_b32_e32 v10, 20, v6
; %bb.60:                               ;   in Loop: Header=BB21_57 Depth=1
	s_and_not1_saveexec_b32 s13, s13
; %bb.61:                               ;   in Loop: Header=BB21_57 Depth=1
	v_add_f32_e64 v10, 0x46800000, |v11|
; %bb.62:                               ;   in Loop: Header=BB21_57 Depth=1
	s_or_b32 exec_lo, exec_lo, s13
.LBB21_63:                              ;   in Loop: Header=BB21_57 Depth=1
	s_delay_alu instid0(SALU_CYCLE_1) | instskip(SKIP_2) | instid1(VALU_DEP_1)
	s_or_b32 exec_lo, exec_lo, s12
	v_mul_f32_e32 v6, v28, v7
	s_mov_b32 s12, exec_lo
	v_mul_f32_e32 v3, v3, v6
	s_delay_alu instid0(VALU_DEP_1) | instskip(NEXT) | instid1(VALU_DEP_1)
	v_div_scale_f32 v6, null, v12, v12, v3
	v_rcp_f32_e32 v7, v6
	s_waitcnt_depctr 0xfff
	v_fma_f32 v13, -v6, v7, 1.0
	s_delay_alu instid0(VALU_DEP_1) | instskip(SKIP_1) | instid1(VALU_DEP_1)
	v_fmac_f32_e32 v7, v13, v7
	v_div_scale_f32 v13, vcc_lo, v3, v12, v3
	v_mul_f32_e32 v14, v13, v7
	s_delay_alu instid0(VALU_DEP_1) | instskip(NEXT) | instid1(VALU_DEP_1)
	v_fma_f32 v15, -v6, v14, v13
	v_fmac_f32_e32 v14, v15, v7
	s_delay_alu instid0(VALU_DEP_1) | instskip(NEXT) | instid1(VALU_DEP_1)
	v_fma_f32 v6, -v6, v14, v13
	v_div_fmas_f32 v6, v6, v7, v14
	s_delay_alu instid0(VALU_DEP_1) | instskip(NEXT) | instid1(VALU_DEP_1)
	v_div_fixup_f32 v3, v6, v12, v3
	v_minmax_f32 v3, v3, s7, 0xc3e00000
	s_delay_alu instid0(VALU_DEP_1) | instskip(NEXT) | instid1(VALU_DEP_1)
	v_and_b32_e32 v6, 0x7fffffff, v3
	v_cmpx_gt_u32_e32 0x43f00000, v6
	s_cbranch_execz .LBB21_69
; %bb.64:                               ;   in Loop: Header=BB21_57 Depth=1
	s_mov_b32 s13, exec_lo
                                        ; implicit-def: $vgpr2
	v_cmpx_lt_u32_e32 0x3c7fffff, v6
	s_xor_b32 s13, exec_lo, s13
; %bb.65:                               ;   in Loop: Header=BB21_57 Depth=1
	v_bfe_u32 v2, v3, 20, 1
	s_delay_alu instid0(VALU_DEP_1) | instskip(NEXT) | instid1(VALU_DEP_1)
	v_add3_u32 v2, v3, v2, 0x407ffff
	v_lshrrev_b32_e32 v2, 20, v2
; %bb.66:                               ;   in Loop: Header=BB21_57 Depth=1
	s_and_not1_saveexec_b32 s13, s13
; %bb.67:                               ;   in Loop: Header=BB21_57 Depth=1
	v_add_f32_e64 v2, 0x46800000, |v3|
; %bb.68:                               ;   in Loop: Header=BB21_57 Depth=1
	s_or_b32 exec_lo, exec_lo, s13
.LBB21_69:                              ;   in Loop: Header=BB21_57 Depth=1
	s_delay_alu instid0(SALU_CYCLE_1) | instskip(SKIP_2) | instid1(VALU_DEP_1)
	s_or_b32 exec_lo, exec_lo, s12
	v_mul_f32_e32 v6, v28, v8
	s_mov_b32 s12, exec_lo
	v_mul_f32_e32 v4, v4, v6
	s_delay_alu instid0(VALU_DEP_1) | instskip(SKIP_1) | instid1(VALU_DEP_2)
	v_div_scale_f32 v6, null, v12, v12, v4
	v_div_scale_f32 v13, vcc_lo, v4, v12, v4
	v_rcp_f32_e32 v7, v6
	s_waitcnt_depctr 0xfff
	v_fma_f32 v8, -v6, v7, 1.0
	s_delay_alu instid0(VALU_DEP_1) | instskip(NEXT) | instid1(VALU_DEP_1)
	v_fmac_f32_e32 v7, v8, v7
	v_mul_f32_e32 v8, v13, v7
	s_delay_alu instid0(VALU_DEP_1) | instskip(NEXT) | instid1(VALU_DEP_1)
	v_fma_f32 v14, -v6, v8, v13
	v_fmac_f32_e32 v8, v14, v7
	s_delay_alu instid0(VALU_DEP_1) | instskip(NEXT) | instid1(VALU_DEP_1)
	v_fma_f32 v6, -v6, v8, v13
	v_div_fmas_f32 v6, v6, v7, v8
	s_delay_alu instid0(VALU_DEP_1) | instskip(SKIP_1) | instid1(VALU_DEP_2)
	v_div_fixup_f32 v4, v6, v12, v4
	v_mov_b32_e32 v6, 0x7f
	v_minmax_f32 v7, v4, s7, 0xc3e00000
	v_mov_b32_e32 v4, 0x7f
	s_delay_alu instid0(VALU_DEP_2) | instskip(NEXT) | instid1(VALU_DEP_1)
	v_and_b32_e32 v8, 0x7fffffff, v7
	v_cmpx_gt_u32_e32 0x43f00000, v8
	s_cbranch_execz .LBB21_75
; %bb.70:                               ;   in Loop: Header=BB21_57 Depth=1
	s_mov_b32 s13, exec_lo
                                        ; implicit-def: $vgpr6
	v_cmpx_lt_u32_e32 0x3c7fffff, v8
	s_xor_b32 s13, exec_lo, s13
; %bb.71:                               ;   in Loop: Header=BB21_57 Depth=1
	v_bfe_u32 v6, v7, 20, 1
	s_delay_alu instid0(VALU_DEP_1) | instskip(NEXT) | instid1(VALU_DEP_1)
	v_add3_u32 v6, v7, v6, 0x407ffff
	v_lshrrev_b32_e32 v6, 20, v6
; %bb.72:                               ;   in Loop: Header=BB21_57 Depth=1
	s_and_not1_saveexec_b32 s13, s13
; %bb.73:                               ;   in Loop: Header=BB21_57 Depth=1
	v_add_f32_e64 v6, 0x46800000, |v7|
; %bb.74:                               ;   in Loop: Header=BB21_57 Depth=1
	s_or_b32 exec_lo, exec_lo, s13
.LBB21_75:                              ;   in Loop: Header=BB21_57 Depth=1
	s_delay_alu instid0(SALU_CYCLE_1) | instskip(SKIP_2) | instid1(VALU_DEP_1)
	s_or_b32 exec_lo, exec_lo, s12
	v_mul_f32_e32 v8, v28, v9
	s_mov_b32 s12, exec_lo
	v_mul_f32_e32 v5, v5, v8
	s_delay_alu instid0(VALU_DEP_1) | instskip(NEXT) | instid1(VALU_DEP_1)
	v_div_scale_f32 v8, null, v12, v12, v5
	v_rcp_f32_e32 v9, v8
	s_waitcnt_depctr 0xfff
	v_fma_f32 v13, -v8, v9, 1.0
	s_delay_alu instid0(VALU_DEP_1) | instskip(SKIP_1) | instid1(VALU_DEP_1)
	v_fmac_f32_e32 v9, v13, v9
	v_div_scale_f32 v13, vcc_lo, v5, v12, v5
	v_mul_f32_e32 v14, v13, v9
	s_delay_alu instid0(VALU_DEP_1) | instskip(NEXT) | instid1(VALU_DEP_1)
	v_fma_f32 v15, -v8, v14, v13
	v_fmac_f32_e32 v14, v15, v9
	s_delay_alu instid0(VALU_DEP_1) | instskip(NEXT) | instid1(VALU_DEP_1)
	v_fma_f32 v8, -v8, v14, v13
	v_div_fmas_f32 v8, v8, v9, v14
	s_delay_alu instid0(VALU_DEP_1) | instskip(NEXT) | instid1(VALU_DEP_1)
	v_div_fixup_f32 v5, v8, v12, v5
	v_minmax_f32 v5, v5, s7, 0xc3e00000
	s_delay_alu instid0(VALU_DEP_1) | instskip(NEXT) | instid1(VALU_DEP_1)
	v_and_b32_e32 v8, 0x7fffffff, v5
	v_cmpx_gt_u32_e32 0x43f00000, v8
	s_cbranch_execz .LBB21_81
; %bb.76:                               ;   in Loop: Header=BB21_57 Depth=1
	s_mov_b32 s13, exec_lo
                                        ; implicit-def: $vgpr4
	v_cmpx_lt_u32_e32 0x3c7fffff, v8
	s_xor_b32 s13, exec_lo, s13
; %bb.77:                               ;   in Loop: Header=BB21_57 Depth=1
	v_bfe_u32 v4, v5, 20, 1
	s_delay_alu instid0(VALU_DEP_1) | instskip(NEXT) | instid1(VALU_DEP_1)
	v_add3_u32 v4, v5, v4, 0x407ffff
	v_lshrrev_b32_e32 v4, 20, v4
; %bb.78:                               ;   in Loop: Header=BB21_57 Depth=1
	s_and_not1_saveexec_b32 s13, s13
; %bb.79:                               ;   in Loop: Header=BB21_57 Depth=1
	v_add_f32_e64 v4, 0x46800000, |v5|
; %bb.80:                               ;   in Loop: Header=BB21_57 Depth=1
	s_or_b32 exec_lo, exec_lo, s13
.LBB21_81:                              ;   in Loop: Header=BB21_57 Depth=1
	s_delay_alu instid0(SALU_CYCLE_1)
	s_or_b32 exec_lo, exec_lo, s12
	v_lshrrev_b32_e32 v7, 24, v7
	v_lshrrev_b32_e32 v3, 24, v3
	v_lshrrev_b32_e32 v8, 24, v11
	v_lshlrev_b32_e32 v4, 24, v4
	v_and_b32_e32 v5, 0x80000000, v5
	v_and_b32_e32 v7, 0x80, v7
	;; [unrolled: 1-line block ×3, first 2 shown]
	s_mov_b32 s13, -1
	s_mov_b32 s12, exec_lo
	s_delay_alu instid0(VALU_DEP_2)
	v_and_or_b32 v6, 0xff, v6, v7
	v_and_b32_e32 v7, 0xff, v10
	v_and_or_b32 v9, 0xff, v2, v3
	v_lshlrev_b64 v[2:3], 2, v[0:1]
	v_add_nc_u32_e32 v10, s33, v0
	v_lshlrev_b32_e32 v6, 16, v6
	v_and_or_b32 v7, 0x80, v8, v7
	v_lshlrev_b32_e32 v8, 8, v9
	v_add_co_u32 v2, vcc_lo, s2, v2
	s_delay_alu instid0(VALU_DEP_4) | instskip(SKIP_1) | instid1(VALU_DEP_2)
	v_or3_b32 v4, v5, v4, v6
	v_add_co_ci_u32_e32 v3, vcc_lo, s3, v3, vcc_lo
	v_or3_b32 v4, v4, v8, v7
	global_store_b32 v[2:3], v4, off
	v_cmpx_gt_u32_e64 s8, v10
	s_cbranch_execz .LBB21_56
; %bb.82:                               ;   in Loop: Header=BB21_57 Depth=1
	v_mov_b32_e32 v11, v1
	s_mov_b32 s13, exec_lo
	s_delay_alu instid0(VALU_DEP_1) | instskip(NEXT) | instid1(VALU_DEP_1)
	v_lshlrev_b64 v[2:3], 4, v[10:11]
	v_add_co_u32 v4, vcc_lo, s28, v2
	s_delay_alu instid0(VALU_DEP_2)
	v_add_co_ci_u32_e32 v5, vcc_lo, s29, v3, vcc_lo
	v_add_co_u32 v19, vcc_lo, s30, v2
	v_add_co_ci_u32_e32 v20, vcc_lo, s31, v3, vcc_lo
	v_add_co_u32 v2, vcc_lo, s10, v2
	global_load_b128 v[6:9], v[4:5], off
	global_load_b128 v[15:18], v[19:20], off
	v_lshrrev_b32_e32 v4, 3, v10
	v_add_co_ci_u32_e32 v3, vcc_lo, s11, v3, vcc_lo
	s_delay_alu instid0(VALU_DEP_2)
	v_and_b32_e32 v12, 0x7fffffc, v4
	global_load_b128 v[2:5], v[2:3], off
	global_load_b32 v14, v12, s[0:1]
	s_waitcnt vmcnt(2)
	v_dual_add_f32 v6, v6, v15 :: v_dual_add_f32 v7, v7, v16
	v_dual_add_f32 v8, v8, v17 :: v_dual_add_f32 v9, v9, v18
	s_delay_alu instid0(VALU_DEP_2) | instskip(SKIP_1) | instid1(VALU_DEP_1)
	v_mul_f32_e32 v12, v28, v6
	s_waitcnt vmcnt(1)
	v_mul_f32_e32 v2, v2, v12
	s_waitcnt vmcnt(0)
	s_delay_alu instid0(VALU_DEP_1) | instskip(SKIP_1) | instid1(VALU_DEP_2)
	v_div_scale_f32 v12, null, v14, v14, v2
	v_div_scale_f32 v21, vcc_lo, v2, v14, v2
	v_rcp_f32_e32 v13, v12
	s_waitcnt_depctr 0xfff
	v_fma_f32 v15, -v12, v13, 1.0
	s_delay_alu instid0(VALU_DEP_1) | instskip(NEXT) | instid1(VALU_DEP_1)
	v_fmac_f32_e32 v13, v15, v13
	v_mul_f32_e32 v15, v21, v13
	s_delay_alu instid0(VALU_DEP_1) | instskip(NEXT) | instid1(VALU_DEP_1)
	v_fma_f32 v22, -v12, v15, v21
	v_fmac_f32_e32 v15, v22, v13
	s_delay_alu instid0(VALU_DEP_1) | instskip(NEXT) | instid1(VALU_DEP_1)
	v_fma_f32 v12, -v12, v15, v21
	v_div_fmas_f32 v12, v12, v13, v15
	s_delay_alu instid0(VALU_DEP_1) | instskip(SKIP_4) | instid1(VALU_DEP_2)
	v_div_fixup_f32 v2, v12, v14, v2
	v_mov_b32_e32 v12, 0x7f
	global_store_b128 v[19:20], v[6:9], off
	v_minmax_f32 v13, v2, s7, 0xc3e00000
	v_mov_b32_e32 v2, 0x7f
	v_and_b32_e32 v15, 0x7fffffff, v13
	s_delay_alu instid0(VALU_DEP_1)
	v_cmpx_gt_u32_e32 0x43f00000, v15
	s_cbranch_execz .LBB21_88
; %bb.83:                               ;   in Loop: Header=BB21_57 Depth=1
	s_mov_b32 s14, exec_lo
                                        ; implicit-def: $vgpr12
	v_cmpx_lt_u32_e32 0x3c7fffff, v15
	s_xor_b32 s14, exec_lo, s14
; %bb.84:                               ;   in Loop: Header=BB21_57 Depth=1
	v_bfe_u32 v6, v13, 20, 1
	s_delay_alu instid0(VALU_DEP_1) | instskip(NEXT) | instid1(VALU_DEP_1)
	v_add3_u32 v6, v13, v6, 0x407ffff
	v_lshrrev_b32_e32 v12, 20, v6
; %bb.85:                               ;   in Loop: Header=BB21_57 Depth=1
	s_and_not1_saveexec_b32 s14, s14
; %bb.86:                               ;   in Loop: Header=BB21_57 Depth=1
	v_add_f32_e64 v12, 0x46800000, |v13|
; %bb.87:                               ;   in Loop: Header=BB21_57 Depth=1
	s_or_b32 exec_lo, exec_lo, s14
.LBB21_88:                              ;   in Loop: Header=BB21_57 Depth=1
	s_delay_alu instid0(SALU_CYCLE_1) | instskip(SKIP_2) | instid1(VALU_DEP_1)
	s_or_b32 exec_lo, exec_lo, s13
	v_mul_f32_e32 v6, v28, v7
	s_mov_b32 s13, exec_lo
	v_mul_f32_e32 v3, v3, v6
	s_delay_alu instid0(VALU_DEP_1) | instskip(NEXT) | instid1(VALU_DEP_1)
	v_div_scale_f32 v6, null, v14, v14, v3
	v_rcp_f32_e32 v7, v6
	s_waitcnt_depctr 0xfff
	v_fma_f32 v15, -v6, v7, 1.0
	s_delay_alu instid0(VALU_DEP_1) | instskip(SKIP_1) | instid1(VALU_DEP_1)
	v_fmac_f32_e32 v7, v15, v7
	v_div_scale_f32 v15, vcc_lo, v3, v14, v3
	v_mul_f32_e32 v16, v15, v7
	s_delay_alu instid0(VALU_DEP_1) | instskip(NEXT) | instid1(VALU_DEP_1)
	v_fma_f32 v17, -v6, v16, v15
	v_fmac_f32_e32 v16, v17, v7
	s_delay_alu instid0(VALU_DEP_1) | instskip(NEXT) | instid1(VALU_DEP_1)
	v_fma_f32 v6, -v6, v16, v15
	v_div_fmas_f32 v6, v6, v7, v16
	s_delay_alu instid0(VALU_DEP_1) | instskip(NEXT) | instid1(VALU_DEP_1)
	v_div_fixup_f32 v3, v6, v14, v3
	v_minmax_f32 v3, v3, s7, 0xc3e00000
	s_delay_alu instid0(VALU_DEP_1) | instskip(NEXT) | instid1(VALU_DEP_1)
	v_and_b32_e32 v6, 0x7fffffff, v3
	v_cmpx_gt_u32_e32 0x43f00000, v6
	s_cbranch_execz .LBB21_94
; %bb.89:                               ;   in Loop: Header=BB21_57 Depth=1
	s_mov_b32 s14, exec_lo
                                        ; implicit-def: $vgpr2
	v_cmpx_lt_u32_e32 0x3c7fffff, v6
	s_xor_b32 s14, exec_lo, s14
; %bb.90:                               ;   in Loop: Header=BB21_57 Depth=1
	v_bfe_u32 v2, v3, 20, 1
	s_delay_alu instid0(VALU_DEP_1) | instskip(NEXT) | instid1(VALU_DEP_1)
	v_add3_u32 v2, v3, v2, 0x407ffff
	v_lshrrev_b32_e32 v2, 20, v2
; %bb.91:                               ;   in Loop: Header=BB21_57 Depth=1
	s_and_not1_saveexec_b32 s14, s14
; %bb.92:                               ;   in Loop: Header=BB21_57 Depth=1
	v_add_f32_e64 v2, 0x46800000, |v3|
; %bb.93:                               ;   in Loop: Header=BB21_57 Depth=1
	s_or_b32 exec_lo, exec_lo, s14
.LBB21_94:                              ;   in Loop: Header=BB21_57 Depth=1
	s_delay_alu instid0(SALU_CYCLE_1) | instskip(SKIP_2) | instid1(VALU_DEP_1)
	s_or_b32 exec_lo, exec_lo, s13
	v_mul_f32_e32 v6, v28, v8
	s_mov_b32 s13, exec_lo
	v_mul_f32_e32 v4, v4, v6
	s_delay_alu instid0(VALU_DEP_1) | instskip(SKIP_1) | instid1(VALU_DEP_2)
	v_div_scale_f32 v6, null, v14, v14, v4
	v_div_scale_f32 v15, vcc_lo, v4, v14, v4
	v_rcp_f32_e32 v7, v6
	s_waitcnt_depctr 0xfff
	v_fma_f32 v8, -v6, v7, 1.0
	s_delay_alu instid0(VALU_DEP_1) | instskip(NEXT) | instid1(VALU_DEP_1)
	v_fmac_f32_e32 v7, v8, v7
	v_mul_f32_e32 v8, v15, v7
	s_delay_alu instid0(VALU_DEP_1) | instskip(NEXT) | instid1(VALU_DEP_1)
	v_fma_f32 v16, -v6, v8, v15
	v_fmac_f32_e32 v8, v16, v7
	s_delay_alu instid0(VALU_DEP_1) | instskip(NEXT) | instid1(VALU_DEP_1)
	v_fma_f32 v6, -v6, v8, v15
	v_div_fmas_f32 v6, v6, v7, v8
	s_delay_alu instid0(VALU_DEP_1) | instskip(SKIP_1) | instid1(VALU_DEP_2)
	v_div_fixup_f32 v4, v6, v14, v4
	v_mov_b32_e32 v6, 0x7f
	v_minmax_f32 v7, v4, s7, 0xc3e00000
	v_mov_b32_e32 v4, 0x7f
	s_delay_alu instid0(VALU_DEP_2) | instskip(NEXT) | instid1(VALU_DEP_1)
	v_and_b32_e32 v8, 0x7fffffff, v7
	v_cmpx_gt_u32_e32 0x43f00000, v8
	s_cbranch_execz .LBB21_100
; %bb.95:                               ;   in Loop: Header=BB21_57 Depth=1
	s_mov_b32 s14, exec_lo
                                        ; implicit-def: $vgpr6
	v_cmpx_lt_u32_e32 0x3c7fffff, v8
	s_xor_b32 s14, exec_lo, s14
; %bb.96:                               ;   in Loop: Header=BB21_57 Depth=1
	v_bfe_u32 v6, v7, 20, 1
	s_delay_alu instid0(VALU_DEP_1) | instskip(NEXT) | instid1(VALU_DEP_1)
	v_add3_u32 v6, v7, v6, 0x407ffff
	v_lshrrev_b32_e32 v6, 20, v6
; %bb.97:                               ;   in Loop: Header=BB21_57 Depth=1
	s_and_not1_saveexec_b32 s14, s14
; %bb.98:                               ;   in Loop: Header=BB21_57 Depth=1
	v_add_f32_e64 v6, 0x46800000, |v7|
; %bb.99:                               ;   in Loop: Header=BB21_57 Depth=1
	s_or_b32 exec_lo, exec_lo, s14
.LBB21_100:                             ;   in Loop: Header=BB21_57 Depth=1
	s_delay_alu instid0(SALU_CYCLE_1) | instskip(SKIP_2) | instid1(VALU_DEP_1)
	s_or_b32 exec_lo, exec_lo, s13
	v_mul_f32_e32 v8, v28, v9
	s_mov_b32 s13, exec_lo
	v_mul_f32_e32 v5, v5, v8
	s_delay_alu instid0(VALU_DEP_1) | instskip(NEXT) | instid1(VALU_DEP_1)
	v_div_scale_f32 v8, null, v14, v14, v5
	v_rcp_f32_e32 v9, v8
	s_waitcnt_depctr 0xfff
	v_fma_f32 v15, -v8, v9, 1.0
	s_delay_alu instid0(VALU_DEP_1) | instskip(SKIP_1) | instid1(VALU_DEP_1)
	v_fmac_f32_e32 v9, v15, v9
	v_div_scale_f32 v15, vcc_lo, v5, v14, v5
	v_mul_f32_e32 v16, v15, v9
	s_delay_alu instid0(VALU_DEP_1) | instskip(NEXT) | instid1(VALU_DEP_1)
	v_fma_f32 v17, -v8, v16, v15
	v_fmac_f32_e32 v16, v17, v9
	s_delay_alu instid0(VALU_DEP_1) | instskip(NEXT) | instid1(VALU_DEP_1)
	v_fma_f32 v8, -v8, v16, v15
	v_div_fmas_f32 v8, v8, v9, v16
	s_delay_alu instid0(VALU_DEP_1) | instskip(NEXT) | instid1(VALU_DEP_1)
	v_div_fixup_f32 v5, v8, v14, v5
	v_minmax_f32 v5, v5, s7, 0xc3e00000
	s_delay_alu instid0(VALU_DEP_1) | instskip(NEXT) | instid1(VALU_DEP_1)
	v_and_b32_e32 v8, 0x7fffffff, v5
	v_cmpx_gt_u32_e32 0x43f00000, v8
	s_cbranch_execz .LBB21_106
; %bb.101:                              ;   in Loop: Header=BB21_57 Depth=1
	s_mov_b32 s14, exec_lo
                                        ; implicit-def: $vgpr4
	v_cmpx_lt_u32_e32 0x3c7fffff, v8
	s_xor_b32 s14, exec_lo, s14
; %bb.102:                              ;   in Loop: Header=BB21_57 Depth=1
	v_bfe_u32 v4, v5, 20, 1
	s_delay_alu instid0(VALU_DEP_1) | instskip(NEXT) | instid1(VALU_DEP_1)
	v_add3_u32 v4, v5, v4, 0x407ffff
	v_lshrrev_b32_e32 v4, 20, v4
; %bb.103:                              ;   in Loop: Header=BB21_57 Depth=1
	s_and_not1_saveexec_b32 s14, s14
; %bb.104:                              ;   in Loop: Header=BB21_57 Depth=1
	v_add_f32_e64 v4, 0x46800000, |v5|
; %bb.105:                              ;   in Loop: Header=BB21_57 Depth=1
	s_or_b32 exec_lo, exec_lo, s14
.LBB21_106:                             ;   in Loop: Header=BB21_57 Depth=1
	s_delay_alu instid0(SALU_CYCLE_1)
	s_or_b32 exec_lo, exec_lo, s13
	v_lshrrev_b32_e32 v7, 24, v7
	v_lshrrev_b32_e32 v3, 24, v3
	v_lshrrev_b32_e32 v8, 24, v13
	v_lshlrev_b32_e32 v4, 24, v4
	v_and_b32_e32 v5, 0x80000000, v5
	v_and_b32_e32 v7, 0x80, v7
	v_and_b32_e32 v3, 0x80, v3
	s_mov_b32 s14, -1
	s_mov_b32 s13, exec_lo
	s_delay_alu instid0(VALU_DEP_2)
	v_and_or_b32 v6, 0xff, v6, v7
	v_and_b32_e32 v7, 0xff, v12
	v_and_or_b32 v9, 0xff, v2, v3
	v_lshlrev_b64 v[2:3], 2, v[10:11]
	v_add_nc_u32_e32 v11, s5, v0
	v_lshlrev_b32_e32 v6, 16, v6
	v_and_or_b32 v7, 0x80, v8, v7
	v_lshlrev_b32_e32 v8, 8, v9
	v_add_co_u32 v2, vcc_lo, s2, v2
	s_delay_alu instid0(VALU_DEP_4) | instskip(SKIP_1) | instid1(VALU_DEP_2)
	v_or3_b32 v4, v5, v4, v6
	v_add_co_ci_u32_e32 v3, vcc_lo, s3, v3, vcc_lo
	v_or3_b32 v4, v4, v8, v7
	global_store_b32 v[2:3], v4, off
	v_cmpx_gt_u32_e64 s8, v11
	s_cbranch_execz .LBB21_55
; %bb.107:                              ;   in Loop: Header=BB21_57 Depth=1
	v_mov_b32_e32 v12, v1
	s_mov_b32 s14, exec_lo
	s_delay_alu instid0(VALU_DEP_1) | instskip(NEXT) | instid1(VALU_DEP_1)
	v_lshlrev_b64 v[2:3], 4, v[11:12]
	v_add_co_u32 v4, vcc_lo, s28, v2
	s_delay_alu instid0(VALU_DEP_2)
	v_add_co_ci_u32_e32 v5, vcc_lo, s29, v3, vcc_lo
	v_add_co_u32 v20, vcc_lo, s30, v2
	v_add_co_ci_u32_e32 v21, vcc_lo, s31, v3, vcc_lo
	v_add_co_u32 v2, vcc_lo, s10, v2
	global_load_b128 v[6:9], v[4:5], off
	global_load_b128 v[16:19], v[20:21], off
	v_lshrrev_b32_e32 v4, 3, v11
	v_add_co_ci_u32_e32 v3, vcc_lo, s11, v3, vcc_lo
	s_delay_alu instid0(VALU_DEP_2)
	v_and_b32_e32 v13, 0x7fffffc, v4
	global_load_b128 v[2:5], v[2:3], off
	global_load_b32 v15, v13, s[0:1]
	s_waitcnt vmcnt(2)
	v_dual_add_f32 v6, v6, v16 :: v_dual_add_f32 v7, v7, v17
	v_dual_add_f32 v8, v8, v18 :: v_dual_add_f32 v9, v9, v19
	s_delay_alu instid0(VALU_DEP_2) | instskip(SKIP_4) | instid1(VALU_DEP_1)
	v_mul_f32_e32 v13, v28, v6
	global_store_b128 v[20:21], v[6:9], off
	s_waitcnt vmcnt(1)
	v_mul_f32_e32 v2, v2, v13
	s_waitcnt vmcnt(0)
	v_div_scale_f32 v13, null, v15, v15, v2
	v_div_scale_f32 v22, vcc_lo, v2, v15, v2
	s_delay_alu instid0(VALU_DEP_2) | instskip(SKIP_2) | instid1(VALU_DEP_1)
	v_rcp_f32_e32 v14, v13
	s_waitcnt_depctr 0xfff
	v_fma_f32 v16, -v13, v14, 1.0
	v_fmac_f32_e32 v14, v16, v14
	s_delay_alu instid0(VALU_DEP_1) | instskip(NEXT) | instid1(VALU_DEP_1)
	v_mul_f32_e32 v16, v22, v14
	v_fma_f32 v23, -v13, v16, v22
	s_delay_alu instid0(VALU_DEP_1) | instskip(NEXT) | instid1(VALU_DEP_1)
	v_fmac_f32_e32 v16, v23, v14
	v_fma_f32 v13, -v13, v16, v22
	s_delay_alu instid0(VALU_DEP_1) | instskip(NEXT) | instid1(VALU_DEP_1)
	v_div_fmas_f32 v13, v13, v14, v16
	v_div_fixup_f32 v2, v13, v15, v2
	v_mov_b32_e32 v13, 0x7f
	s_delay_alu instid0(VALU_DEP_2) | instskip(SKIP_1) | instid1(VALU_DEP_2)
	v_minmax_f32 v14, v2, s7, 0xc3e00000
	v_mov_b32_e32 v2, 0x7f
	v_and_b32_e32 v16, 0x7fffffff, v14
	s_delay_alu instid0(VALU_DEP_1)
	v_cmpx_gt_u32_e32 0x43f00000, v16
	s_cbranch_execz .LBB21_113
; %bb.108:                              ;   in Loop: Header=BB21_57 Depth=1
	s_mov_b32 s15, exec_lo
                                        ; implicit-def: $vgpr13
	v_cmpx_lt_u32_e32 0x3c7fffff, v16
	s_xor_b32 s15, exec_lo, s15
; %bb.109:                              ;   in Loop: Header=BB21_57 Depth=1
	v_bfe_u32 v6, v14, 20, 1
	s_delay_alu instid0(VALU_DEP_1) | instskip(NEXT) | instid1(VALU_DEP_1)
	v_add3_u32 v6, v14, v6, 0x407ffff
	v_lshrrev_b32_e32 v13, 20, v6
; %bb.110:                              ;   in Loop: Header=BB21_57 Depth=1
	s_and_not1_saveexec_b32 s15, s15
; %bb.111:                              ;   in Loop: Header=BB21_57 Depth=1
	v_add_f32_e64 v13, 0x46800000, |v14|
; %bb.112:                              ;   in Loop: Header=BB21_57 Depth=1
	s_or_b32 exec_lo, exec_lo, s15
.LBB21_113:                             ;   in Loop: Header=BB21_57 Depth=1
	s_delay_alu instid0(SALU_CYCLE_1) | instskip(SKIP_2) | instid1(VALU_DEP_1)
	s_or_b32 exec_lo, exec_lo, s14
	v_mul_f32_e32 v6, v28, v7
	s_mov_b32 s14, exec_lo
	v_mul_f32_e32 v3, v3, v6
	s_delay_alu instid0(VALU_DEP_1) | instskip(NEXT) | instid1(VALU_DEP_1)
	v_div_scale_f32 v6, null, v15, v15, v3
	v_rcp_f32_e32 v7, v6
	s_waitcnt_depctr 0xfff
	v_fma_f32 v16, -v6, v7, 1.0
	s_delay_alu instid0(VALU_DEP_1) | instskip(SKIP_1) | instid1(VALU_DEP_1)
	v_fmac_f32_e32 v7, v16, v7
	v_div_scale_f32 v16, vcc_lo, v3, v15, v3
	v_mul_f32_e32 v17, v16, v7
	s_delay_alu instid0(VALU_DEP_1) | instskip(NEXT) | instid1(VALU_DEP_1)
	v_fma_f32 v18, -v6, v17, v16
	v_fmac_f32_e32 v17, v18, v7
	s_delay_alu instid0(VALU_DEP_1) | instskip(NEXT) | instid1(VALU_DEP_1)
	v_fma_f32 v6, -v6, v17, v16
	v_div_fmas_f32 v6, v6, v7, v17
	s_delay_alu instid0(VALU_DEP_1) | instskip(NEXT) | instid1(VALU_DEP_1)
	v_div_fixup_f32 v3, v6, v15, v3
	v_minmax_f32 v3, v3, s7, 0xc3e00000
	s_delay_alu instid0(VALU_DEP_1) | instskip(NEXT) | instid1(VALU_DEP_1)
	v_and_b32_e32 v6, 0x7fffffff, v3
	v_cmpx_gt_u32_e32 0x43f00000, v6
	s_cbranch_execz .LBB21_119
; %bb.114:                              ;   in Loop: Header=BB21_57 Depth=1
	s_mov_b32 s15, exec_lo
                                        ; implicit-def: $vgpr2
	v_cmpx_lt_u32_e32 0x3c7fffff, v6
	s_xor_b32 s15, exec_lo, s15
; %bb.115:                              ;   in Loop: Header=BB21_57 Depth=1
	v_bfe_u32 v2, v3, 20, 1
	s_delay_alu instid0(VALU_DEP_1) | instskip(NEXT) | instid1(VALU_DEP_1)
	v_add3_u32 v2, v3, v2, 0x407ffff
	v_lshrrev_b32_e32 v2, 20, v2
; %bb.116:                              ;   in Loop: Header=BB21_57 Depth=1
	s_and_not1_saveexec_b32 s15, s15
; %bb.117:                              ;   in Loop: Header=BB21_57 Depth=1
	v_add_f32_e64 v2, 0x46800000, |v3|
; %bb.118:                              ;   in Loop: Header=BB21_57 Depth=1
	s_or_b32 exec_lo, exec_lo, s15
.LBB21_119:                             ;   in Loop: Header=BB21_57 Depth=1
	s_delay_alu instid0(SALU_CYCLE_1) | instskip(SKIP_2) | instid1(VALU_DEP_1)
	s_or_b32 exec_lo, exec_lo, s14
	v_mul_f32_e32 v6, v28, v8
	s_mov_b32 s14, exec_lo
	v_mul_f32_e32 v4, v4, v6
	s_delay_alu instid0(VALU_DEP_1) | instskip(SKIP_1) | instid1(VALU_DEP_2)
	v_div_scale_f32 v6, null, v15, v15, v4
	v_div_scale_f32 v16, vcc_lo, v4, v15, v4
	v_rcp_f32_e32 v7, v6
	s_waitcnt_depctr 0xfff
	v_fma_f32 v8, -v6, v7, 1.0
	s_delay_alu instid0(VALU_DEP_1) | instskip(NEXT) | instid1(VALU_DEP_1)
	v_fmac_f32_e32 v7, v8, v7
	v_mul_f32_e32 v8, v16, v7
	s_delay_alu instid0(VALU_DEP_1) | instskip(NEXT) | instid1(VALU_DEP_1)
	v_fma_f32 v17, -v6, v8, v16
	v_fmac_f32_e32 v8, v17, v7
	s_delay_alu instid0(VALU_DEP_1) | instskip(NEXT) | instid1(VALU_DEP_1)
	v_fma_f32 v6, -v6, v8, v16
	v_div_fmas_f32 v6, v6, v7, v8
	s_delay_alu instid0(VALU_DEP_1) | instskip(SKIP_1) | instid1(VALU_DEP_2)
	v_div_fixup_f32 v4, v6, v15, v4
	v_mov_b32_e32 v6, 0x7f
	v_minmax_f32 v7, v4, s7, 0xc3e00000
	v_mov_b32_e32 v4, 0x7f
	s_delay_alu instid0(VALU_DEP_2) | instskip(NEXT) | instid1(VALU_DEP_1)
	v_and_b32_e32 v8, 0x7fffffff, v7
	v_cmpx_gt_u32_e32 0x43f00000, v8
	s_cbranch_execz .LBB21_125
; %bb.120:                              ;   in Loop: Header=BB21_57 Depth=1
	s_mov_b32 s15, exec_lo
                                        ; implicit-def: $vgpr6
	v_cmpx_lt_u32_e32 0x3c7fffff, v8
	s_xor_b32 s15, exec_lo, s15
; %bb.121:                              ;   in Loop: Header=BB21_57 Depth=1
	v_bfe_u32 v6, v7, 20, 1
	s_delay_alu instid0(VALU_DEP_1) | instskip(NEXT) | instid1(VALU_DEP_1)
	v_add3_u32 v6, v7, v6, 0x407ffff
	v_lshrrev_b32_e32 v6, 20, v6
; %bb.122:                              ;   in Loop: Header=BB21_57 Depth=1
	s_and_not1_saveexec_b32 s15, s15
; %bb.123:                              ;   in Loop: Header=BB21_57 Depth=1
	v_add_f32_e64 v6, 0x46800000, |v7|
; %bb.124:                              ;   in Loop: Header=BB21_57 Depth=1
	s_or_b32 exec_lo, exec_lo, s15
.LBB21_125:                             ;   in Loop: Header=BB21_57 Depth=1
	s_delay_alu instid0(SALU_CYCLE_1) | instskip(SKIP_2) | instid1(VALU_DEP_1)
	s_or_b32 exec_lo, exec_lo, s14
	v_mul_f32_e32 v8, v28, v9
	s_mov_b32 s14, exec_lo
	v_mul_f32_e32 v5, v5, v8
	s_delay_alu instid0(VALU_DEP_1) | instskip(NEXT) | instid1(VALU_DEP_1)
	v_div_scale_f32 v8, null, v15, v15, v5
	v_rcp_f32_e32 v9, v8
	s_waitcnt_depctr 0xfff
	v_fma_f32 v16, -v8, v9, 1.0
	s_delay_alu instid0(VALU_DEP_1) | instskip(SKIP_1) | instid1(VALU_DEP_1)
	v_fmac_f32_e32 v9, v16, v9
	v_div_scale_f32 v16, vcc_lo, v5, v15, v5
	v_mul_f32_e32 v17, v16, v9
	s_delay_alu instid0(VALU_DEP_1) | instskip(NEXT) | instid1(VALU_DEP_1)
	v_fma_f32 v18, -v8, v17, v16
	v_fmac_f32_e32 v17, v18, v9
	s_delay_alu instid0(VALU_DEP_1) | instskip(NEXT) | instid1(VALU_DEP_1)
	v_fma_f32 v8, -v8, v17, v16
	v_div_fmas_f32 v8, v8, v9, v17
	s_delay_alu instid0(VALU_DEP_1) | instskip(NEXT) | instid1(VALU_DEP_1)
	v_div_fixup_f32 v5, v8, v15, v5
	v_minmax_f32 v5, v5, s7, 0xc3e00000
	s_delay_alu instid0(VALU_DEP_1) | instskip(NEXT) | instid1(VALU_DEP_1)
	v_and_b32_e32 v8, 0x7fffffff, v5
	v_cmpx_gt_u32_e32 0x43f00000, v8
	s_cbranch_execz .LBB21_131
; %bb.126:                              ;   in Loop: Header=BB21_57 Depth=1
	s_mov_b32 s15, exec_lo
                                        ; implicit-def: $vgpr4
	v_cmpx_lt_u32_e32 0x3c7fffff, v8
	s_xor_b32 s15, exec_lo, s15
; %bb.127:                              ;   in Loop: Header=BB21_57 Depth=1
	v_bfe_u32 v4, v5, 20, 1
	s_delay_alu instid0(VALU_DEP_1) | instskip(NEXT) | instid1(VALU_DEP_1)
	v_add3_u32 v4, v5, v4, 0x407ffff
	v_lshrrev_b32_e32 v4, 20, v4
; %bb.128:                              ;   in Loop: Header=BB21_57 Depth=1
	s_and_not1_saveexec_b32 s15, s15
; %bb.129:                              ;   in Loop: Header=BB21_57 Depth=1
	v_add_f32_e64 v4, 0x46800000, |v5|
; %bb.130:                              ;   in Loop: Header=BB21_57 Depth=1
	s_or_b32 exec_lo, exec_lo, s15
.LBB21_131:                             ;   in Loop: Header=BB21_57 Depth=1
	s_delay_alu instid0(SALU_CYCLE_1)
	s_or_b32 exec_lo, exec_lo, s14
	v_lshrrev_b32_e32 v7, 24, v7
	v_lshrrev_b32_e32 v3, 24, v3
	v_lshrrev_b32_e32 v8, 24, v14
	v_lshlrev_b32_e32 v4, 24, v4
	v_and_b32_e32 v5, 0x80000000, v5
	v_and_b32_e32 v7, 0x80, v7
	;; [unrolled: 1-line block ×3, first 2 shown]
	v_add_nc_u32_e32 v0, s4, v0
	s_mov_b32 s15, -1
	s_mov_b32 s14, exec_lo
	v_and_or_b32 v6, 0xff, v6, v7
	v_and_b32_e32 v7, 0xff, v13
	v_and_or_b32 v9, 0xff, v2, v3
	v_lshlrev_b64 v[2:3], 2, v[11:12]
	s_delay_alu instid0(VALU_DEP_4) | instskip(NEXT) | instid1(VALU_DEP_4)
	v_lshlrev_b32_e32 v6, 16, v6
	v_and_or_b32 v7, 0x80, v8, v7
	s_delay_alu instid0(VALU_DEP_4) | instskip(NEXT) | instid1(VALU_DEP_4)
	v_lshlrev_b32_e32 v8, 8, v9
	v_add_co_u32 v2, vcc_lo, s2, v2
	s_delay_alu instid0(VALU_DEP_4) | instskip(SKIP_1) | instid1(VALU_DEP_2)
	v_or3_b32 v4, v5, v4, v6
	v_add_co_ci_u32_e32 v3, vcc_lo, s3, v3, vcc_lo
	v_or3_b32 v4, v4, v8, v7
	global_store_b32 v[2:3], v4, off
	v_cmpx_gt_u32_e64 s8, v0
	s_cbranch_execz .LBB21_54
; %bb.132:                              ;   in Loop: Header=BB21_57 Depth=1
	v_lshlrev_b64 v[2:3], 4, v[0:1]
	s_mov_b32 s15, exec_lo
	s_delay_alu instid0(VALU_DEP_1) | instskip(NEXT) | instid1(VALU_DEP_2)
	v_add_co_u32 v4, vcc_lo, s28, v2
	v_add_co_ci_u32_e32 v5, vcc_lo, s29, v3, vcc_lo
	v_add_co_u32 v18, vcc_lo, s30, v2
	v_add_co_ci_u32_e32 v19, vcc_lo, s31, v3, vcc_lo
	v_add_co_u32 v2, vcc_lo, s10, v2
	global_load_b128 v[6:9], v[4:5], off
	global_load_b128 v[14:17], v[18:19], off
	v_lshrrev_b32_e32 v4, 3, v0
	v_add_co_ci_u32_e32 v3, vcc_lo, s11, v3, vcc_lo
	s_waitcnt vmcnt(0)
	s_delay_alu instid0(VALU_DEP_2)
	v_dual_add_f32 v6, v6, v14 :: v_dual_and_b32 v11, 0x7fffffc, v4
	global_load_b128 v[2:5], v[2:3], off
	global_load_b32 v13, v11, s[0:1]
	v_dual_add_f32 v8, v8, v16 :: v_dual_add_f32 v9, v9, v17
	v_add_f32_e32 v7, v7, v15
	v_mul_f32_e32 v11, v28, v6
	global_store_b128 v[18:19], v[6:9], off
	s_waitcnt vmcnt(1)
	v_mul_f32_e32 v2, v2, v11
	s_waitcnt vmcnt(0)
	s_delay_alu instid0(VALU_DEP_1) | instskip(SKIP_1) | instid1(VALU_DEP_2)
	v_div_scale_f32 v11, null, v13, v13, v2
	v_div_scale_f32 v20, vcc_lo, v2, v13, v2
	v_rcp_f32_e32 v12, v11
	s_waitcnt_depctr 0xfff
	v_fma_f32 v14, -v11, v12, 1.0
	s_delay_alu instid0(VALU_DEP_1) | instskip(NEXT) | instid1(VALU_DEP_1)
	v_fmac_f32_e32 v12, v14, v12
	v_mul_f32_e32 v14, v20, v12
	s_delay_alu instid0(VALU_DEP_1) | instskip(NEXT) | instid1(VALU_DEP_1)
	v_fma_f32 v21, -v11, v14, v20
	v_fmac_f32_e32 v14, v21, v12
	s_delay_alu instid0(VALU_DEP_1) | instskip(NEXT) | instid1(VALU_DEP_1)
	v_fma_f32 v11, -v11, v14, v20
	v_div_fmas_f32 v11, v11, v12, v14
	s_delay_alu instid0(VALU_DEP_1) | instskip(SKIP_1) | instid1(VALU_DEP_2)
	v_div_fixup_f32 v2, v11, v13, v2
	v_mov_b32_e32 v11, 0x7f
	v_minmax_f32 v12, v2, s7, 0xc3e00000
	v_mov_b32_e32 v2, 0x7f
	s_delay_alu instid0(VALU_DEP_2) | instskip(NEXT) | instid1(VALU_DEP_1)
	v_and_b32_e32 v14, 0x7fffffff, v12
	v_cmpx_gt_u32_e32 0x43f00000, v14
	s_cbranch_execz .LBB21_138
; %bb.133:                              ;   in Loop: Header=BB21_57 Depth=1
	s_mov_b32 s16, exec_lo
                                        ; implicit-def: $vgpr11
	v_cmpx_lt_u32_e32 0x3c7fffff, v14
	s_xor_b32 s16, exec_lo, s16
; %bb.134:                              ;   in Loop: Header=BB21_57 Depth=1
	v_bfe_u32 v6, v12, 20, 1
	s_delay_alu instid0(VALU_DEP_1) | instskip(NEXT) | instid1(VALU_DEP_1)
	v_add3_u32 v6, v12, v6, 0x407ffff
	v_lshrrev_b32_e32 v11, 20, v6
; %bb.135:                              ;   in Loop: Header=BB21_57 Depth=1
	s_and_not1_saveexec_b32 s16, s16
; %bb.136:                              ;   in Loop: Header=BB21_57 Depth=1
	v_add_f32_e64 v11, 0x46800000, |v12|
; %bb.137:                              ;   in Loop: Header=BB21_57 Depth=1
	s_or_b32 exec_lo, exec_lo, s16
.LBB21_138:                             ;   in Loop: Header=BB21_57 Depth=1
	s_delay_alu instid0(SALU_CYCLE_1) | instskip(SKIP_2) | instid1(VALU_DEP_1)
	s_or_b32 exec_lo, exec_lo, s15
	v_mul_f32_e32 v6, v28, v7
	s_mov_b32 s15, exec_lo
	v_mul_f32_e32 v3, v3, v6
	s_delay_alu instid0(VALU_DEP_1) | instskip(NEXT) | instid1(VALU_DEP_1)
	v_div_scale_f32 v6, null, v13, v13, v3
	v_rcp_f32_e32 v7, v6
	s_waitcnt_depctr 0xfff
	v_fma_f32 v14, -v6, v7, 1.0
	s_delay_alu instid0(VALU_DEP_1) | instskip(SKIP_1) | instid1(VALU_DEP_1)
	v_fmac_f32_e32 v7, v14, v7
	v_div_scale_f32 v14, vcc_lo, v3, v13, v3
	v_mul_f32_e32 v15, v14, v7
	s_delay_alu instid0(VALU_DEP_1) | instskip(NEXT) | instid1(VALU_DEP_1)
	v_fma_f32 v16, -v6, v15, v14
	v_fmac_f32_e32 v15, v16, v7
	s_delay_alu instid0(VALU_DEP_1) | instskip(NEXT) | instid1(VALU_DEP_1)
	v_fma_f32 v6, -v6, v15, v14
	v_div_fmas_f32 v6, v6, v7, v15
	s_delay_alu instid0(VALU_DEP_1) | instskip(NEXT) | instid1(VALU_DEP_1)
	v_div_fixup_f32 v3, v6, v13, v3
	v_minmax_f32 v3, v3, s7, 0xc3e00000
	s_delay_alu instid0(VALU_DEP_1) | instskip(NEXT) | instid1(VALU_DEP_1)
	v_and_b32_e32 v6, 0x7fffffff, v3
	v_cmpx_gt_u32_e32 0x43f00000, v6
	s_cbranch_execz .LBB21_144
; %bb.139:                              ;   in Loop: Header=BB21_57 Depth=1
	s_mov_b32 s16, exec_lo
                                        ; implicit-def: $vgpr2
	v_cmpx_lt_u32_e32 0x3c7fffff, v6
	s_xor_b32 s16, exec_lo, s16
; %bb.140:                              ;   in Loop: Header=BB21_57 Depth=1
	v_bfe_u32 v2, v3, 20, 1
	s_delay_alu instid0(VALU_DEP_1) | instskip(NEXT) | instid1(VALU_DEP_1)
	v_add3_u32 v2, v3, v2, 0x407ffff
	v_lshrrev_b32_e32 v2, 20, v2
; %bb.141:                              ;   in Loop: Header=BB21_57 Depth=1
	s_and_not1_saveexec_b32 s16, s16
; %bb.142:                              ;   in Loop: Header=BB21_57 Depth=1
	v_add_f32_e64 v2, 0x46800000, |v3|
; %bb.143:                              ;   in Loop: Header=BB21_57 Depth=1
	s_or_b32 exec_lo, exec_lo, s16
.LBB21_144:                             ;   in Loop: Header=BB21_57 Depth=1
	s_delay_alu instid0(SALU_CYCLE_1) | instskip(SKIP_2) | instid1(VALU_DEP_1)
	s_or_b32 exec_lo, exec_lo, s15
	v_mul_f32_e32 v6, v28, v8
	s_mov_b32 s15, exec_lo
	v_mul_f32_e32 v4, v4, v6
	s_delay_alu instid0(VALU_DEP_1) | instskip(SKIP_1) | instid1(VALU_DEP_2)
	v_div_scale_f32 v6, null, v13, v13, v4
	v_div_scale_f32 v14, vcc_lo, v4, v13, v4
	v_rcp_f32_e32 v7, v6
	s_waitcnt_depctr 0xfff
	v_fma_f32 v8, -v6, v7, 1.0
	s_delay_alu instid0(VALU_DEP_1) | instskip(NEXT) | instid1(VALU_DEP_1)
	v_fmac_f32_e32 v7, v8, v7
	v_mul_f32_e32 v8, v14, v7
	s_delay_alu instid0(VALU_DEP_1) | instskip(NEXT) | instid1(VALU_DEP_1)
	v_fma_f32 v15, -v6, v8, v14
	v_fmac_f32_e32 v8, v15, v7
	s_delay_alu instid0(VALU_DEP_1) | instskip(NEXT) | instid1(VALU_DEP_1)
	v_fma_f32 v6, -v6, v8, v14
	v_div_fmas_f32 v6, v6, v7, v8
	s_delay_alu instid0(VALU_DEP_1) | instskip(SKIP_1) | instid1(VALU_DEP_2)
	v_div_fixup_f32 v4, v6, v13, v4
	v_mov_b32_e32 v6, 0x7f
	v_minmax_f32 v7, v4, s7, 0xc3e00000
	v_mov_b32_e32 v4, 0x7f
	s_delay_alu instid0(VALU_DEP_2) | instskip(NEXT) | instid1(VALU_DEP_1)
	v_and_b32_e32 v8, 0x7fffffff, v7
	v_cmpx_gt_u32_e32 0x43f00000, v8
	s_cbranch_execz .LBB21_150
; %bb.145:                              ;   in Loop: Header=BB21_57 Depth=1
	s_mov_b32 s16, exec_lo
                                        ; implicit-def: $vgpr6
	v_cmpx_lt_u32_e32 0x3c7fffff, v8
	s_xor_b32 s16, exec_lo, s16
; %bb.146:                              ;   in Loop: Header=BB21_57 Depth=1
	v_bfe_u32 v6, v7, 20, 1
	s_delay_alu instid0(VALU_DEP_1) | instskip(NEXT) | instid1(VALU_DEP_1)
	v_add3_u32 v6, v7, v6, 0x407ffff
	v_lshrrev_b32_e32 v6, 20, v6
; %bb.147:                              ;   in Loop: Header=BB21_57 Depth=1
	s_and_not1_saveexec_b32 s16, s16
; %bb.148:                              ;   in Loop: Header=BB21_57 Depth=1
	v_add_f32_e64 v6, 0x46800000, |v7|
; %bb.149:                              ;   in Loop: Header=BB21_57 Depth=1
	s_or_b32 exec_lo, exec_lo, s16
.LBB21_150:                             ;   in Loop: Header=BB21_57 Depth=1
	s_delay_alu instid0(SALU_CYCLE_1) | instskip(SKIP_2) | instid1(VALU_DEP_1)
	s_or_b32 exec_lo, exec_lo, s15
	v_mul_f32_e32 v8, v28, v9
	s_mov_b32 s15, exec_lo
	v_mul_f32_e32 v5, v5, v8
	s_delay_alu instid0(VALU_DEP_1) | instskip(NEXT) | instid1(VALU_DEP_1)
	v_div_scale_f32 v8, null, v13, v13, v5
	v_rcp_f32_e32 v9, v8
	s_waitcnt_depctr 0xfff
	v_fma_f32 v14, -v8, v9, 1.0
	s_delay_alu instid0(VALU_DEP_1) | instskip(SKIP_1) | instid1(VALU_DEP_1)
	v_fmac_f32_e32 v9, v14, v9
	v_div_scale_f32 v14, vcc_lo, v5, v13, v5
	v_mul_f32_e32 v15, v14, v9
	s_delay_alu instid0(VALU_DEP_1) | instskip(NEXT) | instid1(VALU_DEP_1)
	v_fma_f32 v16, -v8, v15, v14
	v_fmac_f32_e32 v15, v16, v9
	s_delay_alu instid0(VALU_DEP_1) | instskip(NEXT) | instid1(VALU_DEP_1)
	v_fma_f32 v8, -v8, v15, v14
	v_div_fmas_f32 v8, v8, v9, v15
	s_delay_alu instid0(VALU_DEP_1) | instskip(NEXT) | instid1(VALU_DEP_1)
	v_div_fixup_f32 v5, v8, v13, v5
	v_minmax_f32 v5, v5, s7, 0xc3e00000
	s_delay_alu instid0(VALU_DEP_1) | instskip(NEXT) | instid1(VALU_DEP_1)
	v_and_b32_e32 v8, 0x7fffffff, v5
	v_cmpx_gt_u32_e32 0x43f00000, v8
	s_cbranch_execz .LBB21_53
; %bb.151:                              ;   in Loop: Header=BB21_57 Depth=1
	s_mov_b32 s16, exec_lo
                                        ; implicit-def: $vgpr4
	v_cmpx_lt_u32_e32 0x3c7fffff, v8
	s_xor_b32 s16, exec_lo, s16
; %bb.152:                              ;   in Loop: Header=BB21_57 Depth=1
	v_bfe_u32 v4, v5, 20, 1
	s_delay_alu instid0(VALU_DEP_1) | instskip(NEXT) | instid1(VALU_DEP_1)
	v_add3_u32 v4, v5, v4, 0x407ffff
	v_lshrrev_b32_e32 v4, 20, v4
; %bb.153:                              ;   in Loop: Header=BB21_57 Depth=1
	s_and_not1_saveexec_b32 s16, s16
	s_cbranch_execz .LBB21_52
; %bb.154:                              ;   in Loop: Header=BB21_57 Depth=1
	v_add_f32_e64 v4, 0x46800000, |v5|
	s_branch .LBB21_52
.LBB21_155:
	s_nop 0
	s_sendmsg sendmsg(MSG_DEALLOC_VGPRS)
	s_endpgm
	.section	.rodata,"a",@progbits
	.p2align	6, 0x0
	.amdhsa_kernel _ZN4vllm31rms_norm_per_block_quant_kernelIfN3c1013Float8_e4m3fnELb1ELb0ELi128EEEvPT0_PfPKT_S8_PKffiiPS6_l
		.amdhsa_group_segment_fixed_size 4228
		.amdhsa_private_segment_fixed_size 0
		.amdhsa_kernarg_size 328
		.amdhsa_user_sgpr_count 15
		.amdhsa_user_sgpr_dispatch_ptr 0
		.amdhsa_user_sgpr_queue_ptr 0
		.amdhsa_user_sgpr_kernarg_segment_ptr 1
		.amdhsa_user_sgpr_dispatch_id 0
		.amdhsa_user_sgpr_private_segment_size 0
		.amdhsa_wavefront_size32 1
		.amdhsa_uses_dynamic_stack 0
		.amdhsa_enable_private_segment 0
		.amdhsa_system_sgpr_workgroup_id_x 1
		.amdhsa_system_sgpr_workgroup_id_y 0
		.amdhsa_system_sgpr_workgroup_id_z 0
		.amdhsa_system_sgpr_workgroup_info 0
		.amdhsa_system_vgpr_workitem_id 0
		.amdhsa_next_free_vgpr 37
		.amdhsa_next_free_sgpr 40
		.amdhsa_reserve_vcc 1
		.amdhsa_float_round_mode_32 0
		.amdhsa_float_round_mode_16_64 0
		.amdhsa_float_denorm_mode_32 3
		.amdhsa_float_denorm_mode_16_64 3
		.amdhsa_dx10_clamp 1
		.amdhsa_ieee_mode 1
		.amdhsa_fp16_overflow 0
		.amdhsa_workgroup_processor_mode 1
		.amdhsa_memory_ordered 1
		.amdhsa_forward_progress 0
		.amdhsa_shared_vgpr_count 0
		.amdhsa_exception_fp_ieee_invalid_op 0
		.amdhsa_exception_fp_denorm_src 0
		.amdhsa_exception_fp_ieee_div_zero 0
		.amdhsa_exception_fp_ieee_overflow 0
		.amdhsa_exception_fp_ieee_underflow 0
		.amdhsa_exception_fp_ieee_inexact 0
		.amdhsa_exception_int_div_zero 0
	.end_amdhsa_kernel
	.section	.text._ZN4vllm31rms_norm_per_block_quant_kernelIfN3c1013Float8_e4m3fnELb1ELb0ELi128EEEvPT0_PfPKT_S8_PKffiiPS6_l,"axG",@progbits,_ZN4vllm31rms_norm_per_block_quant_kernelIfN3c1013Float8_e4m3fnELb1ELb0ELi128EEEvPT0_PfPKT_S8_PKffiiPS6_l,comdat
.Lfunc_end21:
	.size	_ZN4vllm31rms_norm_per_block_quant_kernelIfN3c1013Float8_e4m3fnELb1ELb0ELi128EEEvPT0_PfPKT_S8_PKffiiPS6_l, .Lfunc_end21-_ZN4vllm31rms_norm_per_block_quant_kernelIfN3c1013Float8_e4m3fnELb1ELb0ELi128EEEvPT0_PfPKT_S8_PKffiiPS6_l
                                        ; -- End function
	.section	.AMDGPU.csdata,"",@progbits
; Kernel info:
; codeLenInByte = 9244
; NumSgprs: 42
; NumVgprs: 37
; ScratchSize: 0
; MemoryBound: 0
; FloatMode: 240
; IeeeMode: 1
; LDSByteSize: 4228 bytes/workgroup (compile time only)
; SGPRBlocks: 5
; VGPRBlocks: 4
; NumSGPRsForWavesPerEU: 42
; NumVGPRsForWavesPerEU: 37
; Occupancy: 16
; WaveLimiterHint : 0
; COMPUTE_PGM_RSRC2:SCRATCH_EN: 0
; COMPUTE_PGM_RSRC2:USER_SGPR: 15
; COMPUTE_PGM_RSRC2:TRAP_HANDLER: 0
; COMPUTE_PGM_RSRC2:TGID_X_EN: 1
; COMPUTE_PGM_RSRC2:TGID_Y_EN: 0
; COMPUTE_PGM_RSRC2:TGID_Z_EN: 0
; COMPUTE_PGM_RSRC2:TIDIG_COMP_CNT: 0
	.section	.text._ZN4vllm31rms_norm_per_block_quant_kernelIfN3c1015Float8_e4m3fnuzELb1ELb0ELi128EEEvPT0_PfPKT_S8_PKffiiPS6_l,"axG",@progbits,_ZN4vllm31rms_norm_per_block_quant_kernelIfN3c1015Float8_e4m3fnuzELb1ELb0ELi128EEEvPT0_PfPKT_S8_PKffiiPS6_l,comdat
	.protected	_ZN4vllm31rms_norm_per_block_quant_kernelIfN3c1015Float8_e4m3fnuzELb1ELb0ELi128EEEvPT0_PfPKT_S8_PKffiiPS6_l ; -- Begin function _ZN4vllm31rms_norm_per_block_quant_kernelIfN3c1015Float8_e4m3fnuzELb1ELb0ELi128EEEvPT0_PfPKT_S8_PKffiiPS6_l
	.globl	_ZN4vllm31rms_norm_per_block_quant_kernelIfN3c1015Float8_e4m3fnuzELb1ELb0ELi128EEEvPT0_PfPKT_S8_PKffiiPS6_l
	.p2align	8
	.type	_ZN4vllm31rms_norm_per_block_quant_kernelIfN3c1015Float8_e4m3fnuzELb1ELb0ELi128EEEvPT0_PfPKT_S8_PKffiiPS6_l,@function
_ZN4vllm31rms_norm_per_block_quant_kernelIfN3c1015Float8_e4m3fnuzELb1ELb0ELi128EEEvPT0_PfPKT_S8_PKffiiPS6_l: ; @_ZN4vllm31rms_norm_per_block_quant_kernelIfN3c1015Float8_e4m3fnuzELb1ELb0ELi128EEEvPT0_PfPKT_S8_PKffiiPS6_l
; %bb.0:
	s_clause 0x2
	s_load_b128 s[16:19], s[0:1], 0x28
	s_load_b256 s[4:11], s[0:1], 0x0
	s_load_b64 s[2:3], s[0:1], 0x38
	v_mov_b32_e32 v6, 0
	s_waitcnt lgkmcnt(0)
	s_ashr_i32 s12, s18, 31
	s_mul_hi_u32 s13, s18, s15
	s_mul_i32 s20, s18, s15
	s_mul_i32 s18, s12, s15
	s_ashr_i32 s19, s17, 31
	s_add_i32 s21, s13, s18
	s_mul_hi_u32 s14, s17, s15
	s_mul_i32 s13, s19, s15
	s_lshl_b64 s[20:21], s[20:21], 2
	s_mul_i32 s12, s17, s15
	s_add_i32 s13, s14, s13
	s_add_u32 s28, s8, s20
	s_addc_u32 s29, s9, s21
	s_lshl_b64 s[8:9], s[12:13], 2
	s_mov_b32 s18, s17
	s_add_u32 s30, s2, s8
	s_addc_u32 s31, s3, s9
	s_ashr_i32 s8, s17, 2
	s_add_u32 s20, s0, 0x48
	v_cmp_gt_u32_e64 s2, s8, v0
	s_mov_b32 s3, 0
	s_addc_u32 s21, s1, 0
	s_delay_alu instid0(VALU_DEP_1)
	s_and_saveexec_b32 s9, s2
	s_cbranch_execz .LBB22_10
; %bb.1:
	s_load_b32 s14, s[20:21], 0x0
	v_dual_mov_b32 v2, 0 :: v_dual_mov_b32 v1, v0
	s_waitcnt lgkmcnt(0)
	s_cmp_lt_u32 s15, s14
	s_cselect_b32 s14, 12, 18
	s_delay_alu instid0(SALU_CYCLE_1)
	s_add_u32 s22, s20, s14
	s_addc_u32 s23, s21, 0
                                        ; implicit-def: $sgpr14
	global_load_u16 v7, v2, s[22:23]
	s_waitcnt vmcnt(0)
	v_lshlrev_b32_e32 v9, 1, v7
	v_mul_lo_u32 v8, v7, 3
	v_add_nc_u32_e32 v10, v7, v7
	v_mov_b32_e32 v6, v2
	s_branch .LBB22_5
.LBB22_2:                               ;   in Loop: Header=BB22_5 Depth=1
	s_or_b32 exec_lo, exec_lo, s23
	s_delay_alu instid0(SALU_CYCLE_1)
	s_or_not1_b32 s23, s24, exec_lo
.LBB22_3:                               ;   in Loop: Header=BB22_5 Depth=1
	s_or_b32 exec_lo, exec_lo, s22
	s_delay_alu instid0(SALU_CYCLE_1) | instskip(SKIP_1) | instid1(SALU_CYCLE_1)
	s_and_not1_b32 s14, s14, exec_lo
	s_and_b32 s22, s23, exec_lo
	s_or_b32 s14, s14, s22
.LBB22_4:                               ;   in Loop: Header=BB22_5 Depth=1
	s_or_b32 exec_lo, exec_lo, s17
	s_delay_alu instid0(SALU_CYCLE_1) | instskip(NEXT) | instid1(SALU_CYCLE_1)
	s_and_b32 s17, exec_lo, s14
	s_or_b32 s3, s17, s3
	s_delay_alu instid0(SALU_CYCLE_1)
	s_and_not1_b32 exec_lo, exec_lo, s3
	s_cbranch_execz .LBB22_9
.LBB22_5:                               ; =>This Inner Loop Header: Depth=1
	v_lshlrev_b64 v[3:4], 4, v[1:2]
	s_or_b32 s14, s14, exec_lo
	s_mov_b32 s17, exec_lo
	s_delay_alu instid0(VALU_DEP_1) | instskip(NEXT) | instid1(VALU_DEP_2)
	v_add_co_u32 v11, vcc_lo, s28, v3
	v_add_co_ci_u32_e32 v12, vcc_lo, s29, v4, vcc_lo
	v_add_co_u32 v3, vcc_lo, s30, v3
	v_add_co_ci_u32_e32 v4, vcc_lo, s31, v4, vcc_lo
	global_load_b128 v[11:14], v[11:12], off
	global_load_b128 v[15:18], v[3:4], off
	s_waitcnt vmcnt(0)
	v_dual_add_f32 v3, v11, v15 :: v_dual_add_f32 v4, v12, v16
	s_delay_alu instid0(VALU_DEP_1) | instskip(NEXT) | instid1(VALU_DEP_1)
	v_dual_fmac_f32 v6, v3, v3 :: v_dual_add_f32 v3, v13, v17
	v_fmac_f32_e32 v6, v4, v4
	v_add_f32_e32 v4, v14, v18
	s_delay_alu instid0(VALU_DEP_2) | instskip(NEXT) | instid1(VALU_DEP_1)
	v_fmac_f32_e32 v6, v3, v3
	v_dual_fmac_f32 v6, v4, v4 :: v_dual_add_nc_u32 v3, v1, v7
	s_delay_alu instid0(VALU_DEP_1)
	v_cmpx_gt_u32_e64 s8, v3
	s_cbranch_execz .LBB22_4
; %bb.6:                                ;   in Loop: Header=BB22_5 Depth=1
	v_mov_b32_e32 v4, v2
	s_mov_b32 s23, -1
	s_mov_b32 s22, exec_lo
	s_delay_alu instid0(VALU_DEP_1) | instskip(NEXT) | instid1(VALU_DEP_1)
	v_lshlrev_b64 v[4:5], 4, v[3:4]
	v_add_co_u32 v11, vcc_lo, s28, v4
	s_delay_alu instid0(VALU_DEP_2)
	v_add_co_ci_u32_e32 v12, vcc_lo, s29, v5, vcc_lo
	v_add_co_u32 v4, vcc_lo, s30, v4
	v_add_co_ci_u32_e32 v5, vcc_lo, s31, v5, vcc_lo
	global_load_b128 v[11:14], v[11:12], off
	global_load_b128 v[15:18], v[4:5], off
	s_waitcnt vmcnt(0)
	v_dual_add_f32 v5, v12, v16 :: v_dual_add_f32 v4, v11, v15
	s_delay_alu instid0(VALU_DEP_1) | instskip(SKIP_1) | instid1(VALU_DEP_2)
	v_fmac_f32_e32 v6, v4, v4
	v_add_f32_e32 v4, v13, v17
	v_dual_fmac_f32 v6, v5, v5 :: v_dual_add_f32 v5, v14, v18
	s_delay_alu instid0(VALU_DEP_1) | instskip(SKIP_1) | instid1(VALU_DEP_2)
	v_fmac_f32_e32 v6, v4, v4
	v_add_nc_u32_e32 v4, v9, v1
	v_fmac_f32_e32 v6, v5, v5
	s_delay_alu instid0(VALU_DEP_2)
	v_cmpx_gt_u32_e64 s8, v4
	s_cbranch_execz .LBB22_3
; %bb.7:                                ;   in Loop: Header=BB22_5 Depth=1
	v_mov_b32_e32 v5, v2
	v_add_nc_u32_e32 v1, v8, v1
	s_mov_b32 s24, -1
	s_mov_b32 s23, exec_lo
	s_delay_alu instid0(VALU_DEP_2) | instskip(NEXT) | instid1(VALU_DEP_1)
	v_lshlrev_b64 v[4:5], 4, v[4:5]
	v_add_co_u32 v11, vcc_lo, s28, v4
	s_delay_alu instid0(VALU_DEP_2)
	v_add_co_ci_u32_e32 v12, vcc_lo, s29, v5, vcc_lo
	v_add_co_u32 v4, vcc_lo, s30, v4
	v_add_co_ci_u32_e32 v5, vcc_lo, s31, v5, vcc_lo
	global_load_b128 v[11:14], v[11:12], off
	global_load_b128 v[15:18], v[4:5], off
	s_waitcnt vmcnt(0)
	v_dual_add_f32 v4, v11, v15 :: v_dual_add_f32 v5, v12, v16
	s_delay_alu instid0(VALU_DEP_1) | instskip(SKIP_1) | instid1(VALU_DEP_2)
	v_fmac_f32_e32 v6, v4, v4
	v_add_f32_e32 v4, v13, v17
	v_dual_fmac_f32 v6, v5, v5 :: v_dual_add_f32 v5, v14, v18
	s_delay_alu instid0(VALU_DEP_1) | instskip(NEXT) | instid1(VALU_DEP_1)
	v_fmac_f32_e32 v6, v4, v4
	v_fmac_f32_e32 v6, v5, v5
	v_cmpx_gt_u32_e64 s8, v1
	s_xor_b32 s23, exec_lo, s23
	s_cbranch_execz .LBB22_2
; %bb.8:                                ;   in Loop: Header=BB22_5 Depth=1
	v_lshlrev_b64 v[4:5], 4, v[1:2]
	s_delay_alu instid0(VALU_DEP_1) | instskip(NEXT) | instid1(VALU_DEP_2)
	v_add_co_u32 v11, vcc_lo, s28, v4
	v_add_co_ci_u32_e32 v12, vcc_lo, s29, v5, vcc_lo
	v_add_co_u32 v4, vcc_lo, s30, v4
	v_add_co_ci_u32_e32 v5, vcc_lo, s31, v5, vcc_lo
	global_load_b128 v[11:14], v[11:12], off
	global_load_b128 v[15:18], v[4:5], off
	s_waitcnt vmcnt(0)
	v_dual_add_f32 v1, v11, v15 :: v_dual_add_f32 v4, v12, v16
	s_delay_alu instid0(VALU_DEP_1) | instskip(SKIP_2) | instid1(VALU_DEP_3)
	v_fmac_f32_e32 v6, v1, v1
	v_add3_u32 v1, v10, v7, v3
	v_add_f32_e32 v3, v14, v18
	v_dual_add_f32 v5, v13, v17 :: v_dual_fmac_f32 v6, v4, v4
	s_delay_alu instid0(VALU_DEP_3) | instskip(NEXT) | instid1(VALU_DEP_2)
	v_cmp_le_u32_e32 vcc_lo, s8, v1
	v_fmac_f32_e32 v6, v5, v5
	s_or_not1_b32 s24, vcc_lo, exec_lo
	s_delay_alu instid0(VALU_DEP_1)
	v_fmac_f32_e32 v6, v3, v3
	s_branch .LBB22_2
.LBB22_9:
	s_or_b32 exec_lo, exec_lo, s3
.LBB22_10:
	s_delay_alu instid0(SALU_CYCLE_1) | instskip(SKIP_3) | instid1(VALU_DEP_2)
	s_or_b32 exec_lo, exec_lo, s9
	v_mbcnt_lo_u32_b32 v1, -1, 0
	s_load_b32 s3, s[20:21], 0xc
	v_and_b32_e32 v7, 0x3e0, v0
	v_cmp_ne_u32_e32 vcc_lo, 31, v1
	v_add_nc_u32_e32 v3, 1, v1
	v_add_co_ci_u32_e32 v2, vcc_lo, 0, v1, vcc_lo
	v_cmp_gt_u32_e32 vcc_lo, 30, v1
	s_delay_alu instid0(VALU_DEP_2)
	v_lshlrev_b32_e32 v2, 2, v2
	v_cndmask_b32_e64 v5, 0, 1, vcc_lo
	ds_bpermute_b32 v4, v2, v6
	s_waitcnt lgkmcnt(0)
	s_and_b32 s33, s3, 0xffff
	v_lshlrev_b32_e32 v5, 1, v5
	v_sub_nc_u32_e64 v12, s33, v7 clamp
	s_mov_b32 s3, exec_lo
	s_delay_alu instid0(VALU_DEP_1) | instskip(SKIP_2) | instid1(VALU_DEP_2)
	v_cmp_lt_u32_e32 vcc_lo, v3, v12
	v_add_f32_e32 v7, v6, v4
	v_add_lshl_u32 v4, v5, v1, 2
	v_cndmask_b32_e32 v7, v6, v7, vcc_lo
	v_cmp_gt_u32_e32 vcc_lo, 28, v1
	v_cndmask_b32_e64 v5, 0, 1, vcc_lo
	s_delay_alu instid0(VALU_DEP_1) | instskip(SKIP_2) | instid1(VALU_DEP_1)
	v_lshlrev_b32_e32 v8, 2, v5
	ds_bpermute_b32 v6, v4, v7
	v_add_nc_u32_e32 v5, 2, v1
	v_cmp_lt_u32_e32 vcc_lo, v5, v12
	s_waitcnt lgkmcnt(0)
	v_add_f32_e32 v9, v7, v6
	v_add_lshl_u32 v6, v8, v1, 2
	s_delay_alu instid0(VALU_DEP_2) | instskip(SKIP_3) | instid1(VALU_DEP_1)
	v_cndmask_b32_e32 v9, v7, v9, vcc_lo
	v_cmp_gt_u32_e32 vcc_lo, 24, v1
	ds_bpermute_b32 v8, v6, v9
	v_cndmask_b32_e64 v7, 0, 1, vcc_lo
	v_lshlrev_b32_e32 v10, 3, v7
	v_add_nc_u32_e32 v7, 4, v1
	s_delay_alu instid0(VALU_DEP_1) | instskip(SKIP_3) | instid1(VALU_DEP_2)
	v_cmp_lt_u32_e32 vcc_lo, v7, v12
	s_waitcnt lgkmcnt(0)
	v_add_f32_e32 v11, v9, v8
	v_add_lshl_u32 v8, v10, v1, 2
	v_cndmask_b32_e32 v11, v9, v11, vcc_lo
	v_cmp_gt_u32_e32 vcc_lo, 16, v1
	ds_bpermute_b32 v10, v8, v11
	v_cndmask_b32_e64 v9, 0, 1, vcc_lo
	s_delay_alu instid0(VALU_DEP_1) | instskip(SKIP_1) | instid1(VALU_DEP_1)
	v_lshlrev_b32_e32 v13, 4, v9
	v_add_nc_u32_e32 v9, 8, v1
	v_cmp_lt_u32_e32 vcc_lo, v9, v12
	s_waitcnt lgkmcnt(0)
	v_add_f32_e32 v14, v11, v10
	v_add_lshl_u32 v10, v13, v1, 2
	s_delay_alu instid0(VALU_DEP_2)
	v_cndmask_b32_e32 v13, v11, v14, vcc_lo
	v_add_nc_u32_e32 v11, 16, v1
	ds_bpermute_b32 v14, v10, v13
	v_cmp_lt_u32_e32 vcc_lo, v11, v12
	s_waitcnt lgkmcnt(0)
	v_add_f32_e32 v14, v13, v14
	s_delay_alu instid0(VALU_DEP_1)
	v_cndmask_b32_e32 v12, v13, v14, vcc_lo
	v_cmpx_eq_u32_e32 0, v1
	s_cbranch_execz .LBB22_12
; %bb.11:
	v_lshrrev_b32_e32 v13, 3, v0
	s_delay_alu instid0(VALU_DEP_1)
	v_and_b32_e32 v13, 0x7c, v13
	ds_store_b32 v13, v12 offset:4096
.LBB22_12:
	s_or_b32 exec_lo, exec_lo, s3
	s_delay_alu instid0(SALU_CYCLE_1)
	s_mov_b32 s3, exec_lo
	s_waitcnt lgkmcnt(0)
	s_barrier
	buffer_gl0_inv
	v_cmpx_gt_u32_e32 32, v0
	s_cbranch_execz .LBB22_14
; %bb.13:
	v_lshlrev_b32_e32 v1, 2, v1
	s_add_i32 s9, s33, 31
	s_delay_alu instid0(SALU_CYCLE_1) | instskip(NEXT) | instid1(SALU_CYCLE_1)
	s_lshr_b32 s9, s9, 5
	v_cmp_gt_u32_e32 vcc_lo, s9, v3
	ds_load_b32 v1, v1 offset:4096
	s_waitcnt lgkmcnt(0)
	ds_bpermute_b32 v2, v2, v1
	s_waitcnt lgkmcnt(0)
	v_add_f32_e32 v2, v1, v2
	s_delay_alu instid0(VALU_DEP_1) | instskip(SKIP_4) | instid1(VALU_DEP_1)
	v_cndmask_b32_e32 v1, v1, v2, vcc_lo
	v_cmp_gt_u32_e32 vcc_lo, s9, v5
	ds_bpermute_b32 v2, v4, v1
	s_waitcnt lgkmcnt(0)
	v_add_f32_e32 v2, v1, v2
	v_cndmask_b32_e32 v1, v1, v2, vcc_lo
	v_cmp_gt_u32_e32 vcc_lo, s9, v7
	ds_bpermute_b32 v2, v6, v1
	s_waitcnt lgkmcnt(0)
	v_add_f32_e32 v2, v1, v2
	s_delay_alu instid0(VALU_DEP_1) | instskip(SKIP_4) | instid1(VALU_DEP_1)
	v_cndmask_b32_e32 v1, v1, v2, vcc_lo
	v_cmp_gt_u32_e32 vcc_lo, s9, v9
	ds_bpermute_b32 v2, v8, v1
	s_waitcnt lgkmcnt(0)
	v_add_f32_e32 v2, v1, v2
	v_cndmask_b32_e32 v1, v1, v2, vcc_lo
	v_cmp_gt_u32_e32 vcc_lo, s9, v11
	ds_bpermute_b32 v2, v10, v1
	s_waitcnt lgkmcnt(0)
	v_add_f32_e32 v2, v1, v2
	s_delay_alu instid0(VALU_DEP_1)
	v_cndmask_b32_e32 v12, v1, v2, vcc_lo
.LBB22_14:
	s_or_b32 exec_lo, exec_lo, s3
	s_delay_alu instid0(SALU_CYCLE_1)
	s_mov_b32 s3, exec_lo
	v_cmpx_eq_u32_e32 0, v0
	s_cbranch_execz .LBB22_16
; %bb.15:
	v_cvt_f32_i32_e32 v1, s18
	s_delay_alu instid0(VALU_DEP_1) | instskip(SKIP_1) | instid1(VALU_DEP_2)
	v_div_scale_f32 v2, null, v1, v1, v12
	v_div_scale_f32 v5, vcc_lo, v12, v1, v12
	v_rcp_f32_e32 v3, v2
	s_waitcnt_depctr 0xfff
	v_fma_f32 v4, -v2, v3, 1.0
	s_delay_alu instid0(VALU_DEP_1) | instskip(NEXT) | instid1(VALU_DEP_1)
	v_fmac_f32_e32 v3, v4, v3
	v_mul_f32_e32 v4, v5, v3
	s_delay_alu instid0(VALU_DEP_1) | instskip(NEXT) | instid1(VALU_DEP_1)
	v_fma_f32 v6, -v2, v4, v5
	v_fmac_f32_e32 v4, v6, v3
	s_delay_alu instid0(VALU_DEP_1) | instskip(NEXT) | instid1(VALU_DEP_1)
	v_fma_f32 v2, -v2, v4, v5
	v_div_fmas_f32 v2, v2, v3, v4
	s_delay_alu instid0(VALU_DEP_1) | instskip(NEXT) | instid1(VALU_DEP_1)
	v_div_fixup_f32 v1, v2, v1, v12
	v_add_f32_e32 v1, s16, v1
	s_delay_alu instid0(VALU_DEP_1) | instskip(SKIP_1) | instid1(VALU_DEP_2)
	v_mul_f32_e32 v2, 0x4b800000, v1
	v_cmp_gt_f32_e32 vcc_lo, 0x800000, v1
	v_cndmask_b32_e32 v1, v1, v2, vcc_lo
	s_delay_alu instid0(VALU_DEP_1) | instskip(SKIP_2) | instid1(VALU_DEP_1)
	v_rsq_f32_e32 v1, v1
	s_waitcnt_depctr 0xfff
	v_mul_f32_e32 v2, 0x45800000, v1
	v_dual_cndmask_b32 v1, v1, v2 :: v_dual_mov_b32 v2, 0
	ds_store_b32 v2, v1 offset:4224
.LBB22_16:
	s_or_b32 exec_lo, exec_lo, s3
	s_ashr_i32 s3, s18, 31
	s_waitcnt lgkmcnt(0)
	s_lshr_b32 s3, s3, 25
	s_barrier
	s_add_i32 s3, s18, s3
	buffer_gl0_inv
	s_ashr_i32 s16, s3, 7
	s_ashr_i32 s3, s3, 31
	s_abs_i32 s9, s16
	s_delay_alu instid0(SALU_CYCLE_1) | instskip(SKIP_1) | instid1(VALU_DEP_1)
	v_cvt_f32_u32_e32 v1, s9
	s_sub_i32 s17, 0, s9
	v_rcp_iflag_f32_e32 v1, v1
	s_waitcnt_depctr 0xfff
	v_mul_f32_e32 v1, 0x4f7ffffe, v1
	s_delay_alu instid0(VALU_DEP_1) | instskip(NEXT) | instid1(VALU_DEP_1)
	v_cvt_u32_f32_e32 v1, v1
	v_readfirstlane_b32 s14, v1
	s_delay_alu instid0(VALU_DEP_1) | instskip(NEXT) | instid1(SALU_CYCLE_1)
	s_mul_i32 s17, s17, s14
	s_mul_hi_u32 s17, s14, s17
	s_delay_alu instid0(SALU_CYCLE_1) | instskip(NEXT) | instid1(SALU_CYCLE_1)
	s_add_i32 s14, s14, s17
	s_mul_hi_u32 s14, s33, s14
	s_delay_alu instid0(SALU_CYCLE_1) | instskip(SKIP_2) | instid1(SALU_CYCLE_1)
	s_mul_i32 s17, s14, s9
	s_add_i32 s20, s14, 1
	s_sub_i32 s17, s33, s17
	s_sub_i32 s21, s17, s9
	s_cmp_ge_u32 s17, s9
	s_cselect_b32 s14, s20, s14
	s_cselect_b32 s17, s21, s17
	s_add_i32 s20, s14, 1
	s_cmp_ge_u32 s17, s9
	s_cselect_b32 s9, s20, s14
	s_delay_alu instid0(SALU_CYCLE_1) | instskip(NEXT) | instid1(SALU_CYCLE_1)
	s_xor_b32 s9, s9, s3
	s_sub_i32 s20, s9, s3
	s_delay_alu instid0(SALU_CYCLE_1) | instskip(SKIP_3) | instid1(VALU_DEP_1)
	s_abs_i32 s3, s20
	s_ashr_i32 s21, s20, 31
	v_cvt_f32_u32_e32 v1, s3
	s_sub_i32 s9, 0, s3
	v_rcp_iflag_f32_e32 v1, v1
	s_waitcnt_depctr 0xfff
	v_mul_f32_e32 v1, 0x4f7ffffe, v1
	s_delay_alu instid0(VALU_DEP_1) | instskip(NEXT) | instid1(VALU_DEP_1)
	v_cvt_u32_f32_e32 v1, v1
	v_mul_lo_u32 v2, s9, v1
	s_ashr_i32 s9, s8, 31
	s_delay_alu instid0(VALU_DEP_1) | instskip(NEXT) | instid1(VALU_DEP_1)
	v_mul_hi_u32 v2, v1, v2
	v_add_nc_u32_e32 v1, v1, v2
	s_delay_alu instid0(VALU_DEP_1) | instskip(NEXT) | instid1(VALU_DEP_1)
	v_mul_hi_u32 v1, v0, v1
	v_mul_lo_u32 v2, v1, s3
	v_add_nc_u32_e32 v3, 1, v1
	s_delay_alu instid0(VALU_DEP_2) | instskip(NEXT) | instid1(VALU_DEP_1)
	v_sub_nc_u32_e32 v2, v0, v2
	v_subrev_nc_u32_e32 v4, s3, v2
	v_cmp_le_u32_e32 vcc_lo, s3, v2
	s_delay_alu instid0(VALU_DEP_2) | instskip(NEXT) | instid1(VALU_DEP_1)
	v_dual_cndmask_b32 v1, v1, v3 :: v_dual_cndmask_b32 v2, v2, v4
	v_dual_mov_b32 v4, 0 :: v_dual_add_nc_u32 v3, 1, v1
	s_delay_alu instid0(VALU_DEP_2) | instskip(SKIP_2) | instid1(VALU_DEP_1)
	v_cmp_le_u32_e32 vcc_lo, s3, v2
	ds_load_b32 v28, v4 offset:4224
	v_cndmask_b32_e32 v1, v1, v3, vcc_lo
	v_xor_b32_e32 v1, s21, v1
	s_delay_alu instid0(VALU_DEP_1) | instskip(NEXT) | instid1(VALU_DEP_1)
	v_subrev_nc_u32_e32 v1, s21, v1
	v_ashrrev_i32_e32 v2, 31, v1
	v_mul_lo_u32 v3, v1, s20
	s_delay_alu instid0(VALU_DEP_2) | instskip(NEXT) | instid1(VALU_DEP_2)
	v_lshlrev_b64 v[7:8], 5, v[1:2]
	v_sub_nc_u32_e32 v3, v0, v3
	s_delay_alu instid0(VALU_DEP_2) | instskip(NEXT) | instid1(VALU_DEP_3)
	v_add_co_u32 v5, vcc_lo, v7, 32
	v_add_co_ci_u32_e32 v6, vcc_lo, 0, v8, vcc_lo
	s_delay_alu instid0(VALU_DEP_1) | instskip(SKIP_4) | instid1(VALU_DEP_3)
	v_cmp_gt_i64_e32 vcc_lo, s[8:9], v[5:6]
	v_cndmask_b32_e32 v6, s9, v6, vcc_lo
	v_cndmask_b32_e32 v5, s8, v5, vcc_lo
	v_add_co_u32 v7, vcc_lo, v7, v3
	v_add_co_ci_u32_e32 v8, vcc_lo, 0, v8, vcc_lo
	v_ashrrev_i32_e32 v10, 31, v5
	v_mov_b32_e32 v9, v5
	s_mov_b32 s9, exec_lo
	s_delay_alu instid0(VALU_DEP_1)
	v_cmpx_lt_i64_e64 v[7:8], v[9:10]
	s_cbranch_execz .LBB22_26
; %bb.17:
	v_lshlrev_b64 v[11:12], 9, v[1:2]
	v_lshlrev_b64 v[13:14], 4, v[3:4]
	v_mov_b32_e32 v4, 0
	s_lshl_b64 s[22:23], s[20:21], 6
	s_mul_hi_i32 s14, s20, 3
	s_mul_i32 s17, s20, 3
	s_lshl_b64 s[24:25], s[20:21], 1
	v_add_co_u32 v21, vcc_lo, v11, v13
	v_add_co_ci_u32_e32 v22, vcc_lo, v12, v14, vcc_lo
	v_dual_mov_b32 v12, v8 :: v_dual_mov_b32 v11, v7
	s_lshl_b64 s[26:27], s[20:21], 4
	s_mov_b32 s34, 0
                                        ; implicit-def: $sgpr35
	s_branch .LBB22_21
.LBB22_18:                              ;   in Loop: Header=BB22_21 Depth=1
	s_or_b32 exec_lo, exec_lo, s38
	s_delay_alu instid0(SALU_CYCLE_1)
	s_or_not1_b32 s3, s3, exec_lo
.LBB22_19:                              ;   in Loop: Header=BB22_21 Depth=1
	s_or_b32 exec_lo, exec_lo, s37
	s_delay_alu instid0(SALU_CYCLE_1) | instskip(SKIP_1) | instid1(SALU_CYCLE_1)
	s_and_not1_b32 s35, s35, exec_lo
	s_and_b32 s3, s3, exec_lo
	s_or_b32 s35, s35, s3
.LBB22_20:                              ;   in Loop: Header=BB22_21 Depth=1
	s_or_b32 exec_lo, exec_lo, s36
	s_delay_alu instid0(SALU_CYCLE_1) | instskip(NEXT) | instid1(SALU_CYCLE_1)
	s_and_b32 s3, exec_lo, s35
	s_or_b32 s34, s3, s34
	s_delay_alu instid0(SALU_CYCLE_1)
	s_and_not1_b32 exec_lo, exec_lo, s34
	s_cbranch_execz .LBB22_25
.LBB22_21:                              ; =>This Inner Loop Header: Depth=1
	v_add_co_u32 v15, vcc_lo, s28, v21
	v_add_co_ci_u32_e32 v16, vcc_lo, s29, v22, vcc_lo
	v_add_co_u32 v19, vcc_lo, s30, v21
	v_add_co_ci_u32_e32 v20, vcc_lo, s31, v22, vcc_lo
	v_add_co_u32 v17, vcc_lo, s10, v21
	global_load_b128 v[23:26], v[15:16], off
	global_load_b128 v[29:32], v[19:20], off
	v_add_co_ci_u32_e32 v18, vcc_lo, s11, v22, vcc_lo
	s_or_b32 s35, s35, exec_lo
	s_mov_b32 s36, exec_lo
	global_load_b128 v[33:36], v[17:18], off
	s_waitcnt vmcnt(1)
	v_dual_add_f32 v13, v23, v29 :: v_dual_add_f32 v14, v24, v30
	v_dual_add_f32 v23, v25, v31 :: v_dual_add_f32 v24, v26, v32
	s_waitcnt lgkmcnt(0)
	s_delay_alu instid0(VALU_DEP_2) | instskip(NEXT) | instid1(VALU_DEP_3)
	v_mul_f32_e32 v14, v28, v14
	v_mul_f32_e32 v13, v28, v13
	s_delay_alu instid0(VALU_DEP_3) | instskip(SKIP_2) | instid1(VALU_DEP_3)
	v_mul_f32_e32 v23, v28, v23
	v_mul_f32_e32 v24, v28, v24
	s_waitcnt vmcnt(0)
	v_dual_mul_f32 v26, v34, v14 :: v_dual_mul_f32 v25, v33, v13
	s_delay_alu instid0(VALU_DEP_2) | instskip(SKIP_1) | instid1(VALU_DEP_3)
	v_dual_mul_f32 v23, v35, v23 :: v_dual_mul_f32 v24, v36, v24
	v_add_co_u32 v13, vcc_lo, v11, s20
	v_max3_f32 v4, v4, |v25|, |v26|
	v_add_co_ci_u32_e32 v14, vcc_lo, s21, v12, vcc_lo
	s_delay_alu instid0(VALU_DEP_2) | instskip(NEXT) | instid1(VALU_DEP_2)
	v_max3_f32 v4, v4, |v23|, |v24|
	v_cmpx_lt_i64_e64 v[13:14], v[9:10]
	s_cbranch_execz .LBB22_20
; %bb.22:                               ;   in Loop: Header=BB22_21 Depth=1
	v_add_co_u32 v15, vcc_lo, v15, s26
	v_add_co_ci_u32_e32 v16, vcc_lo, s27, v16, vcc_lo
	v_add_co_u32 v19, vcc_lo, v19, s26
	v_add_co_ci_u32_e32 v20, vcc_lo, s27, v20, vcc_lo
	v_add_co_u32 v17, vcc_lo, v17, s26
	global_load_b128 v[23:26], v[15:16], off
	global_load_b128 v[29:32], v[19:20], off
	v_add_co_ci_u32_e32 v18, vcc_lo, s27, v18, vcc_lo
	s_mov_b32 s3, -1
	s_mov_b32 s37, exec_lo
	global_load_b128 v[33:36], v[17:18], off
	s_waitcnt vmcnt(1)
	v_dual_add_f32 v23, v23, v29 :: v_dual_add_f32 v24, v24, v30
	v_dual_add_f32 v25, v25, v31 :: v_dual_add_f32 v26, v26, v32
	s_delay_alu instid0(VALU_DEP_2) | instskip(NEXT) | instid1(VALU_DEP_3)
	v_mul_f32_e32 v23, v28, v23
	v_mul_f32_e32 v24, v28, v24
	s_delay_alu instid0(VALU_DEP_3) | instskip(SKIP_1) | instid1(VALU_DEP_3)
	v_mul_f32_e32 v25, v28, v25
	s_waitcnt vmcnt(0)
	v_dual_mul_f32 v27, v33, v23 :: v_dual_mul_f32 v26, v28, v26
	s_delay_alu instid0(VALU_DEP_3) | instskip(NEXT) | instid1(VALU_DEP_3)
	v_mul_f32_e32 v29, v34, v24
	v_mul_f32_e32 v25, v35, v25
	v_add_co_u32 v23, vcc_lo, s24, v11
	s_delay_alu instid0(VALU_DEP_4) | instskip(NEXT) | instid1(VALU_DEP_4)
	v_mul_f32_e32 v26, v36, v26
	v_max3_f32 v4, v4, |v27|, |v29|
	v_add_co_ci_u32_e32 v24, vcc_lo, s25, v12, vcc_lo
	s_delay_alu instid0(VALU_DEP_2) | instskip(NEXT) | instid1(VALU_DEP_2)
	v_max3_f32 v4, v4, |v25|, |v26|
	v_cmpx_lt_i64_e64 v[23:24], v[9:10]
	s_cbranch_execz .LBB22_19
; %bb.23:                               ;   in Loop: Header=BB22_21 Depth=1
	v_add_co_u32 v15, vcc_lo, v15, s26
	v_add_co_ci_u32_e32 v16, vcc_lo, s27, v16, vcc_lo
	v_add_co_u32 v19, vcc_lo, v19, s26
	v_add_co_ci_u32_e32 v20, vcc_lo, s27, v20, vcc_lo
	v_add_co_u32 v17, vcc_lo, v17, s26
	global_load_b128 v[23:26], v[15:16], off
	global_load_b128 v[29:32], v[19:20], off
	v_add_co_ci_u32_e32 v18, vcc_lo, s27, v18, vcc_lo
	v_add_co_u32 v11, vcc_lo, s17, v11
	v_add_co_ci_u32_e32 v12, vcc_lo, s14, v12, vcc_lo
	global_load_b128 v[33:36], v[17:18], off
	v_cmp_lt_i64_e32 vcc_lo, v[11:12], v[9:10]
                                        ; implicit-def: $vgpr11_vgpr12
	s_waitcnt vmcnt(1)
	v_dual_add_f32 v23, v23, v29 :: v_dual_add_f32 v24, v24, v30
	v_dual_add_f32 v25, v25, v31 :: v_dual_add_f32 v26, v26, v32
	s_delay_alu instid0(VALU_DEP_2) | instskip(NEXT) | instid1(VALU_DEP_3)
	v_mul_f32_e32 v24, v28, v24
	v_mul_f32_e32 v23, v28, v23
	s_delay_alu instid0(VALU_DEP_3) | instskip(NEXT) | instid1(VALU_DEP_4)
	v_mul_f32_e32 v25, v28, v25
	v_mul_f32_e32 v26, v28, v26
	s_waitcnt vmcnt(0)
	s_delay_alu instid0(VALU_DEP_3) | instskip(NEXT) | instid1(VALU_DEP_3)
	v_dual_mul_f32 v24, v34, v24 :: v_dual_mul_f32 v23, v33, v23
	v_mul_f32_e32 v25, v35, v25
	s_delay_alu instid0(VALU_DEP_2) | instskip(SKIP_1) | instid1(VALU_DEP_1)
	v_max3_f32 v4, v4, |v23|, |v24|
	v_mul_f32_e32 v23, v36, v26
	v_max3_f32 v4, v4, |v25|, |v23|
	s_and_saveexec_b32 s38, vcc_lo
	s_delay_alu instid0(SALU_CYCLE_1)
	s_xor_b32 s38, exec_lo, s38
	s_cbranch_execz .LBB22_18
; %bb.24:                               ;   in Loop: Header=BB22_21 Depth=1
	v_add_co_u32 v11, vcc_lo, v15, s26
	v_add_co_ci_u32_e32 v12, vcc_lo, s27, v16, vcc_lo
	v_add_co_u32 v15, vcc_lo, v19, s26
	v_add_co_ci_u32_e32 v16, vcc_lo, s27, v20, vcc_lo
	s_add_u32 s3, s20, s20
	global_load_b128 v[23:26], v[11:12], off
	global_load_b128 v[29:32], v[15:16], off
	v_add_co_u32 v11, vcc_lo, v17, s26
	v_add_co_ci_u32_e32 v12, vcc_lo, s27, v18, vcc_lo
	s_addc_u32 s39, s21, s21
	s_add_u32 s3, s3, s20
	s_addc_u32 s39, s39, s21
	global_load_b128 v[15:18], v[11:12], off
	s_waitcnt vmcnt(1)
	v_dual_add_f32 v11, v23, v29 :: v_dual_add_f32 v12, v24, v30
	v_dual_add_f32 v19, v25, v31 :: v_dual_add_f32 v20, v26, v32
	s_delay_alu instid0(VALU_DEP_1) | instskip(NEXT) | instid1(VALU_DEP_2)
	v_mul_f32_e32 v19, v28, v19
	v_mul_f32_e32 v20, v28, v20
	s_delay_alu instid0(VALU_DEP_4) | instskip(SKIP_1) | instid1(VALU_DEP_1)
	v_mul_f32_e32 v11, v28, v11
	s_waitcnt vmcnt(0)
	v_dual_mul_f32 v12, v28, v12 :: v_dual_mul_f32 v15, v15, v11
	s_delay_alu instid0(VALU_DEP_1) | instskip(SKIP_3) | instid1(VALU_DEP_4)
	v_mul_f32_e32 v16, v16, v12
	v_add_co_u32 v11, vcc_lo, s3, v13
	v_add_co_ci_u32_e32 v12, vcc_lo, s39, v14, vcc_lo
	v_dual_mul_f32 v13, v17, v19 :: v_dual_mul_f32 v14, v18, v20
	v_max3_f32 v4, v4, |v15|, |v16|
	s_delay_alu instid0(VALU_DEP_3) | instskip(SKIP_1) | instid1(VALU_DEP_1)
	v_cmp_ge_i64_e32 vcc_lo, v[11:12], v[9:10]
	v_add_co_u32 v21, s3, v21, s22
	v_add_co_ci_u32_e64 v22, s3, s23, v22, s3
	s_delay_alu instid0(VALU_DEP_4)
	v_max3_f32 v4, v4, |v13|, |v14|
	s_or_not1_b32 s3, vcc_lo, exec_lo
	s_branch .LBB22_18
.LBB22_25:
	s_or_b32 exec_lo, exec_lo, s34
.LBB22_26:
	s_delay_alu instid0(SALU_CYCLE_1)
	s_or_b32 exec_lo, exec_lo, s9
	s_lshr_b32 s9, s33, 5
	v_lshlrev_b32_e32 v29, 2, v0
	v_cvt_f32_u32_e32 v9, s9
	s_sub_i32 s14, 0, s9
	s_add_i32 s17, s16, s9
	s_delay_alu instid0(SALU_CYCLE_1) | instskip(NEXT) | instid1(VALU_DEP_1)
	s_add_i32 s22, s17, -1
	v_rcp_iflag_f32_e32 v9, v9
	s_abs_i32 s23, s22
	s_ashr_i32 s17, s16, 31
	s_ashr_i32 s22, s22, 31
	ds_store_b32 v29, v4
	s_waitcnt lgkmcnt(0)
	s_barrier
	buffer_gl0_inv
	v_mul_f32_e32 v9, 0x4f7ffffe, v9
	s_delay_alu instid0(VALU_DEP_1) | instskip(NEXT) | instid1(VALU_DEP_1)
	v_cvt_u32_f32_e32 v9, v9
	v_readfirstlane_b32 s3, v9
	s_delay_alu instid0(VALU_DEP_1) | instskip(NEXT) | instid1(SALU_CYCLE_1)
	s_mul_i32 s14, s14, s3
	s_mul_hi_u32 s14, s3, s14
	s_delay_alu instid0(SALU_CYCLE_1) | instskip(NEXT) | instid1(SALU_CYCLE_1)
	s_add_i32 s3, s3, s14
	s_mul_hi_u32 s3, s23, s3
	s_delay_alu instid0(SALU_CYCLE_1) | instskip(NEXT) | instid1(SALU_CYCLE_1)
	s_mul_i32 s14, s3, s9
	s_sub_i32 s14, s23, s14
	s_add_i32 s23, s3, 1
	s_sub_i32 s24, s14, s9
	s_cmp_ge_u32 s14, s9
	s_cselect_b32 s3, s23, s3
	s_cselect_b32 s14, s24, s14
	s_add_i32 s23, s3, 1
	s_cmp_ge_u32 s14, s9
	s_cselect_b32 s3, s23, s3
	s_delay_alu instid0(SALU_CYCLE_1) | instskip(NEXT) | instid1(SALU_CYCLE_1)
	s_xor_b32 s3, s3, s22
	s_sub_i32 s22, s3, s22
	s_delay_alu instid0(SALU_CYCLE_1) | instskip(NEXT) | instid1(SALU_CYCLE_1)
	s_ashr_i32 s23, s22, 31
	v_cmp_lt_i64_e64 s3, s[22:23], 1
	s_delay_alu instid0(VALU_DEP_1)
	s_and_b32 vcc_lo, exec_lo, s3
	s_cbranch_vccnz .LBB22_46
; %bb.27:
	v_lshrrev_b32_e32 v9, 5, v0
	v_and_b32_e32 v4, 31, v0
	s_mov_b64 s[24:25], 0
	s_mov_b64 s[26:27], src_shared_base
	s_delay_alu instid0(VALU_DEP_2) | instskip(NEXT) | instid1(VALU_DEP_2)
	v_mul_lo_u32 v19, s20, v9
	v_add_co_u32 v11, s3, v4, 16
	s_delay_alu instid0(VALU_DEP_1) | instskip(SKIP_1) | instid1(VALU_DEP_1)
	v_add_co_ci_u32_e64 v12, null, 0, 0, s3
	v_add_co_u32 v13, s3, v4, 8
	v_add_co_ci_u32_e64 v14, null, 0, 0, s3
	v_add_co_u32 v15, s3, v4, 4
	v_dual_mov_b32 v10, 0 :: v_dual_lshlrev_b32 v21, 2, v19
	v_lshlrev_b32_e32 v22, 2, v4
	v_add_co_ci_u32_e64 v16, null, 0, 0, s3
	v_add_co_u32 v17, s3, v4, 2
	s_delay_alu instid0(VALU_DEP_1) | instskip(SKIP_1) | instid1(VALU_DEP_1)
	v_add_co_ci_u32_e64 v18, null, 0, 0, s3
	v_add_co_u32 v19, s3, v4, 1
	v_add_co_ci_u32_e64 v20, null, 0, 0, s3
	v_add3_u32 v30, v21, v22, 0x80
	s_mul_i32 s3, s20, s9
	s_delay_alu instid0(SALU_CYCLE_1)
	s_lshl_b32 s14, s3, 2
	s_branch .LBB22_30
.LBB22_28:                              ;   in Loop: Header=BB22_30 Depth=1
	s_or_b32 exec_lo, exec_lo, s3
	v_mov_b32_e32 v22, s27
	flat_load_b32 v21, v[21:22] glc dlc
	s_waitcnt vmcnt(0)
.LBB22_29:                              ;   in Loop: Header=BB22_30 Depth=1
	s_or_b32 exec_lo, exec_lo, s26
	s_add_u32 s24, s24, 1
	v_add_nc_u32_e32 v30, s14, v30
	s_addc_u32 s25, s25, 0
	s_delay_alu instid0(SALU_CYCLE_1)
	s_cmp_eq_u64 s[24:25], s[22:23]
	s_cbranch_scc1 .LBB22_46
.LBB22_30:                              ; =>This Loop Header: Depth=1
                                        ;     Child Loop BB22_33 Depth 2
	s_waitcnt lgkmcnt(0)
	v_mad_u64_u32 v[21:22], null, s24, s9, v[9:10]
	s_mov_b32 s26, exec_lo
	s_delay_alu instid0(VALU_DEP_1) | instskip(NEXT) | instid1(VALU_DEP_1)
	v_mad_u64_u32 v[23:24], null, s25, s9, v[22:23]
	v_mov_b32_e32 v22, v23
	s_delay_alu instid0(VALU_DEP_1)
	v_cmpx_gt_i64_e64 s[16:17], v[21:22]
	s_cbranch_execz .LBB22_29
; %bb.31:                               ;   in Loop: Header=BB22_30 Depth=1
	v_mul_lo_u32 v24, v22, s20
	v_mul_lo_u32 v25, v21, s21
	v_mad_u64_u32 v[22:23], null, v21, s20, 0
	s_delay_alu instid0(VALU_DEP_1) | instskip(NEXT) | instid1(VALU_DEP_2)
	v_add3_u32 v23, v23, v25, v24
	v_add_co_u32 v24, vcc_lo, v22, s20
	v_add_co_u32 v31, s3, v22, v4
	s_delay_alu instid0(VALU_DEP_3) | instskip(SKIP_2) | instid1(VALU_DEP_2)
	v_add_co_ci_u32_e32 v25, vcc_lo, s21, v23, vcc_lo
	v_add_co_ci_u32_e64 v21, s3, 0, v23, s3
	s_mov_b32 s3, exec_lo
	v_cmp_gt_i64_e32 vcc_lo, s[18:19], v[24:25]
	v_cndmask_b32_e32 v25, s19, v25, vcc_lo
	v_cndmask_b32_e32 v24, s18, v24, vcc_lo
	v_add_co_u32 v26, vcc_lo, v31, 32
	v_add_co_ci_u32_e32 v27, vcc_lo, 0, v21, vcc_lo
	v_lshlrev_b32_e32 v21, 2, v31
	s_delay_alu instid0(VALU_DEP_2)
	v_cmpx_lt_i64_e64 v[26:27], v[24:25]
	s_cbranch_execz .LBB22_34
; %bb.32:                               ;   in Loop: Header=BB22_30 Depth=1
	ds_load_b32 v33, v21
	v_mov_b32_e32 v32, v30
	s_mov_b32 s34, 0
.LBB22_33:                              ;   Parent Loop BB22_30 Depth=1
                                        ; =>  This Inner Loop Header: Depth=2
	ds_load_b32 v34, v32
	v_add_co_u32 v26, vcc_lo, v26, 32
	v_add_co_ci_u32_e32 v27, vcc_lo, 0, v27, vcc_lo
	s_waitcnt lgkmcnt(1)
	v_dual_max_f32 v33, v33, v33 :: v_dual_add_nc_u32 v32, 0x80, v32
	s_delay_alu instid0(VALU_DEP_2) | instskip(SKIP_3) | instid1(VALU_DEP_1)
	v_cmp_ge_i64_e32 vcc_lo, v[26:27], v[24:25]
	s_or_b32 s34, vcc_lo, s34
	s_waitcnt lgkmcnt(0)
	v_max_f32_e32 v34, v34, v34
	v_max_f32_e32 v33, v33, v34
	ds_store_b32 v21, v33
	s_and_not1_b32 exec_lo, exec_lo, s34
	s_cbranch_execnz .LBB22_33
.LBB22_34:                              ;   in Loop: Header=BB22_30 Depth=1
	s_or_b32 exec_lo, exec_lo, s3
	v_sub_co_u32 v22, vcc_lo, v24, v22
	v_sub_co_ci_u32_e32 v23, vcc_lo, v25, v23, vcc_lo
	s_mov_b32 s3, exec_lo
	s_delay_alu instid0(VALU_DEP_1) | instskip(SKIP_1) | instid1(VALU_DEP_1)
	v_cmp_gt_i64_e32 vcc_lo, 32, v[22:23]
	v_dual_cndmask_b32 v24, 0, v23 :: v_dual_cndmask_b32 v23, 32, v22
	v_cmpx_lt_i64_e64 v[11:12], v[23:24]
	s_cbranch_execz .LBB22_36
; %bb.35:                               ;   in Loop: Header=BB22_30 Depth=1
	v_dual_mov_b32 v22, s27 :: v_dual_add_nc_u32 v25, 64, v21
	v_mov_b32_e32 v26, s27
	flat_load_b32 v27, v[21:22] glc dlc
	s_waitcnt vmcnt(0)
	flat_load_b32 v25, v[25:26] glc dlc
	s_waitcnt vmcnt(0) lgkmcnt(0)
	v_dual_max_f32 v26, v27, v27 :: v_dual_max_f32 v25, v25, v25
	s_delay_alu instid0(VALU_DEP_1)
	v_max_f32_e32 v25, v26, v25
	flat_store_b32 v[21:22], v25 dlc
	s_waitcnt_vscnt null, 0x0
.LBB22_36:                              ;   in Loop: Header=BB22_30 Depth=1
	s_or_b32 exec_lo, exec_lo, s3
	s_delay_alu instid0(SALU_CYCLE_1)
	s_mov_b32 s3, exec_lo
	v_cmpx_lt_i64_e64 v[13:14], v[23:24]
	s_cbranch_execz .LBB22_38
; %bb.37:                               ;   in Loop: Header=BB22_30 Depth=1
	v_dual_mov_b32 v22, s27 :: v_dual_add_nc_u32 v25, 32, v21
	v_mov_b32_e32 v26, s27
	flat_load_b32 v27, v[21:22] glc dlc
	s_waitcnt vmcnt(0)
	flat_load_b32 v25, v[25:26] glc dlc
	s_waitcnt vmcnt(0) lgkmcnt(0)
	v_dual_max_f32 v26, v27, v27 :: v_dual_max_f32 v25, v25, v25
	s_delay_alu instid0(VALU_DEP_1)
	v_max_f32_e32 v25, v26, v25
	flat_store_b32 v[21:22], v25 dlc
	s_waitcnt_vscnt null, 0x0
.LBB22_38:                              ;   in Loop: Header=BB22_30 Depth=1
	s_or_b32 exec_lo, exec_lo, s3
	s_delay_alu instid0(SALU_CYCLE_1)
	s_mov_b32 s3, exec_lo
	v_cmpx_ge_i64_e64 v[15:16], v[23:24]
	s_xor_b32 s3, exec_lo, s3
; %bb.39:                               ;   in Loop: Header=BB22_30 Depth=1
                                        ; implicit-def: $vgpr21
; %bb.40:                               ;   in Loop: Header=BB22_30 Depth=1
	s_delay_alu instid0(SALU_CYCLE_1)
	s_and_not1_saveexec_b32 s3, s3
	s_cbranch_execz .LBB22_42
; %bb.41:                               ;   in Loop: Header=BB22_30 Depth=1
	v_dual_mov_b32 v22, s27 :: v_dual_add_nc_u32 v25, 16, v21
	v_mov_b32_e32 v26, s27
	flat_load_b32 v27, v[21:22] glc dlc
	s_waitcnt vmcnt(0)
	flat_load_b32 v25, v[25:26] glc dlc
	s_waitcnt vmcnt(0) lgkmcnt(0)
	v_dual_max_f32 v26, v27, v27 :: v_dual_max_f32 v25, v25, v25
	s_delay_alu instid0(VALU_DEP_1)
	v_max_f32_e32 v25, v26, v25
	flat_store_b32 v[21:22], v25 dlc
	s_waitcnt_vscnt null, 0x0
.LBB22_42:                              ;   in Loop: Header=BB22_30 Depth=1
	s_or_b32 exec_lo, exec_lo, s3
	v_lshlrev_b32_e32 v21, 2, v31
	s_mov_b32 s3, exec_lo
	v_cmpx_lt_i64_e64 v[17:18], v[23:24]
	s_cbranch_execz .LBB22_44
; %bb.43:                               ;   in Loop: Header=BB22_30 Depth=1
	s_delay_alu instid0(VALU_DEP_2)
	v_dual_mov_b32 v22, s27 :: v_dual_add_nc_u32 v25, 8, v21
	v_mov_b32_e32 v26, s27
	flat_load_b32 v27, v[21:22] glc dlc
	s_waitcnt vmcnt(0)
	flat_load_b32 v25, v[25:26] glc dlc
	s_waitcnt vmcnt(0) lgkmcnt(0)
	v_dual_max_f32 v26, v27, v27 :: v_dual_max_f32 v25, v25, v25
	s_delay_alu instid0(VALU_DEP_1)
	v_max_f32_e32 v25, v26, v25
	flat_store_b32 v[21:22], v25 dlc
	s_waitcnt_vscnt null, 0x0
.LBB22_44:                              ;   in Loop: Header=BB22_30 Depth=1
	s_or_b32 exec_lo, exec_lo, s3
	s_delay_alu instid0(SALU_CYCLE_1)
	s_mov_b32 s3, exec_lo
	v_cmpx_lt_i64_e64 v[19:20], v[23:24]
	s_cbranch_execz .LBB22_28
; %bb.45:                               ;   in Loop: Header=BB22_30 Depth=1
	v_dual_mov_b32 v22, s27 :: v_dual_add_nc_u32 v23, 4, v21
	v_mov_b32_e32 v24, s27
	flat_load_b32 v25, v[21:22] glc dlc
	s_waitcnt vmcnt(0)
	flat_load_b32 v23, v[23:24] glc dlc
	s_waitcnt vmcnt(0) lgkmcnt(0)
	v_dual_max_f32 v24, v25, v25 :: v_dual_max_f32 v23, v23, v23
	s_delay_alu instid0(VALU_DEP_1)
	v_max_f32_e32 v23, v24, v23
	flat_store_b32 v[21:22], v23 dlc
	s_waitcnt_vscnt null, 0x0
	s_branch .LBB22_28
.LBB22_46:
	v_cmp_lt_i64_e32 vcc_lo, v[7:8], v[5:6]
	v_cmp_eq_u32_e64 s3, 0, v3
	s_mul_i32 s9, s17, s15
	s_mul_hi_u32 s17, s16, s15
	s_mul_i32 s14, s16, s15
	s_waitcnt lgkmcnt(0)
	s_and_b32 s18, s3, vcc_lo
	s_barrier
	buffer_gl0_inv
	s_and_saveexec_b32 s3, s18
	s_cbranch_execz .LBB22_50
; %bb.47:
	s_load_b64 s[0:1], s[0:1], 0x20
	ds_load_b32 v3, v29
	s_waitcnt lgkmcnt(0)
	s_cmp_eq_u64 s[0:1], 0
	s_cbranch_scc1 .LBB22_49
; %bb.48:
	s_load_b32 s0, s[0:1], 0x0
	v_max_f32_e32 v3, v3, v3
	s_waitcnt lgkmcnt(0)
	v_max_f32_e64 v4, s0, s0
	s_delay_alu instid0(VALU_DEP_1)
	v_min_f32_e32 v3, v3, v4
.LBB22_49:
	s_delay_alu instid0(VALU_DEP_1) | instskip(SKIP_2) | instid1(VALU_DEP_2)
	v_div_scale_f32 v4, null, 0x43600000, 0x43600000, v3
	v_div_scale_f32 v7, vcc_lo, v3, 0x43600000, v3
	s_add_i32 s15, s17, s9
	v_rcp_f32_e32 v5, v4
	v_lshlrev_b64 v[1:2], 2, v[1:2]
	s_lshl_b64 s[0:1], s[14:15], 2
	s_delay_alu instid0(SALU_CYCLE_1) | instskip(SKIP_3) | instid1(VALU_DEP_1)
	s_add_u32 s0, s6, s0
	s_addc_u32 s1, s7, s1
	s_waitcnt_depctr 0xfff
	v_fma_f32 v6, -v4, v5, 1.0
	v_fmac_f32_e32 v5, v6, v5
	s_delay_alu instid0(VALU_DEP_1) | instskip(NEXT) | instid1(VALU_DEP_1)
	v_mul_f32_e32 v6, v7, v5
	v_fma_f32 v8, -v4, v6, v7
	s_delay_alu instid0(VALU_DEP_1) | instskip(NEXT) | instid1(VALU_DEP_1)
	v_fmac_f32_e32 v6, v8, v5
	v_fma_f32 v4, -v4, v6, v7
	s_delay_alu instid0(VALU_DEP_1) | instskip(SKIP_2) | instid1(VALU_DEP_3)
	v_div_fmas_f32 v4, v4, v5, v6
	v_add_co_u32 v1, vcc_lo, s0, v1
	v_add_co_ci_u32_e32 v2, vcc_lo, s1, v2, vcc_lo
	v_div_fixup_f32 v3, v4, 0x43600000, v3
	s_delay_alu instid0(VALU_DEP_1)
	v_max_f32_e32 v3, 0x37124925, v3
	global_store_b32 v[1:2], v3, off
.LBB22_50:
	s_or_b32 exec_lo, exec_lo, s3
	s_waitcnt_vscnt null, 0x0
	s_barrier
	buffer_gl0_inv
	s_and_saveexec_b32 s0, s2
	s_cbranch_execz .LBB22_187
; %bb.51:
	s_add_u32 s2, s4, s12
	s_addc_u32 s3, s5, s13
	s_add_i32 s15, s17, s9
	v_mov_b32_e32 v1, 0
	s_lshl_b64 s[0:1], s[14:15], 2
	s_mul_i32 s4, s33, 3
	s_add_u32 s0, s6, s0
	s_addc_u32 s1, s7, s1
	s_lshl_b32 s5, s33, 1
	s_mov_b32 s6, 0
	s_mov_b32 s7, 0x43600000
	s_branch .LBB22_57
.LBB22_52:                              ;   in Loop: Header=BB22_57 Depth=1
	s_or_b32 exec_lo, exec_lo, s16
.LBB22_53:                              ;   in Loop: Header=BB22_57 Depth=1
	s_delay_alu instid0(SALU_CYCLE_1)
	s_or_b32 exec_lo, exec_lo, s14
	v_lshlrev_b32_e32 v6, 16, v4
	v_lshlrev_b64 v[4:5], 2, v[0:1]
	v_lshlrev_b32_e32 v7, 8, v11
	s_add_i32 s14, s33, s33
	v_and_b32_e32 v8, 0xff, v2
	v_add3_u32 v0, s14, s33, v10
	v_perm_b32 v6, v3, v6, 0x4020c0c
	v_and_b32_e32 v7, 0xff00, v7
	v_add_co_u32 v2, vcc_lo, s2, v4
	v_add_co_ci_u32_e32 v3, vcc_lo, s3, v5, vcc_lo
	v_cmp_le_u32_e32 vcc_lo, s8, v0
	s_delay_alu instid0(VALU_DEP_4)
	v_or3_b32 v4, v6, v7, v8
	s_or_not1_b32 s14, vcc_lo, exec_lo
	global_store_b32 v[2:3], v4, off
.LBB22_54:                              ;   in Loop: Header=BB22_57 Depth=1
	s_or_b32 exec_lo, exec_lo, s13
	s_delay_alu instid0(SALU_CYCLE_1)
	s_or_not1_b32 s13, s14, exec_lo
.LBB22_55:                              ;   in Loop: Header=BB22_57 Depth=1
	s_or_b32 exec_lo, exec_lo, s12
	s_delay_alu instid0(SALU_CYCLE_1)
	s_or_not1_b32 s12, s13, exec_lo
.LBB22_56:                              ;   in Loop: Header=BB22_57 Depth=1
	s_or_b32 exec_lo, exec_lo, s9
	s_delay_alu instid0(SALU_CYCLE_1) | instskip(NEXT) | instid1(SALU_CYCLE_1)
	s_and_b32 s9, exec_lo, s12
	s_or_b32 s6, s9, s6
	s_delay_alu instid0(SALU_CYCLE_1)
	s_and_not1_b32 exec_lo, exec_lo, s6
	s_cbranch_execz .LBB22_187
.LBB22_57:                              ; =>This Inner Loop Header: Depth=1
	v_lshlrev_b64 v[2:3], 4, v[0:1]
	s_mov_b32 s9, exec_lo
	s_delay_alu instid0(VALU_DEP_1) | instskip(NEXT) | instid1(VALU_DEP_2)
	v_add_co_u32 v4, vcc_lo, s28, v2
	v_add_co_ci_u32_e32 v5, vcc_lo, s29, v3, vcc_lo
	v_add_co_u32 v17, vcc_lo, s30, v2
	v_add_co_ci_u32_e32 v18, vcc_lo, s31, v3, vcc_lo
	v_add_co_u32 v2, vcc_lo, s10, v2
	global_load_b128 v[6:9], v[4:5], off
	global_load_b128 v[13:16], v[17:18], off
	v_lshrrev_b32_e32 v4, 3, v0
	v_add_co_ci_u32_e32 v3, vcc_lo, s11, v3, vcc_lo
	s_waitcnt vmcnt(0)
	s_delay_alu instid0(VALU_DEP_2) | instskip(SKIP_4) | instid1(VALU_DEP_2)
	v_dual_add_f32 v7, v7, v14 :: v_dual_and_b32 v10, 0x7fffffc, v4
	global_load_b128 v[2:5], v[2:3], off
	global_load_b32 v11, v10, s[0:1]
	v_add_f32_e32 v6, v6, v13
	v_dual_add_f32 v8, v8, v15 :: v_dual_add_f32 v9, v9, v16
	v_mul_f32_e32 v10, v28, v6
	s_waitcnt vmcnt(1)
	s_delay_alu instid0(VALU_DEP_1) | instskip(SKIP_1) | instid1(VALU_DEP_1)
	v_mul_f32_e32 v2, v2, v10
	s_waitcnt vmcnt(0)
	v_div_scale_f32 v10, null, v11, v11, v2
	v_div_scale_f32 v19, vcc_lo, v2, v11, v2
	s_delay_alu instid0(VALU_DEP_2) | instskip(SKIP_2) | instid1(VALU_DEP_1)
	v_rcp_f32_e32 v12, v10
	s_waitcnt_depctr 0xfff
	v_fma_f32 v13, -v10, v12, 1.0
	v_fmac_f32_e32 v12, v13, v12
	s_delay_alu instid0(VALU_DEP_1) | instskip(SKIP_2) | instid1(VALU_DEP_1)
	v_mul_f32_e32 v13, v19, v12
	global_store_b128 v[17:18], v[6:9], off
	v_fma_f32 v20, -v10, v13, v19
	v_fmac_f32_e32 v13, v20, v12
	s_delay_alu instid0(VALU_DEP_1) | instskip(NEXT) | instid1(VALU_DEP_1)
	v_fma_f32 v10, -v10, v13, v19
	v_div_fmas_f32 v10, v10, v12, v13
	s_delay_alu instid0(VALU_DEP_1) | instskip(SKIP_1) | instid1(VALU_DEP_2)
	v_div_fixup_f32 v2, v10, v11, v2
	v_mov_b32_e32 v10, 0x80
	v_minmax_f32 v12, v2, s7, 0xc3600000
	v_mov_b32_e32 v2, 0x80
	s_delay_alu instid0(VALU_DEP_2) | instskip(NEXT) | instid1(VALU_DEP_1)
	v_and_b32_e32 v13, 0x7fffffff, v12
	v_cmpx_gt_u32_e32 0x43800000, v13
	s_cbranch_execz .LBB22_63
; %bb.58:                               ;   in Loop: Header=BB22_57 Depth=1
	s_mov_b32 s12, 0
	s_mov_b32 s13, exec_lo
                                        ; implicit-def: $vgpr6
	v_cmpx_lt_u32_e32 0x3bffffff, v13
	s_xor_b32 s13, exec_lo, s13
	s_cbranch_execnz .LBB22_154
; %bb.59:                               ;   in Loop: Header=BB22_57 Depth=1
	s_or_saveexec_b32 s13, s13
                                        ; implicit-def: $sgpr14
	s_delay_alu instid0(SALU_CYCLE_1)
	s_xor_b32 exec_lo, exec_lo, s13
	s_cbranch_execnz .LBB22_155
.LBB22_60:                              ;   in Loop: Header=BB22_57 Depth=1
	s_or_b32 exec_lo, exec_lo, s13
	v_mov_b32_e32 v10, s14
	s_and_saveexec_b32 s13, s12
.LBB22_61:                              ;   in Loop: Header=BB22_57 Depth=1
	v_lshrrev_b32_e32 v10, 24, v12
	s_delay_alu instid0(VALU_DEP_1)
	v_and_or_b32 v10, 0x80, v10, v6
.LBB22_62:                              ;   in Loop: Header=BB22_57 Depth=1
	s_or_b32 exec_lo, exec_lo, s13
.LBB22_63:                              ;   in Loop: Header=BB22_57 Depth=1
	s_delay_alu instid0(SALU_CYCLE_1) | instskip(SKIP_2) | instid1(VALU_DEP_1)
	s_or_b32 exec_lo, exec_lo, s9
	v_mul_f32_e32 v6, v28, v7
	s_mov_b32 s9, exec_lo
	v_mul_f32_e32 v3, v3, v6
	s_delay_alu instid0(VALU_DEP_1) | instskip(NEXT) | instid1(VALU_DEP_1)
	v_div_scale_f32 v6, null, v11, v11, v3
	v_rcp_f32_e32 v7, v6
	s_waitcnt_depctr 0xfff
	v_fma_f32 v12, -v6, v7, 1.0
	s_delay_alu instid0(VALU_DEP_1) | instskip(SKIP_1) | instid1(VALU_DEP_1)
	v_fmac_f32_e32 v7, v12, v7
	v_div_scale_f32 v12, vcc_lo, v3, v11, v3
	v_mul_f32_e32 v13, v12, v7
	s_delay_alu instid0(VALU_DEP_1) | instskip(NEXT) | instid1(VALU_DEP_1)
	v_fma_f32 v14, -v6, v13, v12
	v_fmac_f32_e32 v13, v14, v7
	s_delay_alu instid0(VALU_DEP_1) | instskip(NEXT) | instid1(VALU_DEP_1)
	v_fma_f32 v6, -v6, v13, v12
	v_div_fmas_f32 v6, v6, v7, v13
	s_delay_alu instid0(VALU_DEP_1) | instskip(NEXT) | instid1(VALU_DEP_1)
	v_div_fixup_f32 v3, v6, v11, v3
	v_minmax_f32 v3, v3, s7, 0xc3600000
	s_delay_alu instid0(VALU_DEP_1) | instskip(NEXT) | instid1(VALU_DEP_1)
	v_and_b32_e32 v6, 0x7fffffff, v3
	v_cmpx_gt_u32_e32 0x43800000, v6
	s_cbranch_execz .LBB22_69
; %bb.64:                               ;   in Loop: Header=BB22_57 Depth=1
	v_cmp_lt_u32_e32 vcc_lo, 0x3bffffff, v6
	s_mov_b32 s12, 0
                                        ; implicit-def: $vgpr6
	s_and_saveexec_b32 s13, vcc_lo
	s_delay_alu instid0(SALU_CYCLE_1)
	s_xor_b32 s13, exec_lo, s13
	s_cbranch_execnz .LBB22_156
; %bb.65:                               ;   in Loop: Header=BB22_57 Depth=1
	s_or_saveexec_b32 s13, s13
                                        ; implicit-def: $sgpr14
	s_delay_alu instid0(SALU_CYCLE_1)
	s_xor_b32 exec_lo, exec_lo, s13
	s_cbranch_execnz .LBB22_157
.LBB22_66:                              ;   in Loop: Header=BB22_57 Depth=1
	s_or_b32 exec_lo, exec_lo, s13
	v_mov_b32_e32 v2, s14
	s_and_saveexec_b32 s13, s12
.LBB22_67:                              ;   in Loop: Header=BB22_57 Depth=1
	v_lshrrev_b32_e32 v2, 24, v3
	s_delay_alu instid0(VALU_DEP_1)
	v_and_or_b32 v2, 0x80, v2, v6
.LBB22_68:                              ;   in Loop: Header=BB22_57 Depth=1
	s_or_b32 exec_lo, exec_lo, s13
.LBB22_69:                              ;   in Loop: Header=BB22_57 Depth=1
	s_delay_alu instid0(SALU_CYCLE_1) | instskip(SKIP_2) | instid1(VALU_DEP_1)
	s_or_b32 exec_lo, exec_lo, s9
	v_mul_f32_e32 v3, v28, v8
	s_mov_b32 s9, exec_lo
	v_mul_f32_e32 v3, v4, v3
	s_delay_alu instid0(VALU_DEP_1) | instskip(SKIP_1) | instid1(VALU_DEP_2)
	v_div_scale_f32 v4, null, v11, v11, v3
	v_div_scale_f32 v8, vcc_lo, v3, v11, v3
	v_rcp_f32_e32 v6, v4
	s_waitcnt_depctr 0xfff
	v_fma_f32 v7, -v4, v6, 1.0
	s_delay_alu instid0(VALU_DEP_1) | instskip(NEXT) | instid1(VALU_DEP_1)
	v_fmac_f32_e32 v6, v7, v6
	v_mul_f32_e32 v7, v8, v6
	s_delay_alu instid0(VALU_DEP_1) | instskip(NEXT) | instid1(VALU_DEP_1)
	v_fma_f32 v12, -v4, v7, v8
	v_fmac_f32_e32 v7, v12, v6
	s_delay_alu instid0(VALU_DEP_1) | instskip(NEXT) | instid1(VALU_DEP_1)
	v_fma_f32 v4, -v4, v7, v8
	v_div_fmas_f32 v4, v4, v6, v7
	s_delay_alu instid0(VALU_DEP_1) | instskip(SKIP_1) | instid1(VALU_DEP_2)
	v_div_fixup_f32 v3, v4, v11, v3
	v_mov_b32_e32 v4, 0x80
	v_minmax_f32 v6, v3, s7, 0xc3600000
	v_mov_b32_e32 v3, 0x80
	s_delay_alu instid0(VALU_DEP_2) | instskip(NEXT) | instid1(VALU_DEP_1)
	v_and_b32_e32 v7, 0x7fffffff, v6
	v_cmpx_gt_u32_e32 0x43800000, v7
	s_cbranch_execz .LBB22_75
; %bb.70:                               ;   in Loop: Header=BB22_57 Depth=1
	v_cmp_lt_u32_e32 vcc_lo, 0x3bffffff, v7
	s_mov_b32 s12, 0
                                        ; implicit-def: $vgpr7
	s_and_saveexec_b32 s13, vcc_lo
	s_delay_alu instid0(SALU_CYCLE_1)
	s_xor_b32 s13, exec_lo, s13
	s_cbranch_execnz .LBB22_158
; %bb.71:                               ;   in Loop: Header=BB22_57 Depth=1
	s_or_saveexec_b32 s13, s13
                                        ; implicit-def: $sgpr14
	s_delay_alu instid0(SALU_CYCLE_1)
	s_xor_b32 exec_lo, exec_lo, s13
	s_cbranch_execnz .LBB22_159
.LBB22_72:                              ;   in Loop: Header=BB22_57 Depth=1
	s_or_b32 exec_lo, exec_lo, s13
	v_mov_b32_e32 v4, s14
	s_and_saveexec_b32 s13, s12
.LBB22_73:                              ;   in Loop: Header=BB22_57 Depth=1
	v_lshrrev_b32_e32 v4, 24, v6
	s_delay_alu instid0(VALU_DEP_1)
	v_and_or_b32 v4, 0x80, v4, v7
.LBB22_74:                              ;   in Loop: Header=BB22_57 Depth=1
	s_or_b32 exec_lo, exec_lo, s13
.LBB22_75:                              ;   in Loop: Header=BB22_57 Depth=1
	s_delay_alu instid0(SALU_CYCLE_1) | instskip(SKIP_2) | instid1(VALU_DEP_1)
	s_or_b32 exec_lo, exec_lo, s9
	v_mul_f32_e32 v6, v28, v9
	s_mov_b32 s9, exec_lo
	v_mul_f32_e32 v5, v5, v6
	s_delay_alu instid0(VALU_DEP_1) | instskip(NEXT) | instid1(VALU_DEP_1)
	v_div_scale_f32 v6, null, v11, v11, v5
	v_rcp_f32_e32 v7, v6
	s_waitcnt_depctr 0xfff
	v_fma_f32 v8, -v6, v7, 1.0
	s_delay_alu instid0(VALU_DEP_1) | instskip(SKIP_1) | instid1(VALU_DEP_1)
	v_fmac_f32_e32 v7, v8, v7
	v_div_scale_f32 v8, vcc_lo, v5, v11, v5
	v_mul_f32_e32 v9, v8, v7
	s_delay_alu instid0(VALU_DEP_1) | instskip(NEXT) | instid1(VALU_DEP_1)
	v_fma_f32 v12, -v6, v9, v8
	v_fmac_f32_e32 v9, v12, v7
	s_delay_alu instid0(VALU_DEP_1) | instskip(NEXT) | instid1(VALU_DEP_1)
	v_fma_f32 v6, -v6, v9, v8
	v_div_fmas_f32 v6, v6, v7, v9
	s_delay_alu instid0(VALU_DEP_1) | instskip(NEXT) | instid1(VALU_DEP_1)
	v_div_fixup_f32 v5, v6, v11, v5
	v_minmax_f32 v5, v5, s7, 0xc3600000
	s_delay_alu instid0(VALU_DEP_1) | instskip(NEXT) | instid1(VALU_DEP_1)
	v_and_b32_e32 v6, 0x7fffffff, v5
	v_cmpx_gt_u32_e32 0x43800000, v6
	s_cbranch_execz .LBB22_81
; %bb.76:                               ;   in Loop: Header=BB22_57 Depth=1
	v_cmp_lt_u32_e32 vcc_lo, 0x3bffffff, v6
	s_mov_b32 s12, 0
                                        ; implicit-def: $vgpr6
	s_and_saveexec_b32 s13, vcc_lo
	s_delay_alu instid0(SALU_CYCLE_1)
	s_xor_b32 s13, exec_lo, s13
	s_cbranch_execnz .LBB22_160
; %bb.77:                               ;   in Loop: Header=BB22_57 Depth=1
	s_or_saveexec_b32 s13, s13
                                        ; implicit-def: $sgpr14
	s_delay_alu instid0(SALU_CYCLE_1)
	s_xor_b32 exec_lo, exec_lo, s13
	s_cbranch_execnz .LBB22_161
.LBB22_78:                              ;   in Loop: Header=BB22_57 Depth=1
	s_or_b32 exec_lo, exec_lo, s13
	v_mov_b32_e32 v3, s14
	s_and_saveexec_b32 s13, s12
.LBB22_79:                              ;   in Loop: Header=BB22_57 Depth=1
	v_lshrrev_b32_e32 v3, 24, v5
	s_delay_alu instid0(VALU_DEP_1)
	v_and_or_b32 v3, 0x80, v3, v6
.LBB22_80:                              ;   in Loop: Header=BB22_57 Depth=1
	s_or_b32 exec_lo, exec_lo, s13
.LBB22_81:                              ;   in Loop: Header=BB22_57 Depth=1
	s_delay_alu instid0(SALU_CYCLE_1)
	s_or_b32 exec_lo, exec_lo, s9
	v_lshlrev_b32_e32 v6, 16, v4
	v_lshlrev_b32_e32 v2, 8, v2
	v_lshlrev_b64 v[4:5], 2, v[0:1]
	v_and_b32_e32 v7, 0xff, v10
	v_add_nc_u32_e32 v10, s33, v0
	v_perm_b32 v6, v3, v6, 0x4020c0c
	v_and_b32_e32 v8, 0xff00, v2
	s_mov_b32 s12, -1
	v_add_co_u32 v2, vcc_lo, s2, v4
	v_add_co_ci_u32_e32 v3, vcc_lo, s3, v5, vcc_lo
	s_delay_alu instid0(VALU_DEP_3)
	v_or3_b32 v4, v6, v8, v7
	s_mov_b32 s9, exec_lo
	global_store_b32 v[2:3], v4, off
	v_cmpx_gt_u32_e64 s8, v10
	s_cbranch_execz .LBB22_56
; %bb.82:                               ;   in Loop: Header=BB22_57 Depth=1
	v_mov_b32_e32 v11, v1
	s_mov_b32 s12, exec_lo
	s_delay_alu instid0(VALU_DEP_1) | instskip(NEXT) | instid1(VALU_DEP_1)
	v_lshlrev_b64 v[2:3], 4, v[10:11]
	v_add_co_u32 v4, vcc_lo, s28, v2
	s_delay_alu instid0(VALU_DEP_2)
	v_add_co_ci_u32_e32 v5, vcc_lo, s29, v3, vcc_lo
	v_add_co_u32 v19, vcc_lo, s30, v2
	v_add_co_ci_u32_e32 v20, vcc_lo, s31, v3, vcc_lo
	v_add_co_u32 v2, vcc_lo, s10, v2
	global_load_b128 v[6:9], v[4:5], off
	global_load_b128 v[15:18], v[19:20], off
	v_lshrrev_b32_e32 v4, 3, v10
	v_add_co_ci_u32_e32 v3, vcc_lo, s11, v3, vcc_lo
	s_delay_alu instid0(VALU_DEP_2)
	v_and_b32_e32 v12, 0x7fffffc, v4
	global_load_b128 v[2:5], v[2:3], off
	global_load_b32 v13, v12, s[0:1]
	s_waitcnt vmcnt(2)
	v_add_f32_e32 v6, v6, v15
	v_dual_add_f32 v8, v8, v17 :: v_dual_add_f32 v9, v9, v18
	s_delay_alu instid0(VALU_DEP_2) | instskip(SKIP_1) | instid1(VALU_DEP_1)
	v_dual_add_f32 v7, v7, v16 :: v_dual_mul_f32 v12, v28, v6
	s_waitcnt vmcnt(1)
	v_mul_f32_e32 v2, v2, v12
	s_waitcnt vmcnt(0)
	s_delay_alu instid0(VALU_DEP_1) | instskip(SKIP_1) | instid1(VALU_DEP_2)
	v_div_scale_f32 v12, null, v13, v13, v2
	v_div_scale_f32 v21, vcc_lo, v2, v13, v2
	v_rcp_f32_e32 v14, v12
	s_waitcnt_depctr 0xfff
	v_fma_f32 v15, -v12, v14, 1.0
	s_delay_alu instid0(VALU_DEP_1) | instskip(NEXT) | instid1(VALU_DEP_1)
	v_fmac_f32_e32 v14, v15, v14
	v_mul_f32_e32 v15, v21, v14
	global_store_b128 v[19:20], v[6:9], off
	v_fma_f32 v22, -v12, v15, v21
	s_delay_alu instid0(VALU_DEP_1) | instskip(NEXT) | instid1(VALU_DEP_1)
	v_fmac_f32_e32 v15, v22, v14
	v_fma_f32 v12, -v12, v15, v21
	s_delay_alu instid0(VALU_DEP_1) | instskip(NEXT) | instid1(VALU_DEP_1)
	v_div_fmas_f32 v12, v12, v14, v15
	v_div_fixup_f32 v2, v12, v13, v2
	v_mov_b32_e32 v12, 0x80
	s_delay_alu instid0(VALU_DEP_2) | instskip(SKIP_1) | instid1(VALU_DEP_2)
	v_minmax_f32 v14, v2, s7, 0xc3600000
	v_mov_b32_e32 v2, 0x80
	v_and_b32_e32 v15, 0x7fffffff, v14
	s_delay_alu instid0(VALU_DEP_1)
	v_cmpx_gt_u32_e32 0x43800000, v15
	s_cbranch_execz .LBB22_88
; %bb.83:                               ;   in Loop: Header=BB22_57 Depth=1
	s_mov_b32 s13, 0
	s_mov_b32 s14, exec_lo
                                        ; implicit-def: $vgpr6
	v_cmpx_lt_u32_e32 0x3bffffff, v15
	s_xor_b32 s14, exec_lo, s14
	s_cbranch_execnz .LBB22_162
; %bb.84:                               ;   in Loop: Header=BB22_57 Depth=1
	s_or_saveexec_b32 s14, s14
                                        ; implicit-def: $sgpr15
	s_delay_alu instid0(SALU_CYCLE_1)
	s_xor_b32 exec_lo, exec_lo, s14
	s_cbranch_execnz .LBB22_163
.LBB22_85:                              ;   in Loop: Header=BB22_57 Depth=1
	s_or_b32 exec_lo, exec_lo, s14
	v_mov_b32_e32 v12, s15
	s_and_saveexec_b32 s14, s13
.LBB22_86:                              ;   in Loop: Header=BB22_57 Depth=1
	v_lshrrev_b32_e32 v12, 24, v14
	s_delay_alu instid0(VALU_DEP_1)
	v_and_or_b32 v12, 0x80, v12, v6
.LBB22_87:                              ;   in Loop: Header=BB22_57 Depth=1
	s_or_b32 exec_lo, exec_lo, s14
.LBB22_88:                              ;   in Loop: Header=BB22_57 Depth=1
	s_delay_alu instid0(SALU_CYCLE_1) | instskip(SKIP_2) | instid1(VALU_DEP_1)
	s_or_b32 exec_lo, exec_lo, s12
	v_mul_f32_e32 v6, v28, v7
	s_mov_b32 s12, exec_lo
	v_mul_f32_e32 v3, v3, v6
	s_delay_alu instid0(VALU_DEP_1) | instskip(NEXT) | instid1(VALU_DEP_1)
	v_div_scale_f32 v6, null, v13, v13, v3
	v_rcp_f32_e32 v7, v6
	s_waitcnt_depctr 0xfff
	v_fma_f32 v14, -v6, v7, 1.0
	s_delay_alu instid0(VALU_DEP_1) | instskip(SKIP_1) | instid1(VALU_DEP_1)
	v_fmac_f32_e32 v7, v14, v7
	v_div_scale_f32 v14, vcc_lo, v3, v13, v3
	v_mul_f32_e32 v15, v14, v7
	s_delay_alu instid0(VALU_DEP_1) | instskip(NEXT) | instid1(VALU_DEP_1)
	v_fma_f32 v16, -v6, v15, v14
	v_fmac_f32_e32 v15, v16, v7
	s_delay_alu instid0(VALU_DEP_1) | instskip(NEXT) | instid1(VALU_DEP_1)
	v_fma_f32 v6, -v6, v15, v14
	v_div_fmas_f32 v6, v6, v7, v15
	s_delay_alu instid0(VALU_DEP_1) | instskip(NEXT) | instid1(VALU_DEP_1)
	v_div_fixup_f32 v3, v6, v13, v3
	v_minmax_f32 v3, v3, s7, 0xc3600000
	s_delay_alu instid0(VALU_DEP_1) | instskip(NEXT) | instid1(VALU_DEP_1)
	v_and_b32_e32 v6, 0x7fffffff, v3
	v_cmpx_gt_u32_e32 0x43800000, v6
	s_cbranch_execz .LBB22_94
; %bb.89:                               ;   in Loop: Header=BB22_57 Depth=1
	v_cmp_lt_u32_e32 vcc_lo, 0x3bffffff, v6
	s_mov_b32 s13, 0
                                        ; implicit-def: $vgpr6
	s_and_saveexec_b32 s14, vcc_lo
	s_delay_alu instid0(SALU_CYCLE_1)
	s_xor_b32 s14, exec_lo, s14
	s_cbranch_execnz .LBB22_164
; %bb.90:                               ;   in Loop: Header=BB22_57 Depth=1
	s_or_saveexec_b32 s14, s14
                                        ; implicit-def: $sgpr15
	s_delay_alu instid0(SALU_CYCLE_1)
	s_xor_b32 exec_lo, exec_lo, s14
	s_cbranch_execnz .LBB22_165
.LBB22_91:                              ;   in Loop: Header=BB22_57 Depth=1
	s_or_b32 exec_lo, exec_lo, s14
	v_mov_b32_e32 v2, s15
	s_and_saveexec_b32 s14, s13
.LBB22_92:                              ;   in Loop: Header=BB22_57 Depth=1
	v_lshrrev_b32_e32 v2, 24, v3
	s_delay_alu instid0(VALU_DEP_1)
	v_and_or_b32 v2, 0x80, v2, v6
.LBB22_93:                              ;   in Loop: Header=BB22_57 Depth=1
	s_or_b32 exec_lo, exec_lo, s14
.LBB22_94:                              ;   in Loop: Header=BB22_57 Depth=1
	s_delay_alu instid0(SALU_CYCLE_1) | instskip(SKIP_2) | instid1(VALU_DEP_1)
	s_or_b32 exec_lo, exec_lo, s12
	v_mul_f32_e32 v3, v28, v8
	s_mov_b32 s12, exec_lo
	v_mul_f32_e32 v3, v4, v3
	s_delay_alu instid0(VALU_DEP_1) | instskip(SKIP_1) | instid1(VALU_DEP_2)
	v_div_scale_f32 v4, null, v13, v13, v3
	v_div_scale_f32 v8, vcc_lo, v3, v13, v3
	v_rcp_f32_e32 v6, v4
	s_waitcnt_depctr 0xfff
	v_fma_f32 v7, -v4, v6, 1.0
	s_delay_alu instid0(VALU_DEP_1) | instskip(NEXT) | instid1(VALU_DEP_1)
	v_fmac_f32_e32 v6, v7, v6
	v_mul_f32_e32 v7, v8, v6
	s_delay_alu instid0(VALU_DEP_1) | instskip(NEXT) | instid1(VALU_DEP_1)
	v_fma_f32 v14, -v4, v7, v8
	v_fmac_f32_e32 v7, v14, v6
	s_delay_alu instid0(VALU_DEP_1) | instskip(NEXT) | instid1(VALU_DEP_1)
	v_fma_f32 v4, -v4, v7, v8
	v_div_fmas_f32 v4, v4, v6, v7
	s_delay_alu instid0(VALU_DEP_1) | instskip(SKIP_1) | instid1(VALU_DEP_2)
	v_div_fixup_f32 v3, v4, v13, v3
	v_mov_b32_e32 v4, 0x80
	v_minmax_f32 v6, v3, s7, 0xc3600000
	v_mov_b32_e32 v3, 0x80
	s_delay_alu instid0(VALU_DEP_2) | instskip(NEXT) | instid1(VALU_DEP_1)
	v_and_b32_e32 v7, 0x7fffffff, v6
	v_cmpx_gt_u32_e32 0x43800000, v7
	s_cbranch_execz .LBB22_100
; %bb.95:                               ;   in Loop: Header=BB22_57 Depth=1
	v_cmp_lt_u32_e32 vcc_lo, 0x3bffffff, v7
	s_mov_b32 s13, 0
                                        ; implicit-def: $vgpr7
	s_and_saveexec_b32 s14, vcc_lo
	s_delay_alu instid0(SALU_CYCLE_1)
	s_xor_b32 s14, exec_lo, s14
	s_cbranch_execnz .LBB22_166
; %bb.96:                               ;   in Loop: Header=BB22_57 Depth=1
	s_or_saveexec_b32 s14, s14
                                        ; implicit-def: $sgpr15
	s_delay_alu instid0(SALU_CYCLE_1)
	s_xor_b32 exec_lo, exec_lo, s14
	s_cbranch_execnz .LBB22_167
.LBB22_97:                              ;   in Loop: Header=BB22_57 Depth=1
	s_or_b32 exec_lo, exec_lo, s14
	v_mov_b32_e32 v4, s15
	s_and_saveexec_b32 s14, s13
.LBB22_98:                              ;   in Loop: Header=BB22_57 Depth=1
	v_lshrrev_b32_e32 v4, 24, v6
	s_delay_alu instid0(VALU_DEP_1)
	v_and_or_b32 v4, 0x80, v4, v7
.LBB22_99:                              ;   in Loop: Header=BB22_57 Depth=1
	s_or_b32 exec_lo, exec_lo, s14
.LBB22_100:                             ;   in Loop: Header=BB22_57 Depth=1
	s_delay_alu instid0(SALU_CYCLE_1) | instskip(SKIP_2) | instid1(VALU_DEP_1)
	s_or_b32 exec_lo, exec_lo, s12
	v_mul_f32_e32 v6, v28, v9
	s_mov_b32 s12, exec_lo
	v_mul_f32_e32 v5, v5, v6
	s_delay_alu instid0(VALU_DEP_1) | instskip(NEXT) | instid1(VALU_DEP_1)
	v_div_scale_f32 v6, null, v13, v13, v5
	v_rcp_f32_e32 v7, v6
	s_waitcnt_depctr 0xfff
	v_fma_f32 v8, -v6, v7, 1.0
	s_delay_alu instid0(VALU_DEP_1) | instskip(SKIP_1) | instid1(VALU_DEP_1)
	v_fmac_f32_e32 v7, v8, v7
	v_div_scale_f32 v8, vcc_lo, v5, v13, v5
	v_mul_f32_e32 v9, v8, v7
	s_delay_alu instid0(VALU_DEP_1) | instskip(NEXT) | instid1(VALU_DEP_1)
	v_fma_f32 v14, -v6, v9, v8
	v_fmac_f32_e32 v9, v14, v7
	s_delay_alu instid0(VALU_DEP_1) | instskip(NEXT) | instid1(VALU_DEP_1)
	v_fma_f32 v6, -v6, v9, v8
	v_div_fmas_f32 v6, v6, v7, v9
	s_delay_alu instid0(VALU_DEP_1) | instskip(NEXT) | instid1(VALU_DEP_1)
	v_div_fixup_f32 v5, v6, v13, v5
	v_minmax_f32 v5, v5, s7, 0xc3600000
	s_delay_alu instid0(VALU_DEP_1) | instskip(NEXT) | instid1(VALU_DEP_1)
	v_and_b32_e32 v6, 0x7fffffff, v5
	v_cmpx_gt_u32_e32 0x43800000, v6
	s_cbranch_execz .LBB22_106
; %bb.101:                              ;   in Loop: Header=BB22_57 Depth=1
	v_cmp_lt_u32_e32 vcc_lo, 0x3bffffff, v6
	s_mov_b32 s13, 0
                                        ; implicit-def: $vgpr6
	s_and_saveexec_b32 s14, vcc_lo
	s_delay_alu instid0(SALU_CYCLE_1)
	s_xor_b32 s14, exec_lo, s14
	s_cbranch_execnz .LBB22_168
; %bb.102:                              ;   in Loop: Header=BB22_57 Depth=1
	s_or_saveexec_b32 s14, s14
                                        ; implicit-def: $sgpr15
	s_delay_alu instid0(SALU_CYCLE_1)
	s_xor_b32 exec_lo, exec_lo, s14
	s_cbranch_execnz .LBB22_169
.LBB22_103:                             ;   in Loop: Header=BB22_57 Depth=1
	s_or_b32 exec_lo, exec_lo, s14
	v_mov_b32_e32 v3, s15
	s_and_saveexec_b32 s14, s13
.LBB22_104:                             ;   in Loop: Header=BB22_57 Depth=1
	v_lshrrev_b32_e32 v3, 24, v5
	s_delay_alu instid0(VALU_DEP_1)
	v_and_or_b32 v3, 0x80, v3, v6
.LBB22_105:                             ;   in Loop: Header=BB22_57 Depth=1
	s_or_b32 exec_lo, exec_lo, s14
.LBB22_106:                             ;   in Loop: Header=BB22_57 Depth=1
	s_delay_alu instid0(SALU_CYCLE_1)
	s_or_b32 exec_lo, exec_lo, s12
	v_lshlrev_b32_e32 v6, 16, v4
	v_lshlrev_b32_e32 v2, 8, v2
	v_lshlrev_b64 v[4:5], 2, v[10:11]
	v_and_b32_e32 v7, 0xff, v12
	v_add_nc_u32_e32 v11, s5, v0
	v_perm_b32 v6, v3, v6, 0x4020c0c
	v_and_b32_e32 v8, 0xff00, v2
	s_mov_b32 s13, -1
	v_add_co_u32 v2, vcc_lo, s2, v4
	v_add_co_ci_u32_e32 v3, vcc_lo, s3, v5, vcc_lo
	s_delay_alu instid0(VALU_DEP_3)
	v_or3_b32 v4, v6, v8, v7
	s_mov_b32 s12, exec_lo
	global_store_b32 v[2:3], v4, off
	v_cmpx_gt_u32_e64 s8, v11
	s_cbranch_execz .LBB22_55
; %bb.107:                              ;   in Loop: Header=BB22_57 Depth=1
	v_mov_b32_e32 v12, v1
	s_mov_b32 s13, exec_lo
	s_delay_alu instid0(VALU_DEP_1) | instskip(NEXT) | instid1(VALU_DEP_1)
	v_lshlrev_b64 v[2:3], 4, v[11:12]
	v_add_co_u32 v4, vcc_lo, s28, v2
	s_delay_alu instid0(VALU_DEP_2)
	v_add_co_ci_u32_e32 v5, vcc_lo, s29, v3, vcc_lo
	v_add_co_u32 v20, vcc_lo, s30, v2
	v_add_co_ci_u32_e32 v21, vcc_lo, s31, v3, vcc_lo
	v_add_co_u32 v2, vcc_lo, s10, v2
	global_load_b128 v[6:9], v[4:5], off
	global_load_b128 v[16:19], v[20:21], off
	v_lshrrev_b32_e32 v4, 3, v11
	v_add_co_ci_u32_e32 v3, vcc_lo, s11, v3, vcc_lo
	s_delay_alu instid0(VALU_DEP_2)
	v_and_b32_e32 v13, 0x7fffffc, v4
	global_load_b128 v[2:5], v[2:3], off
	global_load_b32 v14, v13, s[0:1]
	s_waitcnt vmcnt(2)
	v_add_f32_e32 v6, v6, v16
	v_dual_add_f32 v8, v8, v18 :: v_dual_add_f32 v9, v9, v19
	v_add_f32_e32 v7, v7, v17
	s_delay_alu instid0(VALU_DEP_3) | instskip(SKIP_1) | instid1(VALU_DEP_1)
	v_mul_f32_e32 v13, v28, v6
	s_waitcnt vmcnt(1)
	v_mul_f32_e32 v2, v2, v13
	s_waitcnt vmcnt(0)
	s_delay_alu instid0(VALU_DEP_1) | instskip(SKIP_1) | instid1(VALU_DEP_2)
	v_div_scale_f32 v13, null, v14, v14, v2
	v_div_scale_f32 v22, vcc_lo, v2, v14, v2
	v_rcp_f32_e32 v15, v13
	s_waitcnt_depctr 0xfff
	v_fma_f32 v16, -v13, v15, 1.0
	s_delay_alu instid0(VALU_DEP_1) | instskip(SKIP_2) | instid1(VALU_DEP_1)
	v_fmac_f32_e32 v15, v16, v15
	global_store_b128 v[20:21], v[6:9], off
	v_mul_f32_e32 v16, v22, v15
	v_fma_f32 v23, -v13, v16, v22
	s_delay_alu instid0(VALU_DEP_1) | instskip(NEXT) | instid1(VALU_DEP_1)
	v_fmac_f32_e32 v16, v23, v15
	v_fma_f32 v13, -v13, v16, v22
	s_delay_alu instid0(VALU_DEP_1) | instskip(NEXT) | instid1(VALU_DEP_1)
	v_div_fmas_f32 v13, v13, v15, v16
	v_div_fixup_f32 v2, v13, v14, v2
	v_mov_b32_e32 v13, 0x80
	s_delay_alu instid0(VALU_DEP_2) | instskip(SKIP_1) | instid1(VALU_DEP_2)
	v_minmax_f32 v15, v2, s7, 0xc3600000
	v_mov_b32_e32 v2, 0x80
	v_and_b32_e32 v16, 0x7fffffff, v15
	s_delay_alu instid0(VALU_DEP_1)
	v_cmpx_gt_u32_e32 0x43800000, v16
	s_cbranch_execz .LBB22_113
; %bb.108:                              ;   in Loop: Header=BB22_57 Depth=1
	s_mov_b32 s14, 0
	s_mov_b32 s15, exec_lo
                                        ; implicit-def: $vgpr6
	v_cmpx_lt_u32_e32 0x3bffffff, v16
	s_xor_b32 s15, exec_lo, s15
	s_cbranch_execnz .LBB22_170
; %bb.109:                              ;   in Loop: Header=BB22_57 Depth=1
	s_or_saveexec_b32 s15, s15
                                        ; implicit-def: $sgpr16
	s_delay_alu instid0(SALU_CYCLE_1)
	s_xor_b32 exec_lo, exec_lo, s15
	s_cbranch_execnz .LBB22_171
.LBB22_110:                             ;   in Loop: Header=BB22_57 Depth=1
	s_or_b32 exec_lo, exec_lo, s15
	v_mov_b32_e32 v13, s16
	s_and_saveexec_b32 s15, s14
.LBB22_111:                             ;   in Loop: Header=BB22_57 Depth=1
	v_lshrrev_b32_e32 v13, 24, v15
	s_delay_alu instid0(VALU_DEP_1)
	v_and_or_b32 v13, 0x80, v13, v6
.LBB22_112:                             ;   in Loop: Header=BB22_57 Depth=1
	s_or_b32 exec_lo, exec_lo, s15
.LBB22_113:                             ;   in Loop: Header=BB22_57 Depth=1
	s_delay_alu instid0(SALU_CYCLE_1) | instskip(SKIP_2) | instid1(VALU_DEP_1)
	s_or_b32 exec_lo, exec_lo, s13
	v_mul_f32_e32 v6, v28, v7
	s_mov_b32 s13, exec_lo
	v_mul_f32_e32 v3, v3, v6
	s_delay_alu instid0(VALU_DEP_1) | instskip(NEXT) | instid1(VALU_DEP_1)
	v_div_scale_f32 v6, null, v14, v14, v3
	v_rcp_f32_e32 v7, v6
	s_waitcnt_depctr 0xfff
	v_fma_f32 v15, -v6, v7, 1.0
	s_delay_alu instid0(VALU_DEP_1) | instskip(SKIP_1) | instid1(VALU_DEP_1)
	v_fmac_f32_e32 v7, v15, v7
	v_div_scale_f32 v15, vcc_lo, v3, v14, v3
	v_mul_f32_e32 v16, v15, v7
	s_delay_alu instid0(VALU_DEP_1) | instskip(NEXT) | instid1(VALU_DEP_1)
	v_fma_f32 v17, -v6, v16, v15
	v_fmac_f32_e32 v16, v17, v7
	s_delay_alu instid0(VALU_DEP_1) | instskip(NEXT) | instid1(VALU_DEP_1)
	v_fma_f32 v6, -v6, v16, v15
	v_div_fmas_f32 v6, v6, v7, v16
	s_delay_alu instid0(VALU_DEP_1) | instskip(NEXT) | instid1(VALU_DEP_1)
	v_div_fixup_f32 v3, v6, v14, v3
	v_minmax_f32 v3, v3, s7, 0xc3600000
	s_delay_alu instid0(VALU_DEP_1) | instskip(NEXT) | instid1(VALU_DEP_1)
	v_and_b32_e32 v6, 0x7fffffff, v3
	v_cmpx_gt_u32_e32 0x43800000, v6
	s_cbranch_execz .LBB22_119
; %bb.114:                              ;   in Loop: Header=BB22_57 Depth=1
	v_cmp_lt_u32_e32 vcc_lo, 0x3bffffff, v6
	s_mov_b32 s14, 0
                                        ; implicit-def: $vgpr6
	s_and_saveexec_b32 s15, vcc_lo
	s_delay_alu instid0(SALU_CYCLE_1)
	s_xor_b32 s15, exec_lo, s15
	s_cbranch_execnz .LBB22_172
; %bb.115:                              ;   in Loop: Header=BB22_57 Depth=1
	s_or_saveexec_b32 s15, s15
                                        ; implicit-def: $sgpr16
	s_delay_alu instid0(SALU_CYCLE_1)
	s_xor_b32 exec_lo, exec_lo, s15
	s_cbranch_execnz .LBB22_173
.LBB22_116:                             ;   in Loop: Header=BB22_57 Depth=1
	s_or_b32 exec_lo, exec_lo, s15
	v_mov_b32_e32 v2, s16
	s_and_saveexec_b32 s15, s14
.LBB22_117:                             ;   in Loop: Header=BB22_57 Depth=1
	v_lshrrev_b32_e32 v2, 24, v3
	s_delay_alu instid0(VALU_DEP_1)
	v_and_or_b32 v2, 0x80, v2, v6
.LBB22_118:                             ;   in Loop: Header=BB22_57 Depth=1
	s_or_b32 exec_lo, exec_lo, s15
.LBB22_119:                             ;   in Loop: Header=BB22_57 Depth=1
	s_delay_alu instid0(SALU_CYCLE_1) | instskip(SKIP_2) | instid1(VALU_DEP_1)
	s_or_b32 exec_lo, exec_lo, s13
	v_mul_f32_e32 v3, v28, v8
	s_mov_b32 s13, exec_lo
	v_mul_f32_e32 v3, v4, v3
	s_delay_alu instid0(VALU_DEP_1) | instskip(SKIP_1) | instid1(VALU_DEP_2)
	v_div_scale_f32 v4, null, v14, v14, v3
	v_div_scale_f32 v8, vcc_lo, v3, v14, v3
	v_rcp_f32_e32 v6, v4
	s_waitcnt_depctr 0xfff
	v_fma_f32 v7, -v4, v6, 1.0
	s_delay_alu instid0(VALU_DEP_1) | instskip(NEXT) | instid1(VALU_DEP_1)
	v_fmac_f32_e32 v6, v7, v6
	v_mul_f32_e32 v7, v8, v6
	s_delay_alu instid0(VALU_DEP_1) | instskip(NEXT) | instid1(VALU_DEP_1)
	v_fma_f32 v15, -v4, v7, v8
	v_fmac_f32_e32 v7, v15, v6
	s_delay_alu instid0(VALU_DEP_1) | instskip(NEXT) | instid1(VALU_DEP_1)
	v_fma_f32 v4, -v4, v7, v8
	v_div_fmas_f32 v4, v4, v6, v7
	s_delay_alu instid0(VALU_DEP_1) | instskip(SKIP_1) | instid1(VALU_DEP_2)
	v_div_fixup_f32 v3, v4, v14, v3
	v_mov_b32_e32 v4, 0x80
	v_minmax_f32 v6, v3, s7, 0xc3600000
	v_mov_b32_e32 v3, 0x80
	s_delay_alu instid0(VALU_DEP_2) | instskip(NEXT) | instid1(VALU_DEP_1)
	v_and_b32_e32 v7, 0x7fffffff, v6
	v_cmpx_gt_u32_e32 0x43800000, v7
	s_cbranch_execz .LBB22_125
; %bb.120:                              ;   in Loop: Header=BB22_57 Depth=1
	v_cmp_lt_u32_e32 vcc_lo, 0x3bffffff, v7
	s_mov_b32 s14, 0
                                        ; implicit-def: $vgpr7
	s_and_saveexec_b32 s15, vcc_lo
	s_delay_alu instid0(SALU_CYCLE_1)
	s_xor_b32 s15, exec_lo, s15
	s_cbranch_execnz .LBB22_174
; %bb.121:                              ;   in Loop: Header=BB22_57 Depth=1
	s_or_saveexec_b32 s15, s15
                                        ; implicit-def: $sgpr16
	s_delay_alu instid0(SALU_CYCLE_1)
	s_xor_b32 exec_lo, exec_lo, s15
	s_cbranch_execnz .LBB22_175
.LBB22_122:                             ;   in Loop: Header=BB22_57 Depth=1
	s_or_b32 exec_lo, exec_lo, s15
	v_mov_b32_e32 v4, s16
	s_and_saveexec_b32 s15, s14
.LBB22_123:                             ;   in Loop: Header=BB22_57 Depth=1
	v_lshrrev_b32_e32 v4, 24, v6
	s_delay_alu instid0(VALU_DEP_1)
	v_and_or_b32 v4, 0x80, v4, v7
.LBB22_124:                             ;   in Loop: Header=BB22_57 Depth=1
	s_or_b32 exec_lo, exec_lo, s15
.LBB22_125:                             ;   in Loop: Header=BB22_57 Depth=1
	s_delay_alu instid0(SALU_CYCLE_1) | instskip(SKIP_2) | instid1(VALU_DEP_1)
	s_or_b32 exec_lo, exec_lo, s13
	v_mul_f32_e32 v6, v28, v9
	s_mov_b32 s13, exec_lo
	v_mul_f32_e32 v5, v5, v6
	s_delay_alu instid0(VALU_DEP_1) | instskip(NEXT) | instid1(VALU_DEP_1)
	v_div_scale_f32 v6, null, v14, v14, v5
	v_rcp_f32_e32 v7, v6
	s_waitcnt_depctr 0xfff
	v_fma_f32 v8, -v6, v7, 1.0
	s_delay_alu instid0(VALU_DEP_1) | instskip(SKIP_1) | instid1(VALU_DEP_1)
	v_fmac_f32_e32 v7, v8, v7
	v_div_scale_f32 v8, vcc_lo, v5, v14, v5
	v_mul_f32_e32 v9, v8, v7
	s_delay_alu instid0(VALU_DEP_1) | instskip(NEXT) | instid1(VALU_DEP_1)
	v_fma_f32 v15, -v6, v9, v8
	v_fmac_f32_e32 v9, v15, v7
	s_delay_alu instid0(VALU_DEP_1) | instskip(NEXT) | instid1(VALU_DEP_1)
	v_fma_f32 v6, -v6, v9, v8
	v_div_fmas_f32 v6, v6, v7, v9
	s_delay_alu instid0(VALU_DEP_1) | instskip(NEXT) | instid1(VALU_DEP_1)
	v_div_fixup_f32 v5, v6, v14, v5
	v_minmax_f32 v5, v5, s7, 0xc3600000
	s_delay_alu instid0(VALU_DEP_1) | instskip(NEXT) | instid1(VALU_DEP_1)
	v_and_b32_e32 v6, 0x7fffffff, v5
	v_cmpx_gt_u32_e32 0x43800000, v6
	s_cbranch_execz .LBB22_131
; %bb.126:                              ;   in Loop: Header=BB22_57 Depth=1
	v_cmp_lt_u32_e32 vcc_lo, 0x3bffffff, v6
	s_mov_b32 s14, 0
                                        ; implicit-def: $vgpr6
	s_and_saveexec_b32 s15, vcc_lo
	s_delay_alu instid0(SALU_CYCLE_1)
	s_xor_b32 s15, exec_lo, s15
	s_cbranch_execnz .LBB22_176
; %bb.127:                              ;   in Loop: Header=BB22_57 Depth=1
	s_or_saveexec_b32 s15, s15
                                        ; implicit-def: $sgpr16
	s_delay_alu instid0(SALU_CYCLE_1)
	s_xor_b32 exec_lo, exec_lo, s15
	s_cbranch_execnz .LBB22_177
.LBB22_128:                             ;   in Loop: Header=BB22_57 Depth=1
	s_or_b32 exec_lo, exec_lo, s15
	v_mov_b32_e32 v3, s16
	s_and_saveexec_b32 s15, s14
.LBB22_129:                             ;   in Loop: Header=BB22_57 Depth=1
	v_lshrrev_b32_e32 v3, 24, v5
	s_delay_alu instid0(VALU_DEP_1)
	v_and_or_b32 v3, 0x80, v3, v6
.LBB22_130:                             ;   in Loop: Header=BB22_57 Depth=1
	s_or_b32 exec_lo, exec_lo, s15
.LBB22_131:                             ;   in Loop: Header=BB22_57 Depth=1
	s_delay_alu instid0(SALU_CYCLE_1)
	s_or_b32 exec_lo, exec_lo, s13
	v_lshlrev_b32_e32 v6, 16, v4
	v_lshlrev_b32_e32 v2, 8, v2
	v_lshlrev_b64 v[4:5], 2, v[11:12]
	v_and_b32_e32 v7, 0xff, v13
	v_add_nc_u32_e32 v0, s4, v0
	v_perm_b32 v6, v3, v6, 0x4020c0c
	v_and_b32_e32 v8, 0xff00, v2
	s_mov_b32 s14, -1
	v_add_co_u32 v2, vcc_lo, s2, v4
	v_add_co_ci_u32_e32 v3, vcc_lo, s3, v5, vcc_lo
	s_delay_alu instid0(VALU_DEP_3)
	v_or3_b32 v4, v6, v8, v7
	s_mov_b32 s13, exec_lo
	global_store_b32 v[2:3], v4, off
	v_cmpx_gt_u32_e64 s8, v0
	s_cbranch_execz .LBB22_54
; %bb.132:                              ;   in Loop: Header=BB22_57 Depth=1
	v_lshlrev_b64 v[2:3], 4, v[0:1]
	s_mov_b32 s14, exec_lo
	s_delay_alu instid0(VALU_DEP_1) | instskip(NEXT) | instid1(VALU_DEP_2)
	v_add_co_u32 v4, vcc_lo, s28, v2
	v_add_co_ci_u32_e32 v5, vcc_lo, s29, v3, vcc_lo
	v_add_co_u32 v18, vcc_lo, s30, v2
	v_add_co_ci_u32_e32 v19, vcc_lo, s31, v3, vcc_lo
	v_add_co_u32 v2, vcc_lo, s10, v2
	global_load_b128 v[6:9], v[4:5], off
	global_load_b128 v[14:17], v[18:19], off
	v_lshrrev_b32_e32 v4, 3, v0
	v_add_co_ci_u32_e32 v3, vcc_lo, s11, v3, vcc_lo
	s_waitcnt vmcnt(0)
	s_delay_alu instid0(VALU_DEP_2)
	v_dual_add_f32 v6, v6, v14 :: v_dual_and_b32 v11, 0x7fffffc, v4
	global_load_b128 v[2:5], v[2:3], off
	global_load_b32 v12, v11, s[0:1]
	v_dual_add_f32 v9, v9, v17 :: v_dual_add_f32 v8, v8, v16
	v_add_f32_e32 v7, v7, v15
	v_mul_f32_e32 v11, v28, v6
	s_waitcnt vmcnt(1)
	s_delay_alu instid0(VALU_DEP_1) | instskip(SKIP_1) | instid1(VALU_DEP_1)
	v_mul_f32_e32 v2, v2, v11
	s_waitcnt vmcnt(0)
	v_div_scale_f32 v11, null, v12, v12, v2
	v_div_scale_f32 v20, vcc_lo, v2, v12, v2
	s_delay_alu instid0(VALU_DEP_2) | instskip(SKIP_2) | instid1(VALU_DEP_1)
	v_rcp_f32_e32 v13, v11
	s_waitcnt_depctr 0xfff
	v_fma_f32 v14, -v11, v13, 1.0
	v_fmac_f32_e32 v13, v14, v13
	s_delay_alu instid0(VALU_DEP_1) | instskip(NEXT) | instid1(VALU_DEP_1)
	v_mul_f32_e32 v14, v20, v13
	v_fma_f32 v21, -v11, v14, v20
	s_delay_alu instid0(VALU_DEP_1) | instskip(NEXT) | instid1(VALU_DEP_1)
	v_fmac_f32_e32 v14, v21, v13
	v_fma_f32 v11, -v11, v14, v20
	s_delay_alu instid0(VALU_DEP_1) | instskip(NEXT) | instid1(VALU_DEP_1)
	v_div_fmas_f32 v11, v11, v13, v14
	v_div_fixup_f32 v2, v11, v12, v2
	v_mov_b32_e32 v11, 0x80
	s_delay_alu instid0(VALU_DEP_2) | instskip(SKIP_3) | instid1(VALU_DEP_1)
	v_minmax_f32 v13, v2, s7, 0xc3600000
	v_mov_b32_e32 v2, 0x80
	global_store_b128 v[18:19], v[6:9], off
	v_and_b32_e32 v14, 0x7fffffff, v13
	v_cmpx_gt_u32_e32 0x43800000, v14
	s_cbranch_execz .LBB22_138
; %bb.133:                              ;   in Loop: Header=BB22_57 Depth=1
	s_mov_b32 s15, 0
	s_mov_b32 s16, exec_lo
                                        ; implicit-def: $vgpr6
	v_cmpx_lt_u32_e32 0x3bffffff, v14
	s_xor_b32 s16, exec_lo, s16
	s_cbranch_execnz .LBB22_178
; %bb.134:                              ;   in Loop: Header=BB22_57 Depth=1
	s_or_saveexec_b32 s16, s16
                                        ; implicit-def: $sgpr17
	s_delay_alu instid0(SALU_CYCLE_1)
	s_xor_b32 exec_lo, exec_lo, s16
	s_cbranch_execnz .LBB22_179
.LBB22_135:                             ;   in Loop: Header=BB22_57 Depth=1
	s_or_b32 exec_lo, exec_lo, s16
	v_mov_b32_e32 v2, s17
	s_and_saveexec_b32 s16, s15
.LBB22_136:                             ;   in Loop: Header=BB22_57 Depth=1
	v_lshrrev_b32_e32 v2, 24, v13
	s_delay_alu instid0(VALU_DEP_1)
	v_and_or_b32 v2, 0x80, v2, v6
.LBB22_137:                             ;   in Loop: Header=BB22_57 Depth=1
	s_or_b32 exec_lo, exec_lo, s16
.LBB22_138:                             ;   in Loop: Header=BB22_57 Depth=1
	s_delay_alu instid0(SALU_CYCLE_1) | instskip(SKIP_2) | instid1(VALU_DEP_1)
	s_or_b32 exec_lo, exec_lo, s14
	v_mul_f32_e32 v6, v28, v7
	s_mov_b32 s14, exec_lo
	v_mul_f32_e32 v3, v3, v6
	s_delay_alu instid0(VALU_DEP_1) | instskip(NEXT) | instid1(VALU_DEP_1)
	v_div_scale_f32 v6, null, v12, v12, v3
	v_rcp_f32_e32 v7, v6
	s_waitcnt_depctr 0xfff
	v_fma_f32 v13, -v6, v7, 1.0
	s_delay_alu instid0(VALU_DEP_1) | instskip(SKIP_1) | instid1(VALU_DEP_1)
	v_fmac_f32_e32 v7, v13, v7
	v_div_scale_f32 v13, vcc_lo, v3, v12, v3
	v_mul_f32_e32 v14, v13, v7
	s_delay_alu instid0(VALU_DEP_1) | instskip(NEXT) | instid1(VALU_DEP_1)
	v_fma_f32 v15, -v6, v14, v13
	v_fmac_f32_e32 v14, v15, v7
	s_delay_alu instid0(VALU_DEP_1) | instskip(NEXT) | instid1(VALU_DEP_1)
	v_fma_f32 v6, -v6, v14, v13
	v_div_fmas_f32 v6, v6, v7, v14
	s_delay_alu instid0(VALU_DEP_1) | instskip(NEXT) | instid1(VALU_DEP_1)
	v_div_fixup_f32 v3, v6, v12, v3
	v_minmax_f32 v3, v3, s7, 0xc3600000
	s_delay_alu instid0(VALU_DEP_1) | instskip(NEXT) | instid1(VALU_DEP_1)
	v_and_b32_e32 v6, 0x7fffffff, v3
	v_cmpx_gt_u32_e32 0x43800000, v6
	s_cbranch_execz .LBB22_144
; %bb.139:                              ;   in Loop: Header=BB22_57 Depth=1
	v_cmp_lt_u32_e32 vcc_lo, 0x3bffffff, v6
	s_mov_b32 s15, 0
                                        ; implicit-def: $vgpr6
	s_and_saveexec_b32 s16, vcc_lo
	s_delay_alu instid0(SALU_CYCLE_1)
	s_xor_b32 s16, exec_lo, s16
	s_cbranch_execnz .LBB22_180
; %bb.140:                              ;   in Loop: Header=BB22_57 Depth=1
	s_or_saveexec_b32 s16, s16
                                        ; implicit-def: $sgpr17
	s_delay_alu instid0(SALU_CYCLE_1)
	s_xor_b32 exec_lo, exec_lo, s16
	s_cbranch_execnz .LBB22_181
.LBB22_141:                             ;   in Loop: Header=BB22_57 Depth=1
	s_or_b32 exec_lo, exec_lo, s16
	v_mov_b32_e32 v11, s17
	s_and_saveexec_b32 s16, s15
.LBB22_142:                             ;   in Loop: Header=BB22_57 Depth=1
	v_lshrrev_b32_e32 v3, 24, v3
	s_delay_alu instid0(VALU_DEP_1)
	v_and_or_b32 v11, 0x80, v3, v6
.LBB22_143:                             ;   in Loop: Header=BB22_57 Depth=1
	s_or_b32 exec_lo, exec_lo, s16
.LBB22_144:                             ;   in Loop: Header=BB22_57 Depth=1
	s_delay_alu instid0(SALU_CYCLE_1) | instskip(SKIP_2) | instid1(VALU_DEP_1)
	s_or_b32 exec_lo, exec_lo, s14
	v_mul_f32_e32 v3, v28, v8
	s_mov_b32 s14, exec_lo
	v_mul_f32_e32 v3, v4, v3
	s_delay_alu instid0(VALU_DEP_1) | instskip(SKIP_1) | instid1(VALU_DEP_2)
	v_div_scale_f32 v4, null, v12, v12, v3
	v_div_scale_f32 v8, vcc_lo, v3, v12, v3
	v_rcp_f32_e32 v6, v4
	s_waitcnt_depctr 0xfff
	v_fma_f32 v7, -v4, v6, 1.0
	s_delay_alu instid0(VALU_DEP_1) | instskip(NEXT) | instid1(VALU_DEP_1)
	v_fmac_f32_e32 v6, v7, v6
	v_mul_f32_e32 v7, v8, v6
	s_delay_alu instid0(VALU_DEP_1) | instskip(NEXT) | instid1(VALU_DEP_1)
	v_fma_f32 v13, -v4, v7, v8
	v_fmac_f32_e32 v7, v13, v6
	s_delay_alu instid0(VALU_DEP_1) | instskip(NEXT) | instid1(VALU_DEP_1)
	v_fma_f32 v4, -v4, v7, v8
	v_div_fmas_f32 v4, v4, v6, v7
	s_delay_alu instid0(VALU_DEP_1) | instskip(SKIP_1) | instid1(VALU_DEP_2)
	v_div_fixup_f32 v3, v4, v12, v3
	v_mov_b32_e32 v4, 0x80
	v_minmax_f32 v6, v3, s7, 0xc3600000
	v_mov_b32_e32 v3, 0x80
	s_delay_alu instid0(VALU_DEP_2) | instskip(NEXT) | instid1(VALU_DEP_1)
	v_and_b32_e32 v7, 0x7fffffff, v6
	v_cmpx_gt_u32_e32 0x43800000, v7
	s_cbranch_execz .LBB22_150
; %bb.145:                              ;   in Loop: Header=BB22_57 Depth=1
	v_cmp_lt_u32_e32 vcc_lo, 0x3bffffff, v7
	s_mov_b32 s15, 0
                                        ; implicit-def: $vgpr7
	s_and_saveexec_b32 s16, vcc_lo
	s_delay_alu instid0(SALU_CYCLE_1)
	s_xor_b32 s16, exec_lo, s16
	s_cbranch_execnz .LBB22_182
; %bb.146:                              ;   in Loop: Header=BB22_57 Depth=1
	s_or_saveexec_b32 s16, s16
                                        ; implicit-def: $sgpr17
	s_delay_alu instid0(SALU_CYCLE_1)
	s_xor_b32 exec_lo, exec_lo, s16
	s_cbranch_execnz .LBB22_183
.LBB22_147:                             ;   in Loop: Header=BB22_57 Depth=1
	s_or_b32 exec_lo, exec_lo, s16
	v_mov_b32_e32 v4, s17
	s_and_saveexec_b32 s16, s15
.LBB22_148:                             ;   in Loop: Header=BB22_57 Depth=1
	v_lshrrev_b32_e32 v4, 24, v6
	s_delay_alu instid0(VALU_DEP_1)
	v_and_or_b32 v4, 0x80, v4, v7
.LBB22_149:                             ;   in Loop: Header=BB22_57 Depth=1
	s_or_b32 exec_lo, exec_lo, s16
.LBB22_150:                             ;   in Loop: Header=BB22_57 Depth=1
	s_delay_alu instid0(SALU_CYCLE_1) | instskip(SKIP_2) | instid1(VALU_DEP_1)
	s_or_b32 exec_lo, exec_lo, s14
	v_mul_f32_e32 v6, v28, v9
	s_mov_b32 s14, exec_lo
	v_mul_f32_e32 v5, v5, v6
	s_delay_alu instid0(VALU_DEP_1) | instskip(NEXT) | instid1(VALU_DEP_1)
	v_div_scale_f32 v6, null, v12, v12, v5
	v_rcp_f32_e32 v7, v6
	s_waitcnt_depctr 0xfff
	v_fma_f32 v8, -v6, v7, 1.0
	s_delay_alu instid0(VALU_DEP_1) | instskip(SKIP_1) | instid1(VALU_DEP_1)
	v_fmac_f32_e32 v7, v8, v7
	v_div_scale_f32 v8, vcc_lo, v5, v12, v5
	v_mul_f32_e32 v9, v8, v7
	s_delay_alu instid0(VALU_DEP_1) | instskip(NEXT) | instid1(VALU_DEP_1)
	v_fma_f32 v13, -v6, v9, v8
	v_fmac_f32_e32 v9, v13, v7
	s_delay_alu instid0(VALU_DEP_1) | instskip(NEXT) | instid1(VALU_DEP_1)
	v_fma_f32 v6, -v6, v9, v8
	v_div_fmas_f32 v6, v6, v7, v9
	s_delay_alu instid0(VALU_DEP_1) | instskip(NEXT) | instid1(VALU_DEP_1)
	v_div_fixup_f32 v5, v6, v12, v5
	v_minmax_f32 v5, v5, s7, 0xc3600000
	s_delay_alu instid0(VALU_DEP_1) | instskip(NEXT) | instid1(VALU_DEP_1)
	v_and_b32_e32 v6, 0x7fffffff, v5
	v_cmpx_gt_u32_e32 0x43800000, v6
	s_cbranch_execz .LBB22_53
; %bb.151:                              ;   in Loop: Header=BB22_57 Depth=1
	v_cmp_lt_u32_e32 vcc_lo, 0x3bffffff, v6
	s_mov_b32 s15, 0
                                        ; implicit-def: $vgpr6
	s_and_saveexec_b32 s16, vcc_lo
	s_delay_alu instid0(SALU_CYCLE_1)
	s_xor_b32 s16, exec_lo, s16
	s_cbranch_execnz .LBB22_184
; %bb.152:                              ;   in Loop: Header=BB22_57 Depth=1
	s_or_saveexec_b32 s16, s16
                                        ; implicit-def: $sgpr17
	s_delay_alu instid0(SALU_CYCLE_1)
	s_xor_b32 exec_lo, exec_lo, s16
	s_cbranch_execnz .LBB22_185
.LBB22_153:                             ;   in Loop: Header=BB22_57 Depth=1
	s_or_b32 exec_lo, exec_lo, s16
	v_mov_b32_e32 v3, s17
	s_and_saveexec_b32 s16, s15
	s_cbranch_execz .LBB22_52
	s_branch .LBB22_186
.LBB22_154:                             ;   in Loop: Header=BB22_57 Depth=1
	v_bfe_u32 v6, v12, 20, 1
	s_mov_b32 s12, exec_lo
	s_delay_alu instid0(VALU_DEP_1) | instskip(NEXT) | instid1(VALU_DEP_1)
	v_add3_u32 v6, v12, v6, 0x487ffff
	v_lshrrev_b32_e32 v6, 20, v6
	s_or_saveexec_b32 s13, s13
                                        ; implicit-def: $sgpr14
	s_delay_alu instid0(SALU_CYCLE_1)
	s_xor_b32 exec_lo, exec_lo, s13
	s_cbranch_execz .LBB22_60
.LBB22_155:                             ;   in Loop: Header=BB22_57 Depth=1
	v_add_f32_e64 v6, 0x46000000, |v12|
	s_and_not1_b32 s12, s12, exec_lo
	s_mov_b32 s14, 0
	s_delay_alu instid0(VALU_DEP_1) | instskip(NEXT) | instid1(VALU_DEP_1)
	v_and_b32_e32 v6, 0xff, v6
	v_cmp_ne_u32_e32 vcc_lo, 0, v6
	s_and_b32 s15, vcc_lo, exec_lo
	s_delay_alu instid0(SALU_CYCLE_1)
	s_or_b32 s12, s12, s15
	s_or_b32 exec_lo, exec_lo, s13
	v_mov_b32_e32 v10, s14
	s_and_saveexec_b32 s13, s12
	s_cbranch_execnz .LBB22_61
	s_branch .LBB22_62
.LBB22_156:                             ;   in Loop: Header=BB22_57 Depth=1
	v_bfe_u32 v2, v3, 20, 1
	s_mov_b32 s12, exec_lo
	s_delay_alu instid0(VALU_DEP_1) | instskip(NEXT) | instid1(VALU_DEP_1)
	v_add3_u32 v2, v3, v2, 0x487ffff
	v_lshrrev_b32_e32 v6, 20, v2
	s_or_saveexec_b32 s13, s13
                                        ; implicit-def: $sgpr14
	s_delay_alu instid0(SALU_CYCLE_1)
	s_xor_b32 exec_lo, exec_lo, s13
	s_cbranch_execz .LBB22_66
.LBB22_157:                             ;   in Loop: Header=BB22_57 Depth=1
	v_add_f32_e64 v2, 0x46000000, |v3|
	s_and_not1_b32 s12, s12, exec_lo
	s_mov_b32 s14, 0
	s_delay_alu instid0(VALU_DEP_1) | instskip(NEXT) | instid1(VALU_DEP_1)
	v_and_b32_e32 v6, 0xff, v2
	v_cmp_ne_u32_e32 vcc_lo, 0, v6
	s_and_b32 s15, vcc_lo, exec_lo
	s_delay_alu instid0(SALU_CYCLE_1)
	s_or_b32 s12, s12, s15
	s_or_b32 exec_lo, exec_lo, s13
	v_mov_b32_e32 v2, s14
	s_and_saveexec_b32 s13, s12
	s_cbranch_execnz .LBB22_67
	s_branch .LBB22_68
.LBB22_158:                             ;   in Loop: Header=BB22_57 Depth=1
	v_bfe_u32 v4, v6, 20, 1
	s_mov_b32 s12, exec_lo
	s_delay_alu instid0(VALU_DEP_1) | instskip(NEXT) | instid1(VALU_DEP_1)
	v_add3_u32 v4, v6, v4, 0x487ffff
	v_lshrrev_b32_e32 v7, 20, v4
	s_or_saveexec_b32 s13, s13
                                        ; implicit-def: $sgpr14
	s_delay_alu instid0(SALU_CYCLE_1)
	s_xor_b32 exec_lo, exec_lo, s13
	s_cbranch_execz .LBB22_72
.LBB22_159:                             ;   in Loop: Header=BB22_57 Depth=1
	v_add_f32_e64 v4, 0x46000000, |v6|
	s_and_not1_b32 s12, s12, exec_lo
	s_mov_b32 s14, 0
	s_delay_alu instid0(VALU_DEP_1) | instskip(NEXT) | instid1(VALU_DEP_1)
	v_and_b32_e32 v7, 0xff, v4
	v_cmp_ne_u32_e32 vcc_lo, 0, v7
	s_and_b32 s15, vcc_lo, exec_lo
	s_delay_alu instid0(SALU_CYCLE_1)
	s_or_b32 s12, s12, s15
	s_or_b32 exec_lo, exec_lo, s13
	v_mov_b32_e32 v4, s14
	s_and_saveexec_b32 s13, s12
	s_cbranch_execnz .LBB22_73
	s_branch .LBB22_74
.LBB22_160:                             ;   in Loop: Header=BB22_57 Depth=1
	v_bfe_u32 v3, v5, 20, 1
	s_mov_b32 s12, exec_lo
	s_delay_alu instid0(VALU_DEP_1) | instskip(NEXT) | instid1(VALU_DEP_1)
	v_add3_u32 v3, v5, v3, 0x487ffff
	v_lshrrev_b32_e32 v6, 20, v3
	s_or_saveexec_b32 s13, s13
                                        ; implicit-def: $sgpr14
	s_delay_alu instid0(SALU_CYCLE_1)
	s_xor_b32 exec_lo, exec_lo, s13
	s_cbranch_execz .LBB22_78
.LBB22_161:                             ;   in Loop: Header=BB22_57 Depth=1
	v_add_f32_e64 v3, 0x46000000, |v5|
	s_and_not1_b32 s12, s12, exec_lo
	s_mov_b32 s14, 0
	s_delay_alu instid0(VALU_DEP_1) | instskip(NEXT) | instid1(VALU_DEP_1)
	v_and_b32_e32 v6, 0xff, v3
	v_cmp_ne_u32_e32 vcc_lo, 0, v6
	s_and_b32 s15, vcc_lo, exec_lo
	s_delay_alu instid0(SALU_CYCLE_1)
	s_or_b32 s12, s12, s15
	s_or_b32 exec_lo, exec_lo, s13
	v_mov_b32_e32 v3, s14
	s_and_saveexec_b32 s13, s12
	s_cbranch_execnz .LBB22_79
	s_branch .LBB22_80
.LBB22_162:                             ;   in Loop: Header=BB22_57 Depth=1
	v_bfe_u32 v6, v14, 20, 1
	s_mov_b32 s13, exec_lo
	s_delay_alu instid0(VALU_DEP_1) | instskip(NEXT) | instid1(VALU_DEP_1)
	v_add3_u32 v6, v14, v6, 0x487ffff
	v_lshrrev_b32_e32 v6, 20, v6
	s_or_saveexec_b32 s14, s14
                                        ; implicit-def: $sgpr15
	s_delay_alu instid0(SALU_CYCLE_1)
	s_xor_b32 exec_lo, exec_lo, s14
	s_cbranch_execz .LBB22_85
.LBB22_163:                             ;   in Loop: Header=BB22_57 Depth=1
	v_add_f32_e64 v6, 0x46000000, |v14|
	s_and_not1_b32 s13, s13, exec_lo
	s_mov_b32 s15, 0
	s_delay_alu instid0(VALU_DEP_1) | instskip(NEXT) | instid1(VALU_DEP_1)
	v_and_b32_e32 v6, 0xff, v6
	v_cmp_ne_u32_e32 vcc_lo, 0, v6
	s_and_b32 s16, vcc_lo, exec_lo
	s_delay_alu instid0(SALU_CYCLE_1)
	s_or_b32 s13, s13, s16
	s_or_b32 exec_lo, exec_lo, s14
	v_mov_b32_e32 v12, s15
	s_and_saveexec_b32 s14, s13
	s_cbranch_execnz .LBB22_86
	s_branch .LBB22_87
.LBB22_164:                             ;   in Loop: Header=BB22_57 Depth=1
	v_bfe_u32 v2, v3, 20, 1
	s_mov_b32 s13, exec_lo
	s_delay_alu instid0(VALU_DEP_1) | instskip(NEXT) | instid1(VALU_DEP_1)
	v_add3_u32 v2, v3, v2, 0x487ffff
	v_lshrrev_b32_e32 v6, 20, v2
	s_or_saveexec_b32 s14, s14
                                        ; implicit-def: $sgpr15
	s_delay_alu instid0(SALU_CYCLE_1)
	s_xor_b32 exec_lo, exec_lo, s14
	s_cbranch_execz .LBB22_91
.LBB22_165:                             ;   in Loop: Header=BB22_57 Depth=1
	v_add_f32_e64 v2, 0x46000000, |v3|
	s_and_not1_b32 s13, s13, exec_lo
	s_mov_b32 s15, 0
	s_delay_alu instid0(VALU_DEP_1) | instskip(NEXT) | instid1(VALU_DEP_1)
	v_and_b32_e32 v6, 0xff, v2
	v_cmp_ne_u32_e32 vcc_lo, 0, v6
	s_and_b32 s16, vcc_lo, exec_lo
	s_delay_alu instid0(SALU_CYCLE_1)
	s_or_b32 s13, s13, s16
	s_or_b32 exec_lo, exec_lo, s14
	v_mov_b32_e32 v2, s15
	s_and_saveexec_b32 s14, s13
	s_cbranch_execnz .LBB22_92
	s_branch .LBB22_93
.LBB22_166:                             ;   in Loop: Header=BB22_57 Depth=1
	v_bfe_u32 v4, v6, 20, 1
	s_mov_b32 s13, exec_lo
	s_delay_alu instid0(VALU_DEP_1) | instskip(NEXT) | instid1(VALU_DEP_1)
	v_add3_u32 v4, v6, v4, 0x487ffff
	v_lshrrev_b32_e32 v7, 20, v4
	s_or_saveexec_b32 s14, s14
                                        ; implicit-def: $sgpr15
	s_delay_alu instid0(SALU_CYCLE_1)
	s_xor_b32 exec_lo, exec_lo, s14
	s_cbranch_execz .LBB22_97
.LBB22_167:                             ;   in Loop: Header=BB22_57 Depth=1
	v_add_f32_e64 v4, 0x46000000, |v6|
	s_and_not1_b32 s13, s13, exec_lo
	s_mov_b32 s15, 0
	s_delay_alu instid0(VALU_DEP_1) | instskip(NEXT) | instid1(VALU_DEP_1)
	v_and_b32_e32 v7, 0xff, v4
	v_cmp_ne_u32_e32 vcc_lo, 0, v7
	s_and_b32 s16, vcc_lo, exec_lo
	s_delay_alu instid0(SALU_CYCLE_1)
	s_or_b32 s13, s13, s16
	s_or_b32 exec_lo, exec_lo, s14
	v_mov_b32_e32 v4, s15
	s_and_saveexec_b32 s14, s13
	s_cbranch_execnz .LBB22_98
	s_branch .LBB22_99
.LBB22_168:                             ;   in Loop: Header=BB22_57 Depth=1
	v_bfe_u32 v3, v5, 20, 1
	s_mov_b32 s13, exec_lo
	s_delay_alu instid0(VALU_DEP_1) | instskip(NEXT) | instid1(VALU_DEP_1)
	v_add3_u32 v3, v5, v3, 0x487ffff
	v_lshrrev_b32_e32 v6, 20, v3
	s_or_saveexec_b32 s14, s14
                                        ; implicit-def: $sgpr15
	s_delay_alu instid0(SALU_CYCLE_1)
	s_xor_b32 exec_lo, exec_lo, s14
	s_cbranch_execz .LBB22_103
.LBB22_169:                             ;   in Loop: Header=BB22_57 Depth=1
	v_add_f32_e64 v3, 0x46000000, |v5|
	s_and_not1_b32 s13, s13, exec_lo
	s_mov_b32 s15, 0
	s_delay_alu instid0(VALU_DEP_1) | instskip(NEXT) | instid1(VALU_DEP_1)
	v_and_b32_e32 v6, 0xff, v3
	v_cmp_ne_u32_e32 vcc_lo, 0, v6
	s_and_b32 s16, vcc_lo, exec_lo
	s_delay_alu instid0(SALU_CYCLE_1)
	s_or_b32 s13, s13, s16
	s_or_b32 exec_lo, exec_lo, s14
	v_mov_b32_e32 v3, s15
	s_and_saveexec_b32 s14, s13
	s_cbranch_execnz .LBB22_104
	s_branch .LBB22_105
.LBB22_170:                             ;   in Loop: Header=BB22_57 Depth=1
	v_bfe_u32 v6, v15, 20, 1
	s_mov_b32 s14, exec_lo
	s_delay_alu instid0(VALU_DEP_1) | instskip(NEXT) | instid1(VALU_DEP_1)
	v_add3_u32 v6, v15, v6, 0x487ffff
	v_lshrrev_b32_e32 v6, 20, v6
	s_or_saveexec_b32 s15, s15
                                        ; implicit-def: $sgpr16
	s_delay_alu instid0(SALU_CYCLE_1)
	s_xor_b32 exec_lo, exec_lo, s15
	s_cbranch_execz .LBB22_110
.LBB22_171:                             ;   in Loop: Header=BB22_57 Depth=1
	v_add_f32_e64 v6, 0x46000000, |v15|
	s_and_not1_b32 s14, s14, exec_lo
	s_mov_b32 s16, 0
	s_delay_alu instid0(VALU_DEP_1) | instskip(NEXT) | instid1(VALU_DEP_1)
	v_and_b32_e32 v6, 0xff, v6
	v_cmp_ne_u32_e32 vcc_lo, 0, v6
	s_and_b32 s17, vcc_lo, exec_lo
	s_delay_alu instid0(SALU_CYCLE_1)
	s_or_b32 s14, s14, s17
	s_or_b32 exec_lo, exec_lo, s15
	v_mov_b32_e32 v13, s16
	s_and_saveexec_b32 s15, s14
	s_cbranch_execnz .LBB22_111
	s_branch .LBB22_112
.LBB22_172:                             ;   in Loop: Header=BB22_57 Depth=1
	v_bfe_u32 v2, v3, 20, 1
	s_mov_b32 s14, exec_lo
	s_delay_alu instid0(VALU_DEP_1) | instskip(NEXT) | instid1(VALU_DEP_1)
	v_add3_u32 v2, v3, v2, 0x487ffff
	v_lshrrev_b32_e32 v6, 20, v2
	s_or_saveexec_b32 s15, s15
                                        ; implicit-def: $sgpr16
	s_delay_alu instid0(SALU_CYCLE_1)
	s_xor_b32 exec_lo, exec_lo, s15
	s_cbranch_execz .LBB22_116
.LBB22_173:                             ;   in Loop: Header=BB22_57 Depth=1
	v_add_f32_e64 v2, 0x46000000, |v3|
	s_and_not1_b32 s14, s14, exec_lo
	s_mov_b32 s16, 0
	s_delay_alu instid0(VALU_DEP_1) | instskip(NEXT) | instid1(VALU_DEP_1)
	v_and_b32_e32 v6, 0xff, v2
	v_cmp_ne_u32_e32 vcc_lo, 0, v6
	s_and_b32 s17, vcc_lo, exec_lo
	s_delay_alu instid0(SALU_CYCLE_1)
	s_or_b32 s14, s14, s17
	s_or_b32 exec_lo, exec_lo, s15
	v_mov_b32_e32 v2, s16
	s_and_saveexec_b32 s15, s14
	s_cbranch_execnz .LBB22_117
	s_branch .LBB22_118
.LBB22_174:                             ;   in Loop: Header=BB22_57 Depth=1
	v_bfe_u32 v4, v6, 20, 1
	s_mov_b32 s14, exec_lo
	s_delay_alu instid0(VALU_DEP_1) | instskip(NEXT) | instid1(VALU_DEP_1)
	v_add3_u32 v4, v6, v4, 0x487ffff
	v_lshrrev_b32_e32 v7, 20, v4
	s_or_saveexec_b32 s15, s15
                                        ; implicit-def: $sgpr16
	s_delay_alu instid0(SALU_CYCLE_1)
	s_xor_b32 exec_lo, exec_lo, s15
	s_cbranch_execz .LBB22_122
.LBB22_175:                             ;   in Loop: Header=BB22_57 Depth=1
	v_add_f32_e64 v4, 0x46000000, |v6|
	s_and_not1_b32 s14, s14, exec_lo
	s_mov_b32 s16, 0
	s_delay_alu instid0(VALU_DEP_1) | instskip(NEXT) | instid1(VALU_DEP_1)
	v_and_b32_e32 v7, 0xff, v4
	v_cmp_ne_u32_e32 vcc_lo, 0, v7
	s_and_b32 s17, vcc_lo, exec_lo
	s_delay_alu instid0(SALU_CYCLE_1)
	s_or_b32 s14, s14, s17
	s_or_b32 exec_lo, exec_lo, s15
	v_mov_b32_e32 v4, s16
	s_and_saveexec_b32 s15, s14
	s_cbranch_execnz .LBB22_123
	s_branch .LBB22_124
.LBB22_176:                             ;   in Loop: Header=BB22_57 Depth=1
	v_bfe_u32 v3, v5, 20, 1
	s_mov_b32 s14, exec_lo
	s_delay_alu instid0(VALU_DEP_1) | instskip(NEXT) | instid1(VALU_DEP_1)
	v_add3_u32 v3, v5, v3, 0x487ffff
	v_lshrrev_b32_e32 v6, 20, v3
	s_or_saveexec_b32 s15, s15
                                        ; implicit-def: $sgpr16
	s_delay_alu instid0(SALU_CYCLE_1)
	s_xor_b32 exec_lo, exec_lo, s15
	s_cbranch_execz .LBB22_128
.LBB22_177:                             ;   in Loop: Header=BB22_57 Depth=1
	v_add_f32_e64 v3, 0x46000000, |v5|
	s_and_not1_b32 s14, s14, exec_lo
	s_mov_b32 s16, 0
	s_delay_alu instid0(VALU_DEP_1) | instskip(NEXT) | instid1(VALU_DEP_1)
	v_and_b32_e32 v6, 0xff, v3
	v_cmp_ne_u32_e32 vcc_lo, 0, v6
	s_and_b32 s17, vcc_lo, exec_lo
	s_delay_alu instid0(SALU_CYCLE_1)
	s_or_b32 s14, s14, s17
	s_or_b32 exec_lo, exec_lo, s15
	v_mov_b32_e32 v3, s16
	s_and_saveexec_b32 s15, s14
	s_cbranch_execnz .LBB22_129
	s_branch .LBB22_130
.LBB22_178:                             ;   in Loop: Header=BB22_57 Depth=1
	v_bfe_u32 v2, v13, 20, 1
	s_mov_b32 s15, exec_lo
	s_delay_alu instid0(VALU_DEP_1) | instskip(NEXT) | instid1(VALU_DEP_1)
	v_add3_u32 v2, v13, v2, 0x487ffff
	v_lshrrev_b32_e32 v6, 20, v2
	s_or_saveexec_b32 s16, s16
                                        ; implicit-def: $sgpr17
	s_delay_alu instid0(SALU_CYCLE_1)
	s_xor_b32 exec_lo, exec_lo, s16
	s_cbranch_execz .LBB22_135
.LBB22_179:                             ;   in Loop: Header=BB22_57 Depth=1
	v_add_f32_e64 v2, 0x46000000, |v13|
	s_and_not1_b32 s15, s15, exec_lo
	s_mov_b32 s17, 0
	s_delay_alu instid0(VALU_DEP_1) | instskip(NEXT) | instid1(VALU_DEP_1)
	v_and_b32_e32 v6, 0xff, v2
	v_cmp_ne_u32_e32 vcc_lo, 0, v6
	s_and_b32 s18, vcc_lo, exec_lo
	s_delay_alu instid0(SALU_CYCLE_1)
	s_or_b32 s15, s15, s18
	s_or_b32 exec_lo, exec_lo, s16
	v_mov_b32_e32 v2, s17
	s_and_saveexec_b32 s16, s15
	s_cbranch_execnz .LBB22_136
	s_branch .LBB22_137
.LBB22_180:                             ;   in Loop: Header=BB22_57 Depth=1
	v_bfe_u32 v6, v3, 20, 1
	s_mov_b32 s15, exec_lo
	s_delay_alu instid0(VALU_DEP_1) | instskip(NEXT) | instid1(VALU_DEP_1)
	v_add3_u32 v6, v3, v6, 0x487ffff
	v_lshrrev_b32_e32 v6, 20, v6
	s_or_saveexec_b32 s16, s16
                                        ; implicit-def: $sgpr17
	s_delay_alu instid0(SALU_CYCLE_1)
	s_xor_b32 exec_lo, exec_lo, s16
	s_cbranch_execz .LBB22_141
.LBB22_181:                             ;   in Loop: Header=BB22_57 Depth=1
	v_add_f32_e64 v6, 0x46000000, |v3|
	s_and_not1_b32 s15, s15, exec_lo
	s_mov_b32 s17, 0
	s_delay_alu instid0(VALU_DEP_1) | instskip(NEXT) | instid1(VALU_DEP_1)
	v_and_b32_e32 v6, 0xff, v6
	v_cmp_ne_u32_e32 vcc_lo, 0, v6
	s_and_b32 s18, vcc_lo, exec_lo
	s_delay_alu instid0(SALU_CYCLE_1)
	s_or_b32 s15, s15, s18
	s_or_b32 exec_lo, exec_lo, s16
	v_mov_b32_e32 v11, s17
	s_and_saveexec_b32 s16, s15
	s_cbranch_execnz .LBB22_142
	s_branch .LBB22_143
.LBB22_182:                             ;   in Loop: Header=BB22_57 Depth=1
	v_bfe_u32 v4, v6, 20, 1
	s_mov_b32 s15, exec_lo
	s_delay_alu instid0(VALU_DEP_1) | instskip(NEXT) | instid1(VALU_DEP_1)
	v_add3_u32 v4, v6, v4, 0x487ffff
	v_lshrrev_b32_e32 v7, 20, v4
	s_or_saveexec_b32 s16, s16
                                        ; implicit-def: $sgpr17
	s_delay_alu instid0(SALU_CYCLE_1)
	s_xor_b32 exec_lo, exec_lo, s16
	s_cbranch_execz .LBB22_147
.LBB22_183:                             ;   in Loop: Header=BB22_57 Depth=1
	v_add_f32_e64 v4, 0x46000000, |v6|
	s_and_not1_b32 s15, s15, exec_lo
	s_mov_b32 s17, 0
	s_delay_alu instid0(VALU_DEP_1) | instskip(NEXT) | instid1(VALU_DEP_1)
	v_and_b32_e32 v7, 0xff, v4
	v_cmp_ne_u32_e32 vcc_lo, 0, v7
	s_and_b32 s18, vcc_lo, exec_lo
	s_delay_alu instid0(SALU_CYCLE_1)
	s_or_b32 s15, s15, s18
	s_or_b32 exec_lo, exec_lo, s16
	v_mov_b32_e32 v4, s17
	s_and_saveexec_b32 s16, s15
	s_cbranch_execnz .LBB22_148
	s_branch .LBB22_149
.LBB22_184:                             ;   in Loop: Header=BB22_57 Depth=1
	v_bfe_u32 v3, v5, 20, 1
	s_mov_b32 s15, exec_lo
	s_delay_alu instid0(VALU_DEP_1) | instskip(NEXT) | instid1(VALU_DEP_1)
	v_add3_u32 v3, v5, v3, 0x487ffff
	v_lshrrev_b32_e32 v6, 20, v3
	s_or_saveexec_b32 s16, s16
                                        ; implicit-def: $sgpr17
	s_delay_alu instid0(SALU_CYCLE_1)
	s_xor_b32 exec_lo, exec_lo, s16
	s_cbranch_execz .LBB22_153
.LBB22_185:                             ;   in Loop: Header=BB22_57 Depth=1
	v_add_f32_e64 v3, 0x46000000, |v5|
	s_and_not1_b32 s15, s15, exec_lo
	s_mov_b32 s17, 0
	s_delay_alu instid0(VALU_DEP_1) | instskip(NEXT) | instid1(VALU_DEP_1)
	v_and_b32_e32 v6, 0xff, v3
	v_cmp_ne_u32_e32 vcc_lo, 0, v6
	s_and_b32 s18, vcc_lo, exec_lo
	s_delay_alu instid0(SALU_CYCLE_1)
	s_or_b32 s15, s15, s18
	s_or_b32 exec_lo, exec_lo, s16
	v_mov_b32_e32 v3, s17
	s_and_saveexec_b32 s16, s15
	s_cbranch_execz .LBB22_52
.LBB22_186:                             ;   in Loop: Header=BB22_57 Depth=1
	v_lshrrev_b32_e32 v3, 24, v5
	s_delay_alu instid0(VALU_DEP_1)
	v_and_or_b32 v3, 0x80, v3, v6
	s_branch .LBB22_52
.LBB22_187:
	s_nop 0
	s_sendmsg sendmsg(MSG_DEALLOC_VGPRS)
	s_endpgm
	.section	.rodata,"a",@progbits
	.p2align	6, 0x0
	.amdhsa_kernel _ZN4vllm31rms_norm_per_block_quant_kernelIfN3c1015Float8_e4m3fnuzELb1ELb0ELi128EEEvPT0_PfPKT_S8_PKffiiPS6_l
		.amdhsa_group_segment_fixed_size 4228
		.amdhsa_private_segment_fixed_size 0
		.amdhsa_kernarg_size 328
		.amdhsa_user_sgpr_count 15
		.amdhsa_user_sgpr_dispatch_ptr 0
		.amdhsa_user_sgpr_queue_ptr 0
		.amdhsa_user_sgpr_kernarg_segment_ptr 1
		.amdhsa_user_sgpr_dispatch_id 0
		.amdhsa_user_sgpr_private_segment_size 0
		.amdhsa_wavefront_size32 1
		.amdhsa_uses_dynamic_stack 0
		.amdhsa_enable_private_segment 0
		.amdhsa_system_sgpr_workgroup_id_x 1
		.amdhsa_system_sgpr_workgroup_id_y 0
		.amdhsa_system_sgpr_workgroup_id_z 0
		.amdhsa_system_sgpr_workgroup_info 0
		.amdhsa_system_vgpr_workitem_id 0
		.amdhsa_next_free_vgpr 37
		.amdhsa_next_free_sgpr 40
		.amdhsa_reserve_vcc 1
		.amdhsa_float_round_mode_32 0
		.amdhsa_float_round_mode_16_64 0
		.amdhsa_float_denorm_mode_32 3
		.amdhsa_float_denorm_mode_16_64 3
		.amdhsa_dx10_clamp 1
		.amdhsa_ieee_mode 1
		.amdhsa_fp16_overflow 0
		.amdhsa_workgroup_processor_mode 1
		.amdhsa_memory_ordered 1
		.amdhsa_forward_progress 0
		.amdhsa_shared_vgpr_count 0
		.amdhsa_exception_fp_ieee_invalid_op 0
		.amdhsa_exception_fp_denorm_src 0
		.amdhsa_exception_fp_ieee_div_zero 0
		.amdhsa_exception_fp_ieee_overflow 0
		.amdhsa_exception_fp_ieee_underflow 0
		.amdhsa_exception_fp_ieee_inexact 0
		.amdhsa_exception_int_div_zero 0
	.end_amdhsa_kernel
	.section	.text._ZN4vllm31rms_norm_per_block_quant_kernelIfN3c1015Float8_e4m3fnuzELb1ELb0ELi128EEEvPT0_PfPKT_S8_PKffiiPS6_l,"axG",@progbits,_ZN4vllm31rms_norm_per_block_quant_kernelIfN3c1015Float8_e4m3fnuzELb1ELb0ELi128EEEvPT0_PfPKT_S8_PKffiiPS6_l,comdat
.Lfunc_end22:
	.size	_ZN4vllm31rms_norm_per_block_quant_kernelIfN3c1015Float8_e4m3fnuzELb1ELb0ELi128EEEvPT0_PfPKT_S8_PKffiiPS6_l, .Lfunc_end22-_ZN4vllm31rms_norm_per_block_quant_kernelIfN3c1015Float8_e4m3fnuzELb1ELb0ELi128EEEvPT0_PfPKT_S8_PKffiiPS6_l
                                        ; -- End function
	.section	.AMDGPU.csdata,"",@progbits
; Kernel info:
; codeLenInByte = 11056
; NumSgprs: 42
; NumVgprs: 37
; ScratchSize: 0
; MemoryBound: 0
; FloatMode: 240
; IeeeMode: 1
; LDSByteSize: 4228 bytes/workgroup (compile time only)
; SGPRBlocks: 5
; VGPRBlocks: 4
; NumSGPRsForWavesPerEU: 42
; NumVGPRsForWavesPerEU: 37
; Occupancy: 16
; WaveLimiterHint : 0
; COMPUTE_PGM_RSRC2:SCRATCH_EN: 0
; COMPUTE_PGM_RSRC2:USER_SGPR: 15
; COMPUTE_PGM_RSRC2:TRAP_HANDLER: 0
; COMPUTE_PGM_RSRC2:TGID_X_EN: 1
; COMPUTE_PGM_RSRC2:TGID_Y_EN: 0
; COMPUTE_PGM_RSRC2:TGID_Z_EN: 0
; COMPUTE_PGM_RSRC2:TIDIG_COMP_CNT: 0
	.section	.text._ZN4vllm31rms_norm_per_block_quant_kernelIfaLb1ELb0ELi128EEEvPT0_PfPKT_S6_PKffiiPS4_l,"axG",@progbits,_ZN4vllm31rms_norm_per_block_quant_kernelIfaLb1ELb0ELi128EEEvPT0_PfPKT_S6_PKffiiPS4_l,comdat
	.protected	_ZN4vllm31rms_norm_per_block_quant_kernelIfaLb1ELb0ELi128EEEvPT0_PfPKT_S6_PKffiiPS4_l ; -- Begin function _ZN4vllm31rms_norm_per_block_quant_kernelIfaLb1ELb0ELi128EEEvPT0_PfPKT_S6_PKffiiPS4_l
	.globl	_ZN4vllm31rms_norm_per_block_quant_kernelIfaLb1ELb0ELi128EEEvPT0_PfPKT_S6_PKffiiPS4_l
	.p2align	8
	.type	_ZN4vllm31rms_norm_per_block_quant_kernelIfaLb1ELb0ELi128EEEvPT0_PfPKT_S6_PKffiiPS4_l,@function
_ZN4vllm31rms_norm_per_block_quant_kernelIfaLb1ELb0ELi128EEEvPT0_PfPKT_S6_PKffiiPS4_l: ; @_ZN4vllm31rms_norm_per_block_quant_kernelIfaLb1ELb0ELi128EEEvPT0_PfPKT_S6_PKffiiPS4_l
; %bb.0:
	s_clause 0x2
	s_load_b128 s[16:19], s[0:1], 0x28
	s_load_b256 s[4:11], s[0:1], 0x0
	s_load_b64 s[2:3], s[0:1], 0x38
	v_mov_b32_e32 v6, 0
	s_waitcnt lgkmcnt(0)
	s_ashr_i32 s12, s18, 31
	s_mul_hi_u32 s13, s18, s15
	s_mul_i32 s20, s18, s15
	s_mul_i32 s18, s12, s15
	s_ashr_i32 s19, s17, 31
	s_add_i32 s21, s13, s18
	s_mul_hi_u32 s14, s17, s15
	s_mul_i32 s13, s19, s15
	s_lshl_b64 s[20:21], s[20:21], 2
	s_mul_i32 s12, s17, s15
	s_add_i32 s13, s14, s13
	s_add_u32 s28, s8, s20
	s_addc_u32 s29, s9, s21
	s_lshl_b64 s[8:9], s[12:13], 2
	s_mov_b32 s18, s17
	s_add_u32 s30, s2, s8
	s_addc_u32 s31, s3, s9
	s_ashr_i32 s8, s17, 2
	s_add_u32 s20, s0, 0x48
	v_cmp_gt_u32_e64 s2, s8, v0
	s_mov_b32 s3, 0
	s_addc_u32 s21, s1, 0
	s_delay_alu instid0(VALU_DEP_1)
	s_and_saveexec_b32 s9, s2
	s_cbranch_execz .LBB23_10
; %bb.1:
	s_load_b32 s14, s[20:21], 0x0
	v_dual_mov_b32 v2, 0 :: v_dual_mov_b32 v1, v0
	s_waitcnt lgkmcnt(0)
	s_cmp_lt_u32 s15, s14
	s_cselect_b32 s14, 12, 18
	s_delay_alu instid0(SALU_CYCLE_1)
	s_add_u32 s22, s20, s14
	s_addc_u32 s23, s21, 0
                                        ; implicit-def: $sgpr14
	global_load_u16 v7, v2, s[22:23]
	s_waitcnt vmcnt(0)
	v_lshlrev_b32_e32 v9, 1, v7
	v_mul_lo_u32 v8, v7, 3
	v_add_nc_u32_e32 v10, v7, v7
	v_mov_b32_e32 v6, v2
	s_branch .LBB23_5
.LBB23_2:                               ;   in Loop: Header=BB23_5 Depth=1
	s_or_b32 exec_lo, exec_lo, s23
	s_delay_alu instid0(SALU_CYCLE_1)
	s_or_not1_b32 s23, s24, exec_lo
.LBB23_3:                               ;   in Loop: Header=BB23_5 Depth=1
	s_or_b32 exec_lo, exec_lo, s22
	s_delay_alu instid0(SALU_CYCLE_1) | instskip(SKIP_1) | instid1(SALU_CYCLE_1)
	s_and_not1_b32 s14, s14, exec_lo
	s_and_b32 s22, s23, exec_lo
	s_or_b32 s14, s14, s22
.LBB23_4:                               ;   in Loop: Header=BB23_5 Depth=1
	s_or_b32 exec_lo, exec_lo, s17
	s_delay_alu instid0(SALU_CYCLE_1) | instskip(NEXT) | instid1(SALU_CYCLE_1)
	s_and_b32 s17, exec_lo, s14
	s_or_b32 s3, s17, s3
	s_delay_alu instid0(SALU_CYCLE_1)
	s_and_not1_b32 exec_lo, exec_lo, s3
	s_cbranch_execz .LBB23_9
.LBB23_5:                               ; =>This Inner Loop Header: Depth=1
	v_lshlrev_b64 v[3:4], 4, v[1:2]
	s_or_b32 s14, s14, exec_lo
	s_mov_b32 s17, exec_lo
	s_delay_alu instid0(VALU_DEP_1) | instskip(NEXT) | instid1(VALU_DEP_2)
	v_add_co_u32 v11, vcc_lo, s28, v3
	v_add_co_ci_u32_e32 v12, vcc_lo, s29, v4, vcc_lo
	v_add_co_u32 v3, vcc_lo, s30, v3
	v_add_co_ci_u32_e32 v4, vcc_lo, s31, v4, vcc_lo
	global_load_b128 v[11:14], v[11:12], off
	global_load_b128 v[15:18], v[3:4], off
	s_waitcnt vmcnt(0)
	v_dual_add_f32 v3, v11, v15 :: v_dual_add_f32 v4, v12, v16
	s_delay_alu instid0(VALU_DEP_1) | instskip(NEXT) | instid1(VALU_DEP_1)
	v_dual_fmac_f32 v6, v3, v3 :: v_dual_add_f32 v3, v13, v17
	v_fmac_f32_e32 v6, v4, v4
	v_add_f32_e32 v4, v14, v18
	s_delay_alu instid0(VALU_DEP_2) | instskip(NEXT) | instid1(VALU_DEP_1)
	v_fmac_f32_e32 v6, v3, v3
	v_dual_fmac_f32 v6, v4, v4 :: v_dual_add_nc_u32 v3, v1, v7
	s_delay_alu instid0(VALU_DEP_1)
	v_cmpx_gt_u32_e64 s8, v3
	s_cbranch_execz .LBB23_4
; %bb.6:                                ;   in Loop: Header=BB23_5 Depth=1
	v_mov_b32_e32 v4, v2
	s_mov_b32 s23, -1
	s_mov_b32 s22, exec_lo
	s_delay_alu instid0(VALU_DEP_1) | instskip(NEXT) | instid1(VALU_DEP_1)
	v_lshlrev_b64 v[4:5], 4, v[3:4]
	v_add_co_u32 v11, vcc_lo, s28, v4
	s_delay_alu instid0(VALU_DEP_2)
	v_add_co_ci_u32_e32 v12, vcc_lo, s29, v5, vcc_lo
	v_add_co_u32 v4, vcc_lo, s30, v4
	v_add_co_ci_u32_e32 v5, vcc_lo, s31, v5, vcc_lo
	global_load_b128 v[11:14], v[11:12], off
	global_load_b128 v[15:18], v[4:5], off
	s_waitcnt vmcnt(0)
	v_dual_add_f32 v5, v12, v16 :: v_dual_add_f32 v4, v11, v15
	s_delay_alu instid0(VALU_DEP_1) | instskip(SKIP_1) | instid1(VALU_DEP_2)
	v_fmac_f32_e32 v6, v4, v4
	v_add_f32_e32 v4, v13, v17
	v_dual_fmac_f32 v6, v5, v5 :: v_dual_add_f32 v5, v14, v18
	s_delay_alu instid0(VALU_DEP_1) | instskip(SKIP_1) | instid1(VALU_DEP_2)
	v_fmac_f32_e32 v6, v4, v4
	v_add_nc_u32_e32 v4, v9, v1
	v_fmac_f32_e32 v6, v5, v5
	s_delay_alu instid0(VALU_DEP_2)
	v_cmpx_gt_u32_e64 s8, v4
	s_cbranch_execz .LBB23_3
; %bb.7:                                ;   in Loop: Header=BB23_5 Depth=1
	v_mov_b32_e32 v5, v2
	v_add_nc_u32_e32 v1, v8, v1
	s_mov_b32 s24, -1
	s_mov_b32 s23, exec_lo
	s_delay_alu instid0(VALU_DEP_2) | instskip(NEXT) | instid1(VALU_DEP_1)
	v_lshlrev_b64 v[4:5], 4, v[4:5]
	v_add_co_u32 v11, vcc_lo, s28, v4
	s_delay_alu instid0(VALU_DEP_2)
	v_add_co_ci_u32_e32 v12, vcc_lo, s29, v5, vcc_lo
	v_add_co_u32 v4, vcc_lo, s30, v4
	v_add_co_ci_u32_e32 v5, vcc_lo, s31, v5, vcc_lo
	global_load_b128 v[11:14], v[11:12], off
	global_load_b128 v[15:18], v[4:5], off
	s_waitcnt vmcnt(0)
	v_dual_add_f32 v4, v11, v15 :: v_dual_add_f32 v5, v12, v16
	s_delay_alu instid0(VALU_DEP_1) | instskip(SKIP_1) | instid1(VALU_DEP_2)
	v_fmac_f32_e32 v6, v4, v4
	v_add_f32_e32 v4, v13, v17
	v_dual_fmac_f32 v6, v5, v5 :: v_dual_add_f32 v5, v14, v18
	s_delay_alu instid0(VALU_DEP_1) | instskip(NEXT) | instid1(VALU_DEP_1)
	v_fmac_f32_e32 v6, v4, v4
	v_fmac_f32_e32 v6, v5, v5
	v_cmpx_gt_u32_e64 s8, v1
	s_xor_b32 s23, exec_lo, s23
	s_cbranch_execz .LBB23_2
; %bb.8:                                ;   in Loop: Header=BB23_5 Depth=1
	v_lshlrev_b64 v[4:5], 4, v[1:2]
	s_delay_alu instid0(VALU_DEP_1) | instskip(NEXT) | instid1(VALU_DEP_2)
	v_add_co_u32 v11, vcc_lo, s28, v4
	v_add_co_ci_u32_e32 v12, vcc_lo, s29, v5, vcc_lo
	v_add_co_u32 v4, vcc_lo, s30, v4
	v_add_co_ci_u32_e32 v5, vcc_lo, s31, v5, vcc_lo
	global_load_b128 v[11:14], v[11:12], off
	global_load_b128 v[15:18], v[4:5], off
	s_waitcnt vmcnt(0)
	v_dual_add_f32 v1, v11, v15 :: v_dual_add_f32 v4, v12, v16
	s_delay_alu instid0(VALU_DEP_1) | instskip(SKIP_2) | instid1(VALU_DEP_3)
	v_fmac_f32_e32 v6, v1, v1
	v_add3_u32 v1, v10, v7, v3
	v_add_f32_e32 v3, v14, v18
	v_dual_add_f32 v5, v13, v17 :: v_dual_fmac_f32 v6, v4, v4
	s_delay_alu instid0(VALU_DEP_3) | instskip(NEXT) | instid1(VALU_DEP_2)
	v_cmp_le_u32_e32 vcc_lo, s8, v1
	v_fmac_f32_e32 v6, v5, v5
	s_or_not1_b32 s24, vcc_lo, exec_lo
	s_delay_alu instid0(VALU_DEP_1)
	v_fmac_f32_e32 v6, v3, v3
	s_branch .LBB23_2
.LBB23_9:
	s_or_b32 exec_lo, exec_lo, s3
.LBB23_10:
	s_delay_alu instid0(SALU_CYCLE_1) | instskip(SKIP_3) | instid1(VALU_DEP_2)
	s_or_b32 exec_lo, exec_lo, s9
	v_mbcnt_lo_u32_b32 v1, -1, 0
	s_load_b32 s3, s[20:21], 0xc
	v_and_b32_e32 v7, 0x3e0, v0
	v_cmp_ne_u32_e32 vcc_lo, 31, v1
	v_add_nc_u32_e32 v3, 1, v1
	v_add_co_ci_u32_e32 v2, vcc_lo, 0, v1, vcc_lo
	v_cmp_gt_u32_e32 vcc_lo, 30, v1
	s_delay_alu instid0(VALU_DEP_2)
	v_lshlrev_b32_e32 v2, 2, v2
	v_cndmask_b32_e64 v5, 0, 1, vcc_lo
	ds_bpermute_b32 v4, v2, v6
	s_waitcnt lgkmcnt(0)
	s_and_b32 s33, s3, 0xffff
	v_lshlrev_b32_e32 v5, 1, v5
	v_sub_nc_u32_e64 v12, s33, v7 clamp
	s_mov_b32 s3, exec_lo
	s_delay_alu instid0(VALU_DEP_1) | instskip(SKIP_2) | instid1(VALU_DEP_2)
	v_cmp_lt_u32_e32 vcc_lo, v3, v12
	v_add_f32_e32 v7, v6, v4
	v_add_lshl_u32 v4, v5, v1, 2
	v_cndmask_b32_e32 v7, v6, v7, vcc_lo
	v_cmp_gt_u32_e32 vcc_lo, 28, v1
	v_cndmask_b32_e64 v5, 0, 1, vcc_lo
	s_delay_alu instid0(VALU_DEP_1) | instskip(SKIP_2) | instid1(VALU_DEP_1)
	v_lshlrev_b32_e32 v8, 2, v5
	ds_bpermute_b32 v6, v4, v7
	v_add_nc_u32_e32 v5, 2, v1
	v_cmp_lt_u32_e32 vcc_lo, v5, v12
	s_waitcnt lgkmcnt(0)
	v_add_f32_e32 v9, v7, v6
	v_add_lshl_u32 v6, v8, v1, 2
	s_delay_alu instid0(VALU_DEP_2) | instskip(SKIP_3) | instid1(VALU_DEP_1)
	v_cndmask_b32_e32 v9, v7, v9, vcc_lo
	v_cmp_gt_u32_e32 vcc_lo, 24, v1
	ds_bpermute_b32 v8, v6, v9
	v_cndmask_b32_e64 v7, 0, 1, vcc_lo
	v_lshlrev_b32_e32 v10, 3, v7
	v_add_nc_u32_e32 v7, 4, v1
	s_delay_alu instid0(VALU_DEP_1) | instskip(SKIP_3) | instid1(VALU_DEP_2)
	v_cmp_lt_u32_e32 vcc_lo, v7, v12
	s_waitcnt lgkmcnt(0)
	v_add_f32_e32 v11, v9, v8
	v_add_lshl_u32 v8, v10, v1, 2
	v_cndmask_b32_e32 v11, v9, v11, vcc_lo
	v_cmp_gt_u32_e32 vcc_lo, 16, v1
	ds_bpermute_b32 v10, v8, v11
	v_cndmask_b32_e64 v9, 0, 1, vcc_lo
	s_delay_alu instid0(VALU_DEP_1) | instskip(SKIP_1) | instid1(VALU_DEP_1)
	v_lshlrev_b32_e32 v13, 4, v9
	v_add_nc_u32_e32 v9, 8, v1
	v_cmp_lt_u32_e32 vcc_lo, v9, v12
	s_waitcnt lgkmcnt(0)
	v_add_f32_e32 v14, v11, v10
	v_add_lshl_u32 v10, v13, v1, 2
	s_delay_alu instid0(VALU_DEP_2)
	v_cndmask_b32_e32 v13, v11, v14, vcc_lo
	v_add_nc_u32_e32 v11, 16, v1
	ds_bpermute_b32 v14, v10, v13
	v_cmp_lt_u32_e32 vcc_lo, v11, v12
	s_waitcnt lgkmcnt(0)
	v_add_f32_e32 v14, v13, v14
	s_delay_alu instid0(VALU_DEP_1)
	v_cndmask_b32_e32 v12, v13, v14, vcc_lo
	v_cmpx_eq_u32_e32 0, v1
	s_cbranch_execz .LBB23_12
; %bb.11:
	v_lshrrev_b32_e32 v13, 3, v0
	s_delay_alu instid0(VALU_DEP_1)
	v_and_b32_e32 v13, 0x7c, v13
	ds_store_b32 v13, v12 offset:4096
.LBB23_12:
	s_or_b32 exec_lo, exec_lo, s3
	s_delay_alu instid0(SALU_CYCLE_1)
	s_mov_b32 s3, exec_lo
	s_waitcnt lgkmcnt(0)
	s_barrier
	buffer_gl0_inv
	v_cmpx_gt_u32_e32 32, v0
	s_cbranch_execz .LBB23_14
; %bb.13:
	v_lshlrev_b32_e32 v1, 2, v1
	s_add_i32 s9, s33, 31
	s_delay_alu instid0(SALU_CYCLE_1) | instskip(NEXT) | instid1(SALU_CYCLE_1)
	s_lshr_b32 s9, s9, 5
	v_cmp_gt_u32_e32 vcc_lo, s9, v3
	ds_load_b32 v1, v1 offset:4096
	s_waitcnt lgkmcnt(0)
	ds_bpermute_b32 v2, v2, v1
	s_waitcnt lgkmcnt(0)
	v_add_f32_e32 v2, v1, v2
	s_delay_alu instid0(VALU_DEP_1) | instskip(SKIP_4) | instid1(VALU_DEP_1)
	v_cndmask_b32_e32 v1, v1, v2, vcc_lo
	v_cmp_gt_u32_e32 vcc_lo, s9, v5
	ds_bpermute_b32 v2, v4, v1
	s_waitcnt lgkmcnt(0)
	v_add_f32_e32 v2, v1, v2
	v_cndmask_b32_e32 v1, v1, v2, vcc_lo
	v_cmp_gt_u32_e32 vcc_lo, s9, v7
	ds_bpermute_b32 v2, v6, v1
	s_waitcnt lgkmcnt(0)
	v_add_f32_e32 v2, v1, v2
	s_delay_alu instid0(VALU_DEP_1) | instskip(SKIP_4) | instid1(VALU_DEP_1)
	v_cndmask_b32_e32 v1, v1, v2, vcc_lo
	v_cmp_gt_u32_e32 vcc_lo, s9, v9
	ds_bpermute_b32 v2, v8, v1
	s_waitcnt lgkmcnt(0)
	v_add_f32_e32 v2, v1, v2
	v_cndmask_b32_e32 v1, v1, v2, vcc_lo
	v_cmp_gt_u32_e32 vcc_lo, s9, v11
	ds_bpermute_b32 v2, v10, v1
	s_waitcnt lgkmcnt(0)
	v_add_f32_e32 v2, v1, v2
	s_delay_alu instid0(VALU_DEP_1)
	v_cndmask_b32_e32 v12, v1, v2, vcc_lo
.LBB23_14:
	s_or_b32 exec_lo, exec_lo, s3
	s_delay_alu instid0(SALU_CYCLE_1)
	s_mov_b32 s3, exec_lo
	v_cmpx_eq_u32_e32 0, v0
	s_cbranch_execz .LBB23_16
; %bb.15:
	v_cvt_f32_i32_e32 v1, s18
	s_delay_alu instid0(VALU_DEP_1) | instskip(SKIP_1) | instid1(VALU_DEP_2)
	v_div_scale_f32 v2, null, v1, v1, v12
	v_div_scale_f32 v5, vcc_lo, v12, v1, v12
	v_rcp_f32_e32 v3, v2
	s_waitcnt_depctr 0xfff
	v_fma_f32 v4, -v2, v3, 1.0
	s_delay_alu instid0(VALU_DEP_1) | instskip(NEXT) | instid1(VALU_DEP_1)
	v_fmac_f32_e32 v3, v4, v3
	v_mul_f32_e32 v4, v5, v3
	s_delay_alu instid0(VALU_DEP_1) | instskip(NEXT) | instid1(VALU_DEP_1)
	v_fma_f32 v6, -v2, v4, v5
	v_fmac_f32_e32 v4, v6, v3
	s_delay_alu instid0(VALU_DEP_1) | instskip(NEXT) | instid1(VALU_DEP_1)
	v_fma_f32 v2, -v2, v4, v5
	v_div_fmas_f32 v2, v2, v3, v4
	s_delay_alu instid0(VALU_DEP_1) | instskip(NEXT) | instid1(VALU_DEP_1)
	v_div_fixup_f32 v1, v2, v1, v12
	v_add_f32_e32 v1, s16, v1
	s_delay_alu instid0(VALU_DEP_1) | instskip(SKIP_1) | instid1(VALU_DEP_2)
	v_mul_f32_e32 v2, 0x4b800000, v1
	v_cmp_gt_f32_e32 vcc_lo, 0x800000, v1
	v_cndmask_b32_e32 v1, v1, v2, vcc_lo
	s_delay_alu instid0(VALU_DEP_1) | instskip(SKIP_2) | instid1(VALU_DEP_1)
	v_rsq_f32_e32 v1, v1
	s_waitcnt_depctr 0xfff
	v_mul_f32_e32 v2, 0x45800000, v1
	v_dual_cndmask_b32 v1, v1, v2 :: v_dual_mov_b32 v2, 0
	ds_store_b32 v2, v1 offset:4224
.LBB23_16:
	s_or_b32 exec_lo, exec_lo, s3
	s_ashr_i32 s3, s18, 31
	s_waitcnt lgkmcnt(0)
	s_lshr_b32 s3, s3, 25
	s_barrier
	s_add_i32 s3, s18, s3
	buffer_gl0_inv
	s_ashr_i32 s16, s3, 7
	s_ashr_i32 s3, s3, 31
	s_abs_i32 s9, s16
	s_delay_alu instid0(SALU_CYCLE_1) | instskip(SKIP_1) | instid1(VALU_DEP_1)
	v_cvt_f32_u32_e32 v1, s9
	s_sub_i32 s17, 0, s9
	v_rcp_iflag_f32_e32 v1, v1
	s_waitcnt_depctr 0xfff
	v_mul_f32_e32 v1, 0x4f7ffffe, v1
	s_delay_alu instid0(VALU_DEP_1) | instskip(NEXT) | instid1(VALU_DEP_1)
	v_cvt_u32_f32_e32 v1, v1
	v_readfirstlane_b32 s14, v1
	s_delay_alu instid0(VALU_DEP_1) | instskip(NEXT) | instid1(SALU_CYCLE_1)
	s_mul_i32 s17, s17, s14
	s_mul_hi_u32 s17, s14, s17
	s_delay_alu instid0(SALU_CYCLE_1) | instskip(NEXT) | instid1(SALU_CYCLE_1)
	s_add_i32 s14, s14, s17
	s_mul_hi_u32 s14, s33, s14
	s_delay_alu instid0(SALU_CYCLE_1) | instskip(SKIP_2) | instid1(SALU_CYCLE_1)
	s_mul_i32 s17, s14, s9
	s_add_i32 s20, s14, 1
	s_sub_i32 s17, s33, s17
	s_sub_i32 s21, s17, s9
	s_cmp_ge_u32 s17, s9
	s_cselect_b32 s14, s20, s14
	s_cselect_b32 s17, s21, s17
	s_add_i32 s20, s14, 1
	s_cmp_ge_u32 s17, s9
	s_cselect_b32 s9, s20, s14
	s_delay_alu instid0(SALU_CYCLE_1) | instskip(NEXT) | instid1(SALU_CYCLE_1)
	s_xor_b32 s9, s9, s3
	s_sub_i32 s20, s9, s3
	s_delay_alu instid0(SALU_CYCLE_1) | instskip(SKIP_3) | instid1(VALU_DEP_1)
	s_abs_i32 s3, s20
	s_ashr_i32 s21, s20, 31
	v_cvt_f32_u32_e32 v1, s3
	s_sub_i32 s9, 0, s3
	v_rcp_iflag_f32_e32 v1, v1
	s_waitcnt_depctr 0xfff
	v_mul_f32_e32 v1, 0x4f7ffffe, v1
	s_delay_alu instid0(VALU_DEP_1) | instskip(NEXT) | instid1(VALU_DEP_1)
	v_cvt_u32_f32_e32 v1, v1
	v_mul_lo_u32 v2, s9, v1
	s_ashr_i32 s9, s8, 31
	s_delay_alu instid0(VALU_DEP_1) | instskip(NEXT) | instid1(VALU_DEP_1)
	v_mul_hi_u32 v2, v1, v2
	v_add_nc_u32_e32 v1, v1, v2
	s_delay_alu instid0(VALU_DEP_1) | instskip(NEXT) | instid1(VALU_DEP_1)
	v_mul_hi_u32 v1, v0, v1
	v_mul_lo_u32 v2, v1, s3
	v_add_nc_u32_e32 v3, 1, v1
	s_delay_alu instid0(VALU_DEP_2) | instskip(NEXT) | instid1(VALU_DEP_1)
	v_sub_nc_u32_e32 v2, v0, v2
	v_subrev_nc_u32_e32 v4, s3, v2
	v_cmp_le_u32_e32 vcc_lo, s3, v2
	s_delay_alu instid0(VALU_DEP_2) | instskip(NEXT) | instid1(VALU_DEP_1)
	v_dual_cndmask_b32 v1, v1, v3 :: v_dual_cndmask_b32 v2, v2, v4
	v_dual_mov_b32 v4, 0 :: v_dual_add_nc_u32 v3, 1, v1
	s_delay_alu instid0(VALU_DEP_2) | instskip(SKIP_2) | instid1(VALU_DEP_1)
	v_cmp_le_u32_e32 vcc_lo, s3, v2
	ds_load_b32 v28, v4 offset:4224
	v_cndmask_b32_e32 v1, v1, v3, vcc_lo
	v_xor_b32_e32 v1, s21, v1
	s_delay_alu instid0(VALU_DEP_1) | instskip(NEXT) | instid1(VALU_DEP_1)
	v_subrev_nc_u32_e32 v1, s21, v1
	v_ashrrev_i32_e32 v2, 31, v1
	v_mul_lo_u32 v3, v1, s20
	s_delay_alu instid0(VALU_DEP_2) | instskip(NEXT) | instid1(VALU_DEP_2)
	v_lshlrev_b64 v[7:8], 5, v[1:2]
	v_sub_nc_u32_e32 v3, v0, v3
	s_delay_alu instid0(VALU_DEP_2) | instskip(NEXT) | instid1(VALU_DEP_3)
	v_add_co_u32 v5, vcc_lo, v7, 32
	v_add_co_ci_u32_e32 v6, vcc_lo, 0, v8, vcc_lo
	s_delay_alu instid0(VALU_DEP_1) | instskip(SKIP_4) | instid1(VALU_DEP_3)
	v_cmp_gt_i64_e32 vcc_lo, s[8:9], v[5:6]
	v_cndmask_b32_e32 v6, s9, v6, vcc_lo
	v_cndmask_b32_e32 v5, s8, v5, vcc_lo
	v_add_co_u32 v7, vcc_lo, v7, v3
	v_add_co_ci_u32_e32 v8, vcc_lo, 0, v8, vcc_lo
	v_ashrrev_i32_e32 v10, 31, v5
	v_mov_b32_e32 v9, v5
	s_mov_b32 s9, exec_lo
	s_delay_alu instid0(VALU_DEP_1)
	v_cmpx_lt_i64_e64 v[7:8], v[9:10]
	s_cbranch_execz .LBB23_26
; %bb.17:
	v_lshlrev_b64 v[11:12], 9, v[1:2]
	v_lshlrev_b64 v[13:14], 4, v[3:4]
	v_mov_b32_e32 v4, 0
	s_lshl_b64 s[22:23], s[20:21], 6
	s_mul_hi_i32 s14, s20, 3
	s_mul_i32 s17, s20, 3
	s_lshl_b64 s[24:25], s[20:21], 1
	v_add_co_u32 v21, vcc_lo, v11, v13
	v_add_co_ci_u32_e32 v22, vcc_lo, v12, v14, vcc_lo
	v_dual_mov_b32 v12, v8 :: v_dual_mov_b32 v11, v7
	s_lshl_b64 s[26:27], s[20:21], 4
	s_mov_b32 s34, 0
                                        ; implicit-def: $sgpr35
	s_branch .LBB23_21
.LBB23_18:                              ;   in Loop: Header=BB23_21 Depth=1
	s_or_b32 exec_lo, exec_lo, s38
	s_delay_alu instid0(SALU_CYCLE_1)
	s_or_not1_b32 s3, s3, exec_lo
.LBB23_19:                              ;   in Loop: Header=BB23_21 Depth=1
	s_or_b32 exec_lo, exec_lo, s37
	s_delay_alu instid0(SALU_CYCLE_1) | instskip(SKIP_1) | instid1(SALU_CYCLE_1)
	s_and_not1_b32 s35, s35, exec_lo
	s_and_b32 s3, s3, exec_lo
	s_or_b32 s35, s35, s3
.LBB23_20:                              ;   in Loop: Header=BB23_21 Depth=1
	s_or_b32 exec_lo, exec_lo, s36
	s_delay_alu instid0(SALU_CYCLE_1) | instskip(NEXT) | instid1(SALU_CYCLE_1)
	s_and_b32 s3, exec_lo, s35
	s_or_b32 s34, s3, s34
	s_delay_alu instid0(SALU_CYCLE_1)
	s_and_not1_b32 exec_lo, exec_lo, s34
	s_cbranch_execz .LBB23_25
.LBB23_21:                              ; =>This Inner Loop Header: Depth=1
	v_add_co_u32 v15, vcc_lo, s28, v21
	v_add_co_ci_u32_e32 v16, vcc_lo, s29, v22, vcc_lo
	v_add_co_u32 v19, vcc_lo, s30, v21
	v_add_co_ci_u32_e32 v20, vcc_lo, s31, v22, vcc_lo
	v_add_co_u32 v17, vcc_lo, s10, v21
	global_load_b128 v[23:26], v[15:16], off
	global_load_b128 v[29:32], v[19:20], off
	v_add_co_ci_u32_e32 v18, vcc_lo, s11, v22, vcc_lo
	s_or_b32 s35, s35, exec_lo
	s_mov_b32 s36, exec_lo
	global_load_b128 v[33:36], v[17:18], off
	s_waitcnt vmcnt(1)
	v_dual_add_f32 v13, v23, v29 :: v_dual_add_f32 v14, v24, v30
	v_dual_add_f32 v23, v25, v31 :: v_dual_add_f32 v24, v26, v32
	s_waitcnt lgkmcnt(0)
	s_delay_alu instid0(VALU_DEP_2) | instskip(NEXT) | instid1(VALU_DEP_3)
	v_mul_f32_e32 v14, v28, v14
	v_mul_f32_e32 v13, v28, v13
	s_delay_alu instid0(VALU_DEP_3) | instskip(SKIP_2) | instid1(VALU_DEP_3)
	v_mul_f32_e32 v23, v28, v23
	v_mul_f32_e32 v24, v28, v24
	s_waitcnt vmcnt(0)
	v_dual_mul_f32 v26, v34, v14 :: v_dual_mul_f32 v25, v33, v13
	s_delay_alu instid0(VALU_DEP_2) | instskip(SKIP_1) | instid1(VALU_DEP_3)
	v_dual_mul_f32 v23, v35, v23 :: v_dual_mul_f32 v24, v36, v24
	v_add_co_u32 v13, vcc_lo, v11, s20
	v_max3_f32 v4, v4, |v25|, |v26|
	v_add_co_ci_u32_e32 v14, vcc_lo, s21, v12, vcc_lo
	s_delay_alu instid0(VALU_DEP_2) | instskip(NEXT) | instid1(VALU_DEP_2)
	v_max3_f32 v4, v4, |v23|, |v24|
	v_cmpx_lt_i64_e64 v[13:14], v[9:10]
	s_cbranch_execz .LBB23_20
; %bb.22:                               ;   in Loop: Header=BB23_21 Depth=1
	v_add_co_u32 v15, vcc_lo, v15, s26
	v_add_co_ci_u32_e32 v16, vcc_lo, s27, v16, vcc_lo
	v_add_co_u32 v19, vcc_lo, v19, s26
	v_add_co_ci_u32_e32 v20, vcc_lo, s27, v20, vcc_lo
	v_add_co_u32 v17, vcc_lo, v17, s26
	global_load_b128 v[23:26], v[15:16], off
	global_load_b128 v[29:32], v[19:20], off
	v_add_co_ci_u32_e32 v18, vcc_lo, s27, v18, vcc_lo
	s_mov_b32 s3, -1
	s_mov_b32 s37, exec_lo
	global_load_b128 v[33:36], v[17:18], off
	s_waitcnt vmcnt(1)
	v_dual_add_f32 v23, v23, v29 :: v_dual_add_f32 v24, v24, v30
	v_dual_add_f32 v25, v25, v31 :: v_dual_add_f32 v26, v26, v32
	s_delay_alu instid0(VALU_DEP_2) | instskip(NEXT) | instid1(VALU_DEP_3)
	v_mul_f32_e32 v23, v28, v23
	v_mul_f32_e32 v24, v28, v24
	s_delay_alu instid0(VALU_DEP_3) | instskip(SKIP_1) | instid1(VALU_DEP_3)
	v_mul_f32_e32 v25, v28, v25
	s_waitcnt vmcnt(0)
	v_dual_mul_f32 v27, v33, v23 :: v_dual_mul_f32 v26, v28, v26
	s_delay_alu instid0(VALU_DEP_3) | instskip(NEXT) | instid1(VALU_DEP_3)
	v_mul_f32_e32 v29, v34, v24
	v_mul_f32_e32 v25, v35, v25
	v_add_co_u32 v23, vcc_lo, s24, v11
	s_delay_alu instid0(VALU_DEP_4) | instskip(NEXT) | instid1(VALU_DEP_4)
	v_mul_f32_e32 v26, v36, v26
	v_max3_f32 v4, v4, |v27|, |v29|
	v_add_co_ci_u32_e32 v24, vcc_lo, s25, v12, vcc_lo
	s_delay_alu instid0(VALU_DEP_2) | instskip(NEXT) | instid1(VALU_DEP_2)
	v_max3_f32 v4, v4, |v25|, |v26|
	v_cmpx_lt_i64_e64 v[23:24], v[9:10]
	s_cbranch_execz .LBB23_19
; %bb.23:                               ;   in Loop: Header=BB23_21 Depth=1
	v_add_co_u32 v15, vcc_lo, v15, s26
	v_add_co_ci_u32_e32 v16, vcc_lo, s27, v16, vcc_lo
	v_add_co_u32 v19, vcc_lo, v19, s26
	v_add_co_ci_u32_e32 v20, vcc_lo, s27, v20, vcc_lo
	v_add_co_u32 v17, vcc_lo, v17, s26
	global_load_b128 v[23:26], v[15:16], off
	global_load_b128 v[29:32], v[19:20], off
	v_add_co_ci_u32_e32 v18, vcc_lo, s27, v18, vcc_lo
	v_add_co_u32 v11, vcc_lo, s17, v11
	v_add_co_ci_u32_e32 v12, vcc_lo, s14, v12, vcc_lo
	global_load_b128 v[33:36], v[17:18], off
	v_cmp_lt_i64_e32 vcc_lo, v[11:12], v[9:10]
                                        ; implicit-def: $vgpr11_vgpr12
	s_waitcnt vmcnt(1)
	v_dual_add_f32 v23, v23, v29 :: v_dual_add_f32 v24, v24, v30
	v_dual_add_f32 v25, v25, v31 :: v_dual_add_f32 v26, v26, v32
	s_delay_alu instid0(VALU_DEP_2) | instskip(NEXT) | instid1(VALU_DEP_3)
	v_mul_f32_e32 v24, v28, v24
	v_mul_f32_e32 v23, v28, v23
	s_delay_alu instid0(VALU_DEP_3) | instskip(NEXT) | instid1(VALU_DEP_4)
	v_mul_f32_e32 v25, v28, v25
	v_mul_f32_e32 v26, v28, v26
	s_waitcnt vmcnt(0)
	s_delay_alu instid0(VALU_DEP_3) | instskip(NEXT) | instid1(VALU_DEP_3)
	v_dual_mul_f32 v24, v34, v24 :: v_dual_mul_f32 v23, v33, v23
	v_mul_f32_e32 v25, v35, v25
	s_delay_alu instid0(VALU_DEP_2) | instskip(SKIP_1) | instid1(VALU_DEP_1)
	v_max3_f32 v4, v4, |v23|, |v24|
	v_mul_f32_e32 v23, v36, v26
	v_max3_f32 v4, v4, |v25|, |v23|
	s_and_saveexec_b32 s38, vcc_lo
	s_delay_alu instid0(SALU_CYCLE_1)
	s_xor_b32 s38, exec_lo, s38
	s_cbranch_execz .LBB23_18
; %bb.24:                               ;   in Loop: Header=BB23_21 Depth=1
	v_add_co_u32 v11, vcc_lo, v15, s26
	v_add_co_ci_u32_e32 v12, vcc_lo, s27, v16, vcc_lo
	v_add_co_u32 v15, vcc_lo, v19, s26
	v_add_co_ci_u32_e32 v16, vcc_lo, s27, v20, vcc_lo
	s_add_u32 s3, s20, s20
	global_load_b128 v[23:26], v[11:12], off
	global_load_b128 v[29:32], v[15:16], off
	v_add_co_u32 v11, vcc_lo, v17, s26
	v_add_co_ci_u32_e32 v12, vcc_lo, s27, v18, vcc_lo
	s_addc_u32 s39, s21, s21
	s_add_u32 s3, s3, s20
	s_addc_u32 s39, s39, s21
	global_load_b128 v[15:18], v[11:12], off
	s_waitcnt vmcnt(1)
	v_dual_add_f32 v11, v23, v29 :: v_dual_add_f32 v12, v24, v30
	v_dual_add_f32 v19, v25, v31 :: v_dual_add_f32 v20, v26, v32
	s_delay_alu instid0(VALU_DEP_1) | instskip(NEXT) | instid1(VALU_DEP_2)
	v_mul_f32_e32 v19, v28, v19
	v_mul_f32_e32 v20, v28, v20
	s_delay_alu instid0(VALU_DEP_4) | instskip(SKIP_1) | instid1(VALU_DEP_1)
	v_mul_f32_e32 v11, v28, v11
	s_waitcnt vmcnt(0)
	v_dual_mul_f32 v12, v28, v12 :: v_dual_mul_f32 v15, v15, v11
	s_delay_alu instid0(VALU_DEP_1) | instskip(SKIP_3) | instid1(VALU_DEP_4)
	v_mul_f32_e32 v16, v16, v12
	v_add_co_u32 v11, vcc_lo, s3, v13
	v_add_co_ci_u32_e32 v12, vcc_lo, s39, v14, vcc_lo
	v_dual_mul_f32 v13, v17, v19 :: v_dual_mul_f32 v14, v18, v20
	v_max3_f32 v4, v4, |v15|, |v16|
	s_delay_alu instid0(VALU_DEP_3) | instskip(SKIP_1) | instid1(VALU_DEP_1)
	v_cmp_ge_i64_e32 vcc_lo, v[11:12], v[9:10]
	v_add_co_u32 v21, s3, v21, s22
	v_add_co_ci_u32_e64 v22, s3, s23, v22, s3
	s_delay_alu instid0(VALU_DEP_4)
	v_max3_f32 v4, v4, |v13|, |v14|
	s_or_not1_b32 s3, vcc_lo, exec_lo
	s_branch .LBB23_18
.LBB23_25:
	s_or_b32 exec_lo, exec_lo, s34
.LBB23_26:
	s_delay_alu instid0(SALU_CYCLE_1)
	s_or_b32 exec_lo, exec_lo, s9
	s_lshr_b32 s9, s33, 5
	v_lshlrev_b32_e32 v29, 2, v0
	v_cvt_f32_u32_e32 v9, s9
	s_sub_i32 s14, 0, s9
	s_add_i32 s17, s16, s9
	s_delay_alu instid0(SALU_CYCLE_1) | instskip(NEXT) | instid1(VALU_DEP_1)
	s_add_i32 s22, s17, -1
	v_rcp_iflag_f32_e32 v9, v9
	s_abs_i32 s23, s22
	s_ashr_i32 s17, s16, 31
	s_ashr_i32 s22, s22, 31
	ds_store_b32 v29, v4
	s_waitcnt lgkmcnt(0)
	s_barrier
	buffer_gl0_inv
	v_mul_f32_e32 v9, 0x4f7ffffe, v9
	s_delay_alu instid0(VALU_DEP_1) | instskip(NEXT) | instid1(VALU_DEP_1)
	v_cvt_u32_f32_e32 v9, v9
	v_readfirstlane_b32 s3, v9
	s_delay_alu instid0(VALU_DEP_1) | instskip(NEXT) | instid1(SALU_CYCLE_1)
	s_mul_i32 s14, s14, s3
	s_mul_hi_u32 s14, s3, s14
	s_delay_alu instid0(SALU_CYCLE_1) | instskip(NEXT) | instid1(SALU_CYCLE_1)
	s_add_i32 s3, s3, s14
	s_mul_hi_u32 s3, s23, s3
	s_delay_alu instid0(SALU_CYCLE_1) | instskip(NEXT) | instid1(SALU_CYCLE_1)
	s_mul_i32 s14, s3, s9
	s_sub_i32 s14, s23, s14
	s_add_i32 s23, s3, 1
	s_sub_i32 s24, s14, s9
	s_cmp_ge_u32 s14, s9
	s_cselect_b32 s3, s23, s3
	s_cselect_b32 s14, s24, s14
	s_add_i32 s23, s3, 1
	s_cmp_ge_u32 s14, s9
	s_cselect_b32 s3, s23, s3
	s_delay_alu instid0(SALU_CYCLE_1) | instskip(NEXT) | instid1(SALU_CYCLE_1)
	s_xor_b32 s3, s3, s22
	s_sub_i32 s22, s3, s22
	s_delay_alu instid0(SALU_CYCLE_1) | instskip(NEXT) | instid1(SALU_CYCLE_1)
	s_ashr_i32 s23, s22, 31
	v_cmp_lt_i64_e64 s3, s[22:23], 1
	s_delay_alu instid0(VALU_DEP_1)
	s_and_b32 vcc_lo, exec_lo, s3
	s_cbranch_vccnz .LBB23_46
; %bb.27:
	v_lshrrev_b32_e32 v9, 5, v0
	v_and_b32_e32 v4, 31, v0
	s_mov_b64 s[24:25], 0
	s_mov_b64 s[26:27], src_shared_base
	s_delay_alu instid0(VALU_DEP_2) | instskip(NEXT) | instid1(VALU_DEP_2)
	v_mul_lo_u32 v19, s20, v9
	v_add_co_u32 v11, s3, v4, 16
	s_delay_alu instid0(VALU_DEP_1) | instskip(SKIP_1) | instid1(VALU_DEP_1)
	v_add_co_ci_u32_e64 v12, null, 0, 0, s3
	v_add_co_u32 v13, s3, v4, 8
	v_add_co_ci_u32_e64 v14, null, 0, 0, s3
	v_add_co_u32 v15, s3, v4, 4
	v_dual_mov_b32 v10, 0 :: v_dual_lshlrev_b32 v21, 2, v19
	v_lshlrev_b32_e32 v22, 2, v4
	v_add_co_ci_u32_e64 v16, null, 0, 0, s3
	v_add_co_u32 v17, s3, v4, 2
	s_delay_alu instid0(VALU_DEP_1) | instskip(SKIP_1) | instid1(VALU_DEP_1)
	v_add_co_ci_u32_e64 v18, null, 0, 0, s3
	v_add_co_u32 v19, s3, v4, 1
	v_add_co_ci_u32_e64 v20, null, 0, 0, s3
	v_add3_u32 v30, v21, v22, 0x80
	s_mul_i32 s3, s20, s9
	s_delay_alu instid0(SALU_CYCLE_1)
	s_lshl_b32 s14, s3, 2
	s_branch .LBB23_30
.LBB23_28:                              ;   in Loop: Header=BB23_30 Depth=1
	s_or_b32 exec_lo, exec_lo, s3
	v_mov_b32_e32 v22, s27
	flat_load_b32 v21, v[21:22] glc dlc
	s_waitcnt vmcnt(0)
.LBB23_29:                              ;   in Loop: Header=BB23_30 Depth=1
	s_or_b32 exec_lo, exec_lo, s26
	s_add_u32 s24, s24, 1
	v_add_nc_u32_e32 v30, s14, v30
	s_addc_u32 s25, s25, 0
	s_delay_alu instid0(SALU_CYCLE_1)
	s_cmp_eq_u64 s[24:25], s[22:23]
	s_cbranch_scc1 .LBB23_46
.LBB23_30:                              ; =>This Loop Header: Depth=1
                                        ;     Child Loop BB23_33 Depth 2
	s_waitcnt lgkmcnt(0)
	v_mad_u64_u32 v[21:22], null, s24, s9, v[9:10]
	s_mov_b32 s26, exec_lo
	s_delay_alu instid0(VALU_DEP_1) | instskip(NEXT) | instid1(VALU_DEP_1)
	v_mad_u64_u32 v[23:24], null, s25, s9, v[22:23]
	v_mov_b32_e32 v22, v23
	s_delay_alu instid0(VALU_DEP_1)
	v_cmpx_gt_i64_e64 s[16:17], v[21:22]
	s_cbranch_execz .LBB23_29
; %bb.31:                               ;   in Loop: Header=BB23_30 Depth=1
	v_mul_lo_u32 v24, v22, s20
	v_mul_lo_u32 v25, v21, s21
	v_mad_u64_u32 v[22:23], null, v21, s20, 0
	s_delay_alu instid0(VALU_DEP_1) | instskip(NEXT) | instid1(VALU_DEP_2)
	v_add3_u32 v23, v23, v25, v24
	v_add_co_u32 v24, vcc_lo, v22, s20
	v_add_co_u32 v31, s3, v22, v4
	s_delay_alu instid0(VALU_DEP_3) | instskip(SKIP_2) | instid1(VALU_DEP_2)
	v_add_co_ci_u32_e32 v25, vcc_lo, s21, v23, vcc_lo
	v_add_co_ci_u32_e64 v21, s3, 0, v23, s3
	s_mov_b32 s3, exec_lo
	v_cmp_gt_i64_e32 vcc_lo, s[18:19], v[24:25]
	v_cndmask_b32_e32 v25, s19, v25, vcc_lo
	v_cndmask_b32_e32 v24, s18, v24, vcc_lo
	v_add_co_u32 v26, vcc_lo, v31, 32
	v_add_co_ci_u32_e32 v27, vcc_lo, 0, v21, vcc_lo
	v_lshlrev_b32_e32 v21, 2, v31
	s_delay_alu instid0(VALU_DEP_2)
	v_cmpx_lt_i64_e64 v[26:27], v[24:25]
	s_cbranch_execz .LBB23_34
; %bb.32:                               ;   in Loop: Header=BB23_30 Depth=1
	ds_load_b32 v33, v21
	v_mov_b32_e32 v32, v30
	s_mov_b32 s34, 0
.LBB23_33:                              ;   Parent Loop BB23_30 Depth=1
                                        ; =>  This Inner Loop Header: Depth=2
	ds_load_b32 v34, v32
	v_add_co_u32 v26, vcc_lo, v26, 32
	v_add_co_ci_u32_e32 v27, vcc_lo, 0, v27, vcc_lo
	s_waitcnt lgkmcnt(1)
	v_dual_max_f32 v33, v33, v33 :: v_dual_add_nc_u32 v32, 0x80, v32
	s_delay_alu instid0(VALU_DEP_2) | instskip(SKIP_3) | instid1(VALU_DEP_1)
	v_cmp_ge_i64_e32 vcc_lo, v[26:27], v[24:25]
	s_or_b32 s34, vcc_lo, s34
	s_waitcnt lgkmcnt(0)
	v_max_f32_e32 v34, v34, v34
	v_max_f32_e32 v33, v33, v34
	ds_store_b32 v21, v33
	s_and_not1_b32 exec_lo, exec_lo, s34
	s_cbranch_execnz .LBB23_33
.LBB23_34:                              ;   in Loop: Header=BB23_30 Depth=1
	s_or_b32 exec_lo, exec_lo, s3
	v_sub_co_u32 v22, vcc_lo, v24, v22
	v_sub_co_ci_u32_e32 v23, vcc_lo, v25, v23, vcc_lo
	s_mov_b32 s3, exec_lo
	s_delay_alu instid0(VALU_DEP_1) | instskip(SKIP_1) | instid1(VALU_DEP_1)
	v_cmp_gt_i64_e32 vcc_lo, 32, v[22:23]
	v_dual_cndmask_b32 v24, 0, v23 :: v_dual_cndmask_b32 v23, 32, v22
	v_cmpx_lt_i64_e64 v[11:12], v[23:24]
	s_cbranch_execz .LBB23_36
; %bb.35:                               ;   in Loop: Header=BB23_30 Depth=1
	v_dual_mov_b32 v22, s27 :: v_dual_add_nc_u32 v25, 64, v21
	v_mov_b32_e32 v26, s27
	flat_load_b32 v27, v[21:22] glc dlc
	s_waitcnt vmcnt(0)
	flat_load_b32 v25, v[25:26] glc dlc
	s_waitcnt vmcnt(0) lgkmcnt(0)
	v_dual_max_f32 v26, v27, v27 :: v_dual_max_f32 v25, v25, v25
	s_delay_alu instid0(VALU_DEP_1)
	v_max_f32_e32 v25, v26, v25
	flat_store_b32 v[21:22], v25 dlc
	s_waitcnt_vscnt null, 0x0
.LBB23_36:                              ;   in Loop: Header=BB23_30 Depth=1
	s_or_b32 exec_lo, exec_lo, s3
	s_delay_alu instid0(SALU_CYCLE_1)
	s_mov_b32 s3, exec_lo
	v_cmpx_lt_i64_e64 v[13:14], v[23:24]
	s_cbranch_execz .LBB23_38
; %bb.37:                               ;   in Loop: Header=BB23_30 Depth=1
	v_dual_mov_b32 v22, s27 :: v_dual_add_nc_u32 v25, 32, v21
	v_mov_b32_e32 v26, s27
	flat_load_b32 v27, v[21:22] glc dlc
	s_waitcnt vmcnt(0)
	flat_load_b32 v25, v[25:26] glc dlc
	s_waitcnt vmcnt(0) lgkmcnt(0)
	v_dual_max_f32 v26, v27, v27 :: v_dual_max_f32 v25, v25, v25
	s_delay_alu instid0(VALU_DEP_1)
	v_max_f32_e32 v25, v26, v25
	flat_store_b32 v[21:22], v25 dlc
	s_waitcnt_vscnt null, 0x0
.LBB23_38:                              ;   in Loop: Header=BB23_30 Depth=1
	s_or_b32 exec_lo, exec_lo, s3
	s_delay_alu instid0(SALU_CYCLE_1)
	s_mov_b32 s3, exec_lo
	v_cmpx_ge_i64_e64 v[15:16], v[23:24]
	s_xor_b32 s3, exec_lo, s3
; %bb.39:                               ;   in Loop: Header=BB23_30 Depth=1
                                        ; implicit-def: $vgpr21
; %bb.40:                               ;   in Loop: Header=BB23_30 Depth=1
	s_delay_alu instid0(SALU_CYCLE_1)
	s_and_not1_saveexec_b32 s3, s3
	s_cbranch_execz .LBB23_42
; %bb.41:                               ;   in Loop: Header=BB23_30 Depth=1
	v_dual_mov_b32 v22, s27 :: v_dual_add_nc_u32 v25, 16, v21
	v_mov_b32_e32 v26, s27
	flat_load_b32 v27, v[21:22] glc dlc
	s_waitcnt vmcnt(0)
	flat_load_b32 v25, v[25:26] glc dlc
	s_waitcnt vmcnt(0) lgkmcnt(0)
	v_dual_max_f32 v26, v27, v27 :: v_dual_max_f32 v25, v25, v25
	s_delay_alu instid0(VALU_DEP_1)
	v_max_f32_e32 v25, v26, v25
	flat_store_b32 v[21:22], v25 dlc
	s_waitcnt_vscnt null, 0x0
.LBB23_42:                              ;   in Loop: Header=BB23_30 Depth=1
	s_or_b32 exec_lo, exec_lo, s3
	v_lshlrev_b32_e32 v21, 2, v31
	s_mov_b32 s3, exec_lo
	v_cmpx_lt_i64_e64 v[17:18], v[23:24]
	s_cbranch_execz .LBB23_44
; %bb.43:                               ;   in Loop: Header=BB23_30 Depth=1
	s_delay_alu instid0(VALU_DEP_2)
	v_dual_mov_b32 v22, s27 :: v_dual_add_nc_u32 v25, 8, v21
	v_mov_b32_e32 v26, s27
	flat_load_b32 v27, v[21:22] glc dlc
	s_waitcnt vmcnt(0)
	flat_load_b32 v25, v[25:26] glc dlc
	s_waitcnt vmcnt(0) lgkmcnt(0)
	v_dual_max_f32 v26, v27, v27 :: v_dual_max_f32 v25, v25, v25
	s_delay_alu instid0(VALU_DEP_1)
	v_max_f32_e32 v25, v26, v25
	flat_store_b32 v[21:22], v25 dlc
	s_waitcnt_vscnt null, 0x0
.LBB23_44:                              ;   in Loop: Header=BB23_30 Depth=1
	s_or_b32 exec_lo, exec_lo, s3
	s_delay_alu instid0(SALU_CYCLE_1)
	s_mov_b32 s3, exec_lo
	v_cmpx_lt_i64_e64 v[19:20], v[23:24]
	s_cbranch_execz .LBB23_28
; %bb.45:                               ;   in Loop: Header=BB23_30 Depth=1
	v_dual_mov_b32 v22, s27 :: v_dual_add_nc_u32 v23, 4, v21
	v_mov_b32_e32 v24, s27
	flat_load_b32 v25, v[21:22] glc dlc
	s_waitcnt vmcnt(0)
	flat_load_b32 v23, v[23:24] glc dlc
	s_waitcnt vmcnt(0) lgkmcnt(0)
	v_dual_max_f32 v24, v25, v25 :: v_dual_max_f32 v23, v23, v23
	s_delay_alu instid0(VALU_DEP_1)
	v_max_f32_e32 v23, v24, v23
	flat_store_b32 v[21:22], v23 dlc
	s_waitcnt_vscnt null, 0x0
	s_branch .LBB23_28
.LBB23_46:
	v_cmp_lt_i64_e32 vcc_lo, v[7:8], v[5:6]
	v_cmp_eq_u32_e64 s3, 0, v3
	s_mul_i32 s9, s17, s15
	s_mul_hi_u32 s17, s16, s15
	s_mul_i32 s14, s16, s15
	s_waitcnt lgkmcnt(0)
	s_and_b32 s18, s3, vcc_lo
	s_barrier
	buffer_gl0_inv
	s_and_saveexec_b32 s3, s18
	s_cbranch_execz .LBB23_50
; %bb.47:
	s_load_b64 s[0:1], s[0:1], 0x20
	ds_load_b32 v3, v29
	s_waitcnt lgkmcnt(0)
	s_cmp_eq_u64 s[0:1], 0
	s_cbranch_scc1 .LBB23_49
; %bb.48:
	s_load_b32 s0, s[0:1], 0x0
	v_max_f32_e32 v3, v3, v3
	s_waitcnt lgkmcnt(0)
	v_max_f32_e64 v4, s0, s0
	s_delay_alu instid0(VALU_DEP_1)
	v_min_f32_e32 v3, v3, v4
.LBB23_49:
	s_delay_alu instid0(VALU_DEP_1) | instskip(SKIP_2) | instid1(VALU_DEP_2)
	v_div_scale_f32 v4, null, 0x42fe0000, 0x42fe0000, v3
	v_div_scale_f32 v7, vcc_lo, v3, 0x42fe0000, v3
	s_add_i32 s15, s17, s9
	v_rcp_f32_e32 v5, v4
	v_lshlrev_b64 v[1:2], 2, v[1:2]
	s_lshl_b64 s[0:1], s[14:15], 2
	s_delay_alu instid0(SALU_CYCLE_1) | instskip(SKIP_3) | instid1(VALU_DEP_1)
	s_add_u32 s0, s6, s0
	s_addc_u32 s1, s7, s1
	s_waitcnt_depctr 0xfff
	v_fma_f32 v6, -v4, v5, 1.0
	v_fmac_f32_e32 v5, v6, v5
	s_delay_alu instid0(VALU_DEP_1) | instskip(NEXT) | instid1(VALU_DEP_1)
	v_mul_f32_e32 v6, v7, v5
	v_fma_f32 v8, -v4, v6, v7
	s_delay_alu instid0(VALU_DEP_1) | instskip(NEXT) | instid1(VALU_DEP_1)
	v_fmac_f32_e32 v6, v8, v5
	v_fma_f32 v4, -v4, v6, v7
	s_delay_alu instid0(VALU_DEP_1) | instskip(SKIP_2) | instid1(VALU_DEP_3)
	v_div_fmas_f32 v4, v4, v5, v6
	v_add_co_u32 v1, vcc_lo, s0, v1
	v_add_co_ci_u32_e32 v2, vcc_lo, s1, v2, vcc_lo
	v_div_fixup_f32 v3, v4, 0x42fe0000, v3
	s_delay_alu instid0(VALU_DEP_1)
	v_max_f32_e32 v3, 0x34000000, v3
	global_store_b32 v[1:2], v3, off
.LBB23_50:
	s_or_b32 exec_lo, exec_lo, s3
	s_waitcnt_vscnt null, 0x0
	s_barrier
	buffer_gl0_inv
	s_and_saveexec_b32 s0, s2
	s_cbranch_execz .LBB23_59
; %bb.51:
	s_add_u32 s2, s4, s12
	s_addc_u32 s3, s5, s13
	s_add_i32 s15, s17, s9
	v_mov_b32_e32 v1, 0
	s_lshl_b64 s[0:1], s[14:15], 2
	s_mul_i32 s4, s33, 3
	s_add_u32 s0, s6, s0
	s_addc_u32 s1, s7, s1
	s_lshl_b32 s5, s33, 1
	s_mov_b32 s6, 0
	s_add_i32 s7, s33, s33
                                        ; implicit-def: $sgpr9
	s_branch .LBB23_55
.LBB23_52:                              ;   in Loop: Header=BB23_55 Depth=1
	s_or_b32 exec_lo, exec_lo, s14
	s_delay_alu instid0(SALU_CYCLE_1)
	s_or_not1_b32 s14, s15, exec_lo
.LBB23_53:                              ;   in Loop: Header=BB23_55 Depth=1
	s_or_b32 exec_lo, exec_lo, s13
	s_delay_alu instid0(SALU_CYCLE_1) | instskip(SKIP_1) | instid1(SALU_CYCLE_1)
	s_and_not1_b32 s9, s9, exec_lo
	s_and_b32 s13, s14, exec_lo
	s_or_b32 s9, s9, s13
.LBB23_54:                              ;   in Loop: Header=BB23_55 Depth=1
	s_or_b32 exec_lo, exec_lo, s12
	s_delay_alu instid0(SALU_CYCLE_1) | instskip(NEXT) | instid1(SALU_CYCLE_1)
	s_and_b32 s12, exec_lo, s9
	s_or_b32 s6, s12, s6
	s_delay_alu instid0(SALU_CYCLE_1)
	s_and_not1_b32 exec_lo, exec_lo, s6
	s_cbranch_execz .LBB23_59
.LBB23_55:                              ; =>This Inner Loop Header: Depth=1
	v_lshrrev_b32_e32 v2, 3, v0
	v_lshlrev_b64 v[10:11], 4, v[0:1]
	s_or_b32 s9, s9, exec_lo
	s_mov_b32 s12, exec_lo
	s_delay_alu instid0(VALU_DEP_2)
	v_and_b32_e32 v2, 0x7fffffc, v2
	global_load_b32 v16, v2, s[0:1]
	v_add_co_u32 v2, vcc_lo, s28, v10
	v_add_co_ci_u32_e32 v3, vcc_lo, s29, v11, vcc_lo
	v_add_co_u32 v14, vcc_lo, s30, v10
	v_add_co_ci_u32_e32 v15, vcc_lo, s31, v11, vcc_lo
	global_load_b128 v[2:5], v[2:3], off
	global_load_b128 v[6:9], v[14:15], off
	v_add_co_u32 v10, vcc_lo, s10, v10
	v_add_co_ci_u32_e32 v11, vcc_lo, s11, v11, vcc_lo
	global_load_b128 v[10:13], v[10:11], off
	s_waitcnt vmcnt(3)
	v_div_scale_f32 v17, null, v16, v16, 1.0
	v_div_scale_f32 v20, vcc_lo, 1.0, v16, 1.0
	s_delay_alu instid0(VALU_DEP_2)
	v_rcp_f32_e32 v18, v17
	s_waitcnt vmcnt(1)
	v_add_f32_e32 v7, v3, v7
	v_add_f32_e32 v9, v5, v9
	s_waitcnt_depctr 0xfff
	v_fma_f32 v19, -v17, v18, 1.0
	v_mul_f32_e32 v5, v28, v7
	v_add_f32_e32 v8, v4, v8
	s_delay_alu instid0(VALU_DEP_3) | instskip(SKIP_1) | instid1(VALU_DEP_3)
	v_fmac_f32_e32 v18, v19, v18
	s_waitcnt vmcnt(0)
	v_dual_mul_f32 v5, v11, v5 :: v_dual_add_f32 v6, v2, v6
	s_delay_alu instid0(VALU_DEP_3) | instskip(NEXT) | instid1(VALU_DEP_2)
	v_mul_f32_e32 v3, v28, v8
	v_mul_f32_e32 v4, v28, v6
	;; [unrolled: 1-line block ×3, first 2 shown]
	global_store_b128 v[14:15], v[6:9], off
	v_mul_f32_e32 v4, v10, v4
	v_fma_f32 v21, -v17, v19, v20
	s_delay_alu instid0(VALU_DEP_1) | instskip(NEXT) | instid1(VALU_DEP_1)
	v_fmac_f32_e32 v19, v21, v18
	v_fma_f32 v2, -v17, v19, v20
	s_delay_alu instid0(VALU_DEP_1) | instskip(NEXT) | instid1(VALU_DEP_1)
	v_div_fmas_f32 v2, v2, v18, v19
	v_div_fixup_f32 v2, v2, v16, 1.0
	v_mul_f32_e32 v17, v28, v9
	s_delay_alu instid0(VALU_DEP_2) | instskip(SKIP_1) | instid1(VALU_DEP_3)
	v_mul_f32_e32 v5, v5, v2
	v_mul_f32_e32 v4, v4, v2
	v_mul_f32_e32 v10, v13, v17
	s_delay_alu instid0(VALU_DEP_3) | instskip(SKIP_1) | instid1(VALU_DEP_4)
	v_rndne_f32_e32 v5, v5
	v_mul_f32_e32 v3, v12, v3
	v_rndne_f32_e32 v4, v4
	s_delay_alu instid0(VALU_DEP_2) | instskip(SKIP_1) | instid1(VALU_DEP_2)
	v_mul_f32_e32 v3, v3, v2
	v_mul_f32_e32 v2, v10, v2
	v_rndne_f32_e32 v3, v3
	s_delay_alu instid0(VALU_DEP_2) | instskip(NEXT) | instid1(VALU_DEP_2)
	v_rndne_f32_e32 v2, v2
	v_cmp_nlt_f32_e32 vcc_lo, 0x42fe0000, v3
	v_cndmask_b32_e32 v10, 0x42fe0000, v3, vcc_lo
	v_cmp_nlt_f32_e32 vcc_lo, 0x42fe0000, v4
	v_cndmask_b32_e32 v11, 0x42fe0000, v4, vcc_lo
	;; [unrolled: 2-line block ×3, first 2 shown]
	v_cmp_ngt_f32_e32 vcc_lo, 0xc3000000, v3
	v_cndmask_b32_e32 v3, 0xc3000000, v10, vcc_lo
	v_cmp_nlt_f32_e32 vcc_lo, 0x42fe0000, v2
	s_delay_alu instid0(VALU_DEP_2) | instskip(NEXT) | instid1(VALU_DEP_1)
	v_cvt_i32_f32_e32 v3, v3
	v_and_b32_e32 v3, 0xff, v3
	v_cndmask_b32_e32 v10, 0x42fe0000, v2, vcc_lo
	v_cmp_ngt_f32_e32 vcc_lo, 0xc3000000, v5
	v_cndmask_b32_e32 v5, 0xc3000000, v12, vcc_lo
	v_cmp_ngt_f32_e32 vcc_lo, 0xc3000000, v4
	s_delay_alu instid0(VALU_DEP_2) | instskip(SKIP_3) | instid1(VALU_DEP_4)
	v_cvt_i32_f32_e32 v5, v5
	v_cndmask_b32_e32 v4, 0xc3000000, v11, vcc_lo
	v_lshlrev_b32_e32 v11, 16, v3
	v_cmp_ngt_f32_e32 vcc_lo, 0xc3000000, v2
	v_and_b32_e32 v5, 0xff, v5
	v_cndmask_b32_e32 v2, 0xc3000000, v10, vcc_lo
	v_cvt_i32_f32_e32 v10, v4
	s_delay_alu instid0(VALU_DEP_3) | instskip(SKIP_1) | instid1(VALU_DEP_4)
	v_lshlrev_b32_e32 v5, 8, v5
	v_lshlrev_b64 v[3:4], 2, v[0:1]
	v_cvt_i32_f32_e32 v2, v2
	s_delay_alu instid0(VALU_DEP_4) | instskip(NEXT) | instid1(VALU_DEP_3)
	v_and_b32_e32 v10, 0xff, v10
	v_add_co_u32 v3, vcc_lo, s2, v3
	s_delay_alu instid0(VALU_DEP_3) | instskip(SKIP_2) | instid1(VALU_DEP_3)
	v_lshl_or_b32 v11, v2, 24, v11
	v_add_nc_u32_e32 v2, s33, v0
	v_add_co_ci_u32_e32 v4, vcc_lo, s3, v4, vcc_lo
	v_or3_b32 v5, v11, v5, v10
	global_store_b32 v[3:4], v5, off
	v_cmpx_gt_u32_e64 s8, v2
	s_cbranch_execz .LBB23_54
; %bb.56:                               ;   in Loop: Header=BB23_55 Depth=1
	v_lshrrev_b32_e32 v3, 3, v2
	s_mov_b32 s14, -1
	s_mov_b32 s13, exec_lo
	s_delay_alu instid0(VALU_DEP_1) | instskip(SKIP_2) | instid1(VALU_DEP_1)
	v_and_b32_e32 v3, 0x7fffffc, v3
	global_load_b32 v18, v3, s[0:1]
	v_mov_b32_e32 v3, v1
	v_lshlrev_b64 v[12:13], 4, v[2:3]
	s_delay_alu instid0(VALU_DEP_1) | instskip(NEXT) | instid1(VALU_DEP_2)
	v_add_co_u32 v4, vcc_lo, s28, v12
	v_add_co_ci_u32_e32 v5, vcc_lo, s29, v13, vcc_lo
	v_add_co_u32 v16, vcc_lo, s30, v12
	v_add_co_ci_u32_e32 v17, vcc_lo, s31, v13, vcc_lo
	global_load_b128 v[4:7], v[4:5], off
	global_load_b128 v[8:11], v[16:17], off
	v_add_co_u32 v12, vcc_lo, s10, v12
	v_add_co_ci_u32_e32 v13, vcc_lo, s11, v13, vcc_lo
	global_load_b128 v[12:15], v[12:13], off
	s_waitcnt vmcnt(3)
	v_div_scale_f32 v19, null, v18, v18, 1.0
	v_div_scale_f32 v22, vcc_lo, 1.0, v18, 1.0
	s_delay_alu instid0(VALU_DEP_2) | instskip(SKIP_2) | instid1(VALU_DEP_1)
	v_rcp_f32_e32 v20, v19
	s_waitcnt_depctr 0xfff
	v_fma_f32 v21, -v19, v20, 1.0
	v_fmac_f32_e32 v20, v21, v20
	s_waitcnt vmcnt(1)
	v_add_f32_e32 v6, v6, v10
	v_dual_add_f32 v4, v4, v8 :: v_dual_add_f32 v5, v5, v9
	s_delay_alu instid0(VALU_DEP_1)
	v_dual_add_f32 v7, v7, v11 :: v_dual_mul_f32 v10, v28, v4
	v_mul_f32_e32 v21, v22, v20
	global_store_b128 v[16:17], v[4:7], off
	s_waitcnt vmcnt(0)
	v_mul_f32_e32 v10, v12, v10
	v_fma_f32 v23, -v19, v21, v22
	s_delay_alu instid0(VALU_DEP_1) | instskip(NEXT) | instid1(VALU_DEP_1)
	v_fmac_f32_e32 v21, v23, v20
	v_fma_f32 v8, -v19, v21, v22
	v_mul_f32_e32 v19, v28, v7
	v_mul_f32_e32 v9, v28, v6
	s_delay_alu instid0(VALU_DEP_3) | instskip(NEXT) | instid1(VALU_DEP_3)
	v_div_fmas_f32 v8, v8, v20, v21
	v_mul_f32_e32 v12, v15, v19
	s_delay_alu instid0(VALU_DEP_2) | instskip(SKIP_2) | instid1(VALU_DEP_2)
	v_div_fixup_f32 v8, v8, v18, 1.0
	v_mul_f32_e32 v11, v28, v5
	v_mul_f32_e32 v9, v14, v9
	v_dual_mul_f32 v10, v10, v8 :: v_dual_mul_f32 v11, v13, v11
	s_delay_alu instid0(VALU_DEP_1) | instskip(NEXT) | instid1(VALU_DEP_2)
	v_rndne_f32_e32 v10, v10
	v_mul_f32_e32 v11, v11, v8
	s_delay_alu instid0(VALU_DEP_1) | instskip(SKIP_2) | instid1(VALU_DEP_2)
	v_rndne_f32_e32 v11, v11
	v_mul_f32_e32 v9, v9, v8
	v_mul_f32_e32 v8, v12, v8
	v_rndne_f32_e32 v9, v9
	s_delay_alu instid0(VALU_DEP_2) | instskip(NEXT) | instid1(VALU_DEP_2)
	v_rndne_f32_e32 v8, v8
	v_cmp_nlt_f32_e32 vcc_lo, 0x42fe0000, v9
	v_cndmask_b32_e32 v12, 0x42fe0000, v9, vcc_lo
	v_cmp_nlt_f32_e32 vcc_lo, 0x42fe0000, v10
	v_cndmask_b32_e32 v13, 0x42fe0000, v10, vcc_lo
	;; [unrolled: 2-line block ×3, first 2 shown]
	v_cmp_ngt_f32_e32 vcc_lo, 0xc3000000, v9
	v_cndmask_b32_e32 v9, 0xc3000000, v12, vcc_lo
	v_cmp_nlt_f32_e32 vcc_lo, 0x42fe0000, v8
	s_delay_alu instid0(VALU_DEP_2) | instskip(SKIP_2) | instid1(VALU_DEP_3)
	v_cvt_i32_f32_e32 v9, v9
	v_cndmask_b32_e32 v12, 0x42fe0000, v8, vcc_lo
	v_cmp_ngt_f32_e32 vcc_lo, 0xc3000000, v11
	v_and_b32_e32 v9, 0xff, v9
	v_cndmask_b32_e32 v11, 0xc3000000, v14, vcc_lo
	v_cmp_ngt_f32_e32 vcc_lo, 0xc3000000, v10
	s_delay_alu instid0(VALU_DEP_2) | instskip(SKIP_3) | instid1(VALU_DEP_4)
	v_cvt_i32_f32_e32 v11, v11
	v_cndmask_b32_e32 v10, 0xc3000000, v13, vcc_lo
	v_cmp_ngt_f32_e32 vcc_lo, 0xc3000000, v8
	v_lshlrev_b32_e32 v13, 16, v9
	v_and_b32_e32 v11, 0xff, v11
	s_delay_alu instid0(VALU_DEP_4) | instskip(NEXT) | instid1(VALU_DEP_2)
	v_cvt_i32_f32_e32 v10, v10
	v_dual_cndmask_b32 v8, 0xc3000000, v12 :: v_dual_lshlrev_b32 v11, 8, v11
	s_delay_alu instid0(VALU_DEP_2) | instskip(NEXT) | instid1(VALU_DEP_2)
	v_and_b32_e32 v10, 0xff, v10
	v_cvt_i32_f32_e32 v12, v8
	v_lshlrev_b64 v[8:9], 2, v[2:3]
	v_add_nc_u32_e32 v3, s5, v0
	s_delay_alu instid0(VALU_DEP_3) | instskip(NEXT) | instid1(VALU_DEP_3)
	v_lshl_or_b32 v12, v12, 24, v13
	v_add_co_u32 v8, vcc_lo, s2, v8
	s_delay_alu instid0(VALU_DEP_4) | instskip(NEXT) | instid1(VALU_DEP_3)
	v_add_co_ci_u32_e32 v9, vcc_lo, s3, v9, vcc_lo
	v_or3_b32 v10, v12, v11, v10
	global_store_b32 v[8:9], v10, off
	v_cmpx_gt_u32_e64 s8, v3
	s_cbranch_execz .LBB23_53
; %bb.57:                               ;   in Loop: Header=BB23_55 Depth=1
	v_lshrrev_b32_e32 v4, 3, v3
	v_add_nc_u32_e32 v0, s4, v0
	s_mov_b32 s15, -1
	s_mov_b32 s14, exec_lo
	s_delay_alu instid0(VALU_DEP_2) | instskip(SKIP_2) | instid1(VALU_DEP_1)
	v_and_b32_e32 v4, 0x7fffffc, v4
	global_load_b32 v19, v4, s[0:1]
	v_mov_b32_e32 v4, v1
	v_lshlrev_b64 v[13:14], 4, v[3:4]
	s_delay_alu instid0(VALU_DEP_1) | instskip(NEXT) | instid1(VALU_DEP_2)
	v_add_co_u32 v5, vcc_lo, s28, v13
	v_add_co_ci_u32_e32 v6, vcc_lo, s29, v14, vcc_lo
	v_add_co_u32 v17, vcc_lo, s30, v13
	v_add_co_ci_u32_e32 v18, vcc_lo, s31, v14, vcc_lo
	global_load_b128 v[5:8], v[5:6], off
	global_load_b128 v[9:12], v[17:18], off
	v_add_co_u32 v13, vcc_lo, s10, v13
	v_add_co_ci_u32_e32 v14, vcc_lo, s11, v14, vcc_lo
	global_load_b128 v[13:16], v[13:14], off
	s_waitcnt vmcnt(3)
	v_div_scale_f32 v20, null, v19, v19, 1.0
	v_div_scale_f32 v23, vcc_lo, 1.0, v19, 1.0
	s_delay_alu instid0(VALU_DEP_2) | instskip(SKIP_2) | instid1(VALU_DEP_1)
	v_rcp_f32_e32 v21, v20
	s_waitcnt_depctr 0xfff
	v_fma_f32 v22, -v20, v21, 1.0
	v_fmac_f32_e32 v21, v22, v21
	s_waitcnt vmcnt(1)
	v_add_f32_e32 v7, v7, v11
	v_dual_add_f32 v5, v5, v9 :: v_dual_add_f32 v6, v6, v10
	v_lshlrev_b64 v[3:4], 2, v[3:4]
	s_delay_alu instid0(VALU_DEP_2) | instskip(SKIP_1) | instid1(VALU_DEP_1)
	v_mul_f32_e32 v11, v28, v5
	s_waitcnt vmcnt(0)
	v_dual_mul_f32 v22, v23, v21 :: v_dual_mul_f32 v11, v13, v11
	s_delay_alu instid0(VALU_DEP_1) | instskip(NEXT) | instid1(VALU_DEP_1)
	v_fma_f32 v24, -v20, v22, v23
	v_fmac_f32_e32 v22, v24, v21
	s_delay_alu instid0(VALU_DEP_1) | instskip(NEXT) | instid1(VALU_DEP_1)
	v_fma_f32 v9, -v20, v22, v23
	v_div_fmas_f32 v9, v9, v21, v22
	s_delay_alu instid0(VALU_DEP_1) | instskip(SKIP_1) | instid1(VALU_DEP_2)
	v_div_fixup_f32 v9, v9, v19, 1.0
	v_add_f32_e32 v8, v8, v12
	v_dual_mul_f32 v12, v28, v6 :: v_dual_mul_f32 v11, v11, v9
	s_delay_alu instid0(VALU_DEP_2) | instskip(NEXT) | instid1(VALU_DEP_2)
	v_mul_f32_e32 v20, v28, v8
	v_mul_f32_e32 v12, v14, v12
	global_store_b128 v[17:18], v[5:8], off
	v_rndne_f32_e32 v11, v11
	v_mul_f32_e32 v13, v16, v20
	v_mul_f32_e32 v10, v28, v7
	;; [unrolled: 1-line block ×3, first 2 shown]
	s_delay_alu instid0(VALU_DEP_2) | instskip(NEXT) | instid1(VALU_DEP_2)
	v_mul_f32_e32 v10, v15, v10
	v_rndne_f32_e32 v12, v12
	s_delay_alu instid0(VALU_DEP_2) | instskip(SKIP_1) | instid1(VALU_DEP_2)
	v_mul_f32_e32 v10, v10, v9
	v_mul_f32_e32 v9, v13, v9
	v_rndne_f32_e32 v10, v10
	s_delay_alu instid0(VALU_DEP_2) | instskip(NEXT) | instid1(VALU_DEP_2)
	v_rndne_f32_e32 v9, v9
	v_cmp_nlt_f32_e32 vcc_lo, 0x42fe0000, v10
	v_cndmask_b32_e32 v13, 0x42fe0000, v10, vcc_lo
	v_cmp_nlt_f32_e32 vcc_lo, 0x42fe0000, v11
	v_cndmask_b32_e32 v14, 0x42fe0000, v11, vcc_lo
	;; [unrolled: 2-line block ×3, first 2 shown]
	v_cmp_ngt_f32_e32 vcc_lo, 0xc3000000, v10
	v_cndmask_b32_e32 v10, 0xc3000000, v13, vcc_lo
	v_cmp_nlt_f32_e32 vcc_lo, 0x42fe0000, v9
	s_delay_alu instid0(VALU_DEP_2) | instskip(SKIP_2) | instid1(VALU_DEP_3)
	v_cvt_i32_f32_e32 v10, v10
	v_cndmask_b32_e32 v13, 0x42fe0000, v9, vcc_lo
	v_cmp_ngt_f32_e32 vcc_lo, 0xc3000000, v12
	v_and_b32_e32 v10, 0xff, v10
	s_delay_alu instid0(VALU_DEP_1) | instskip(SKIP_2) | instid1(VALU_DEP_2)
	v_lshlrev_b32_e32 v10, 16, v10
	v_cndmask_b32_e32 v12, 0xc3000000, v15, vcc_lo
	v_cmp_ngt_f32_e32 vcc_lo, 0xc3000000, v11
	v_cvt_i32_f32_e32 v12, v12
	v_cndmask_b32_e32 v11, 0xc3000000, v14, vcc_lo
	v_cmp_ngt_f32_e32 vcc_lo, 0xc3000000, v9
	s_delay_alu instid0(VALU_DEP_3) | instskip(NEXT) | instid1(VALU_DEP_3)
	v_and_b32_e32 v12, 0xff, v12
	v_cvt_i32_f32_e32 v11, v11
	v_cndmask_b32_e32 v9, 0xc3000000, v13, vcc_lo
	v_add_co_u32 v3, vcc_lo, s2, v3
	s_delay_alu instid0(VALU_DEP_4) | instskip(NEXT) | instid1(VALU_DEP_4)
	v_lshlrev_b32_e32 v12, 8, v12
	v_and_b32_e32 v11, 0xff, v11
	s_delay_alu instid0(VALU_DEP_4) | instskip(SKIP_1) | instid1(VALU_DEP_2)
	v_cvt_i32_f32_e32 v9, v9
	v_add_co_ci_u32_e32 v4, vcc_lo, s3, v4, vcc_lo
	v_lshl_or_b32 v9, v9, 24, v10
	s_delay_alu instid0(VALU_DEP_1)
	v_or3_b32 v9, v9, v12, v11
	global_store_b32 v[3:4], v9, off
	v_cmpx_gt_u32_e64 s8, v0
	s_cbranch_execz .LBB23_52
; %bb.58:                               ;   in Loop: Header=BB23_55 Depth=1
	v_lshrrev_b32_e32 v3, 3, v0
	v_lshlrev_b64 v[11:12], 4, v[0:1]
	s_delay_alu instid0(VALU_DEP_2)
	v_and_b32_e32 v3, 0x7fffffc, v3
	global_load_b32 v17, v3, s[0:1]
	v_add_co_u32 v3, vcc_lo, s28, v11
	v_add_co_ci_u32_e32 v4, vcc_lo, s29, v12, vcc_lo
	v_add_co_u32 v15, vcc_lo, s30, v11
	v_add_co_ci_u32_e32 v16, vcc_lo, s31, v12, vcc_lo
	global_load_b128 v[3:6], v[3:4], off
	global_load_b128 v[7:10], v[15:16], off
	v_add_co_u32 v11, vcc_lo, s10, v11
	v_add_co_ci_u32_e32 v12, vcc_lo, s11, v12, vcc_lo
	global_load_b128 v[11:14], v[11:12], off
	s_waitcnt vmcnt(3)
	v_div_scale_f32 v18, null, v17, v17, 1.0
	v_div_scale_f32 v21, vcc_lo, 1.0, v17, 1.0
	s_delay_alu instid0(VALU_DEP_2)
	v_rcp_f32_e32 v19, v18
	s_waitcnt vmcnt(1)
	v_dual_add_f32 v4, v4, v8 :: v_dual_add_f32 v5, v5, v9
	v_add_f32_e32 v6, v6, v10
	s_waitcnt_depctr 0xfff
	v_fma_f32 v20, -v18, v19, 1.0
	v_dual_mul_f32 v10, v28, v4 :: v_dual_add_f32 v3, v3, v7
	v_mul_f32_e32 v8, v28, v5
	s_delay_alu instid0(VALU_DEP_3) | instskip(SKIP_1) | instid1(VALU_DEP_2)
	v_fmac_f32_e32 v19, v20, v19
	s_waitcnt vmcnt(0)
	v_dual_mul_f32 v9, v28, v3 :: v_dual_mul_f32 v8, v13, v8
	global_store_b128 v[15:16], v[3:6], off
	v_dual_mul_f32 v20, v21, v19 :: v_dual_mul_f32 v9, v11, v9
	s_delay_alu instid0(VALU_DEP_1) | instskip(NEXT) | instid1(VALU_DEP_1)
	v_fma_f32 v22, -v18, v20, v21
	v_fmac_f32_e32 v20, v22, v19
	s_delay_alu instid0(VALU_DEP_1) | instskip(NEXT) | instid1(VALU_DEP_1)
	v_fma_f32 v7, -v18, v20, v21
	v_div_fmas_f32 v7, v7, v19, v20
	s_delay_alu instid0(VALU_DEP_1) | instskip(NEXT) | instid1(VALU_DEP_1)
	v_div_fixup_f32 v7, v7, v17, 1.0
	v_dual_mul_f32 v18, v28, v6 :: v_dual_mul_f32 v9, v9, v7
	s_delay_alu instid0(VALU_DEP_1) | instskip(SKIP_1) | instid1(VALU_DEP_3)
	v_dual_mul_f32 v11, v14, v18 :: v_dual_mul_f32 v8, v8, v7
	v_mul_f32_e32 v10, v12, v10
	v_rndne_f32_e32 v9, v9
	s_delay_alu instid0(VALU_DEP_3) | instskip(NEXT) | instid1(VALU_DEP_3)
	v_rndne_f32_e32 v8, v8
	v_mul_f32_e32 v10, v10, v7
	v_mul_f32_e32 v7, v11, v7
	s_delay_alu instid0(VALU_DEP_3) | instskip(NEXT) | instid1(VALU_DEP_3)
	v_cmp_nlt_f32_e32 vcc_lo, 0x42fe0000, v8
	v_rndne_f32_e32 v10, v10
	s_delay_alu instid0(VALU_DEP_3)
	v_rndne_f32_e32 v7, v7
	v_cndmask_b32_e32 v11, 0x42fe0000, v8, vcc_lo
	v_cmp_nlt_f32_e32 vcc_lo, 0x42fe0000, v9
	v_cndmask_b32_e32 v12, 0x42fe0000, v9, vcc_lo
	v_cmp_nlt_f32_e32 vcc_lo, 0x42fe0000, v10
	v_cndmask_b32_e32 v13, 0x42fe0000, v10, vcc_lo
	v_cmp_ngt_f32_e32 vcc_lo, 0xc3000000, v8
	v_cndmask_b32_e32 v8, 0xc3000000, v11, vcc_lo
	v_cmp_nlt_f32_e32 vcc_lo, 0x42fe0000, v7
	s_delay_alu instid0(VALU_DEP_2) | instskip(SKIP_2) | instid1(VALU_DEP_3)
	v_cvt_i32_f32_e32 v8, v8
	v_cndmask_b32_e32 v11, 0x42fe0000, v7, vcc_lo
	v_cmp_ngt_f32_e32 vcc_lo, 0xc3000000, v10
	v_and_b32_e32 v8, 0xff, v8
	v_cndmask_b32_e32 v10, 0xc3000000, v13, vcc_lo
	v_cmp_ngt_f32_e32 vcc_lo, 0xc3000000, v9
	s_delay_alu instid0(VALU_DEP_2) | instskip(SKIP_3) | instid1(VALU_DEP_4)
	v_cvt_i32_f32_e32 v10, v10
	v_cndmask_b32_e32 v9, 0xc3000000, v12, vcc_lo
	v_lshlrev_b32_e32 v12, 16, v8
	v_cmp_ngt_f32_e32 vcc_lo, 0xc3000000, v7
	v_and_b32_e32 v10, 0xff, v10
	s_delay_alu instid0(VALU_DEP_4) | instskip(SKIP_1) | instid1(VALU_DEP_1)
	v_cvt_i32_f32_e32 v9, v9
	v_cndmask_b32_e32 v7, 0xc3000000, v11, vcc_lo
	v_cvt_i32_f32_e32 v11, v7
	v_lshlrev_b64 v[7:8], 2, v[0:1]
	v_add3_u32 v0, s7, s33, v2
	v_and_b32_e32 v2, 0xff, v9
	v_lshlrev_b32_e32 v9, 8, v10
	v_lshl_or_b32 v10, v11, 24, v12
	v_add_co_u32 v7, vcc_lo, s2, v7
	v_add_co_ci_u32_e32 v8, vcc_lo, s3, v8, vcc_lo
	v_cmp_le_u32_e32 vcc_lo, s8, v0
	s_delay_alu instid0(VALU_DEP_4)
	v_or3_b32 v2, v10, v9, v2
	s_or_not1_b32 s15, vcc_lo, exec_lo
	global_store_b32 v[7:8], v2, off
	s_branch .LBB23_52
.LBB23_59:
	s_nop 0
	s_sendmsg sendmsg(MSG_DEALLOC_VGPRS)
	s_endpgm
	.section	.rodata,"a",@progbits
	.p2align	6, 0x0
	.amdhsa_kernel _ZN4vllm31rms_norm_per_block_quant_kernelIfaLb1ELb0ELi128EEEvPT0_PfPKT_S6_PKffiiPS4_l
		.amdhsa_group_segment_fixed_size 4228
		.amdhsa_private_segment_fixed_size 0
		.amdhsa_kernarg_size 328
		.amdhsa_user_sgpr_count 15
		.amdhsa_user_sgpr_dispatch_ptr 0
		.amdhsa_user_sgpr_queue_ptr 0
		.amdhsa_user_sgpr_kernarg_segment_ptr 1
		.amdhsa_user_sgpr_dispatch_id 0
		.amdhsa_user_sgpr_private_segment_size 0
		.amdhsa_wavefront_size32 1
		.amdhsa_uses_dynamic_stack 0
		.amdhsa_enable_private_segment 0
		.amdhsa_system_sgpr_workgroup_id_x 1
		.amdhsa_system_sgpr_workgroup_id_y 0
		.amdhsa_system_sgpr_workgroup_id_z 0
		.amdhsa_system_sgpr_workgroup_info 0
		.amdhsa_system_vgpr_workitem_id 0
		.amdhsa_next_free_vgpr 37
		.amdhsa_next_free_sgpr 40
		.amdhsa_reserve_vcc 1
		.amdhsa_float_round_mode_32 0
		.amdhsa_float_round_mode_16_64 0
		.amdhsa_float_denorm_mode_32 3
		.amdhsa_float_denorm_mode_16_64 3
		.amdhsa_dx10_clamp 1
		.amdhsa_ieee_mode 1
		.amdhsa_fp16_overflow 0
		.amdhsa_workgroup_processor_mode 1
		.amdhsa_memory_ordered 1
		.amdhsa_forward_progress 0
		.amdhsa_shared_vgpr_count 0
		.amdhsa_exception_fp_ieee_invalid_op 0
		.amdhsa_exception_fp_denorm_src 0
		.amdhsa_exception_fp_ieee_div_zero 0
		.amdhsa_exception_fp_ieee_overflow 0
		.amdhsa_exception_fp_ieee_underflow 0
		.amdhsa_exception_fp_ieee_inexact 0
		.amdhsa_exception_int_div_zero 0
	.end_amdhsa_kernel
	.section	.text._ZN4vllm31rms_norm_per_block_quant_kernelIfaLb1ELb0ELi128EEEvPT0_PfPKT_S6_PKffiiPS4_l,"axG",@progbits,_ZN4vllm31rms_norm_per_block_quant_kernelIfaLb1ELb0ELi128EEEvPT0_PfPKT_S6_PKffiiPS4_l,comdat
.Lfunc_end23:
	.size	_ZN4vllm31rms_norm_per_block_quant_kernelIfaLb1ELb0ELi128EEEvPT0_PfPKT_S6_PKffiiPS4_l, .Lfunc_end23-_ZN4vllm31rms_norm_per_block_quant_kernelIfaLb1ELb0ELi128EEEvPT0_PfPKT_S6_PKffiiPS4_l
                                        ; -- End function
	.section	.AMDGPU.csdata,"",@progbits
; Kernel info:
; codeLenInByte = 6708
; NumSgprs: 42
; NumVgprs: 37
; ScratchSize: 0
; MemoryBound: 0
; FloatMode: 240
; IeeeMode: 1
; LDSByteSize: 4228 bytes/workgroup (compile time only)
; SGPRBlocks: 5
; VGPRBlocks: 4
; NumSGPRsForWavesPerEU: 42
; NumVGPRsForWavesPerEU: 37
; Occupancy: 16
; WaveLimiterHint : 0
; COMPUTE_PGM_RSRC2:SCRATCH_EN: 0
; COMPUTE_PGM_RSRC2:USER_SGPR: 15
; COMPUTE_PGM_RSRC2:TRAP_HANDLER: 0
; COMPUTE_PGM_RSRC2:TGID_X_EN: 1
; COMPUTE_PGM_RSRC2:TGID_Y_EN: 0
; COMPUTE_PGM_RSRC2:TGID_Z_EN: 0
; COMPUTE_PGM_RSRC2:TIDIG_COMP_CNT: 0
	.section	.text._ZN4vllm31rms_norm_per_block_quant_kernelIfN3c1013Float8_e4m3fnELb0ELb1ELi128EEEvPT0_PfPKT_S8_PKffiiPS6_l,"axG",@progbits,_ZN4vllm31rms_norm_per_block_quant_kernelIfN3c1013Float8_e4m3fnELb0ELb1ELi128EEEvPT0_PfPKT_S8_PKffiiPS6_l,comdat
	.protected	_ZN4vllm31rms_norm_per_block_quant_kernelIfN3c1013Float8_e4m3fnELb0ELb1ELi128EEEvPT0_PfPKT_S8_PKffiiPS6_l ; -- Begin function _ZN4vllm31rms_norm_per_block_quant_kernelIfN3c1013Float8_e4m3fnELb0ELb1ELi128EEEvPT0_PfPKT_S8_PKffiiPS6_l
	.globl	_ZN4vllm31rms_norm_per_block_quant_kernelIfN3c1013Float8_e4m3fnELb0ELb1ELi128EEEvPT0_PfPKT_S8_PKffiiPS6_l
	.p2align	8
	.type	_ZN4vllm31rms_norm_per_block_quant_kernelIfN3c1013Float8_e4m3fnELb0ELb1ELi128EEEvPT0_PfPKT_S8_PKffiiPS6_l,@function
_ZN4vllm31rms_norm_per_block_quant_kernelIfN3c1013Float8_e4m3fnELb0ELb1ELi128EEEvPT0_PfPKT_S8_PKffiiPS6_l: ; @_ZN4vllm31rms_norm_per_block_quant_kernelIfN3c1013Float8_e4m3fnELb0ELb1ELi128EEEvPT0_PfPKT_S8_PKffiiPS6_l
; %bb.0:
	s_mov_b32 s16, s15
	s_clause 0x2
	s_load_b128 s[12:15], s[0:1], 0x28
	s_load_b256 s[4:11], s[0:1], 0x0
	s_load_b32 s29, s[0:1], 0x48
	v_mov_b32_e32 v6, 0
	s_mov_b32 s17, 0
	s_waitcnt lgkmcnt(0)
	s_ashr_i32 s2, s14, 31
	s_mul_hi_u32 s3, s14, s16
	s_mul_i32 s15, s2, s16
	s_mul_i32 s2, s14, s16
	s_add_i32 s3, s3, s15
	s_mov_b32 s14, s13
	s_lshl_b64 s[2:3], s[2:3], 2
	s_delay_alu instid0(SALU_CYCLE_1)
	s_add_u32 s26, s8, s2
	s_addc_u32 s27, s9, s3
	s_ashr_i32 s8, s13, 2
	s_add_u32 s18, s0, 0x48
	v_cmp_gt_u32_e64 s2, s8, v0
	s_addc_u32 s19, s1, 0
	s_delay_alu instid0(VALU_DEP_1)
	s_and_saveexec_b32 s3, s2
	s_cbranch_execz .LBB24_10
; %bb.1:
	s_cmp_lt_u32 s16, s29
	v_mov_b32_e32 v2, 0
	s_cselect_b32 s9, 12, 18
                                        ; implicit-def: $sgpr15
	v_mov_b32_e32 v1, v0
	s_add_u32 s20, s18, s9
	s_addc_u32 s21, s19, 0
	s_mov_b32 s9, s17
	global_load_u16 v7, v2, s[20:21]
	s_waitcnt vmcnt(0)
	v_lshlrev_b32_e32 v9, 1, v7
	v_mul_lo_u32 v8, v7, 3
	v_add_nc_u32_e32 v10, v7, v7
	v_mov_b32_e32 v6, v2
	s_branch .LBB24_5
.LBB24_2:                               ;   in Loop: Header=BB24_5 Depth=1
	s_or_b32 exec_lo, exec_lo, s22
	s_delay_alu instid0(SALU_CYCLE_1)
	s_or_not1_b32 s22, s23, exec_lo
.LBB24_3:                               ;   in Loop: Header=BB24_5 Depth=1
	s_or_b32 exec_lo, exec_lo, s21
	s_delay_alu instid0(SALU_CYCLE_1) | instskip(SKIP_1) | instid1(SALU_CYCLE_1)
	s_and_not1_b32 s15, s15, exec_lo
	s_and_b32 s21, s22, exec_lo
	s_or_b32 s15, s15, s21
.LBB24_4:                               ;   in Loop: Header=BB24_5 Depth=1
	s_or_b32 exec_lo, exec_lo, s20
	s_delay_alu instid0(SALU_CYCLE_1) | instskip(NEXT) | instid1(SALU_CYCLE_1)
	s_and_b32 s20, exec_lo, s15
	s_or_b32 s9, s20, s9
	s_delay_alu instid0(SALU_CYCLE_1)
	s_and_not1_b32 exec_lo, exec_lo, s9
	s_cbranch_execz .LBB24_9
.LBB24_5:                               ; =>This Inner Loop Header: Depth=1
	v_lshlrev_b64 v[3:4], 4, v[1:2]
	s_or_b32 s15, s15, exec_lo
	s_mov_b32 s20, exec_lo
	s_delay_alu instid0(VALU_DEP_1) | instskip(NEXT) | instid1(VALU_DEP_2)
	v_add_co_u32 v3, vcc_lo, s26, v3
	v_add_co_ci_u32_e32 v4, vcc_lo, s27, v4, vcc_lo
	global_load_b128 v[11:14], v[3:4], off
	v_add_nc_u32_e32 v3, v1, v7
	s_waitcnt vmcnt(0)
	v_fmac_f32_e32 v6, v11, v11
	s_delay_alu instid0(VALU_DEP_1) | instskip(NEXT) | instid1(VALU_DEP_1)
	v_fmac_f32_e32 v6, v12, v12
	v_fmac_f32_e32 v6, v13, v13
	s_delay_alu instid0(VALU_DEP_1)
	v_fmac_f32_e32 v6, v14, v14
	v_cmpx_gt_u32_e64 s8, v3
	s_cbranch_execz .LBB24_4
; %bb.6:                                ;   in Loop: Header=BB24_5 Depth=1
	v_mov_b32_e32 v4, v2
	s_mov_b32 s22, -1
	s_mov_b32 s21, exec_lo
	s_delay_alu instid0(VALU_DEP_1) | instskip(NEXT) | instid1(VALU_DEP_1)
	v_lshlrev_b64 v[4:5], 4, v[3:4]
	v_add_co_u32 v4, vcc_lo, s26, v4
	s_delay_alu instid0(VALU_DEP_2) | instskip(SKIP_4) | instid1(VALU_DEP_1)
	v_add_co_ci_u32_e32 v5, vcc_lo, s27, v5, vcc_lo
	global_load_b128 v[11:14], v[4:5], off
	v_add_nc_u32_e32 v4, v9, v1
	s_waitcnt vmcnt(0)
	v_fmac_f32_e32 v6, v11, v11
	v_fmac_f32_e32 v6, v12, v12
	s_delay_alu instid0(VALU_DEP_1) | instskip(NEXT) | instid1(VALU_DEP_1)
	v_fmac_f32_e32 v6, v13, v13
	v_fmac_f32_e32 v6, v14, v14
	v_cmpx_gt_u32_e64 s8, v4
	s_cbranch_execz .LBB24_3
; %bb.7:                                ;   in Loop: Header=BB24_5 Depth=1
	v_mov_b32_e32 v5, v2
	s_mov_b32 s23, -1
	s_mov_b32 s22, exec_lo
	s_delay_alu instid0(VALU_DEP_1) | instskip(NEXT) | instid1(VALU_DEP_1)
	v_lshlrev_b64 v[4:5], 4, v[4:5]
	v_add_co_u32 v4, vcc_lo, s26, v4
	s_delay_alu instid0(VALU_DEP_2) | instskip(SKIP_3) | instid1(VALU_DEP_1)
	v_add_co_ci_u32_e32 v5, vcc_lo, s27, v5, vcc_lo
	global_load_b128 v[11:14], v[4:5], off
	s_waitcnt vmcnt(0)
	v_fmac_f32_e32 v6, v11, v11
	v_fmac_f32_e32 v6, v12, v12
	s_delay_alu instid0(VALU_DEP_1) | instskip(NEXT) | instid1(VALU_DEP_1)
	v_fmac_f32_e32 v6, v13, v13
	v_dual_fmac_f32 v6, v14, v14 :: v_dual_add_nc_u32 v1, v8, v1
	s_delay_alu instid0(VALU_DEP_1)
	v_cmpx_gt_u32_e64 s8, v1
	s_xor_b32 s22, exec_lo, s22
	s_cbranch_execz .LBB24_2
; %bb.8:                                ;   in Loop: Header=BB24_5 Depth=1
	v_lshlrev_b64 v[4:5], 4, v[1:2]
	v_add3_u32 v1, v10, v7, v3
	s_delay_alu instid0(VALU_DEP_2) | instskip(NEXT) | instid1(VALU_DEP_3)
	v_add_co_u32 v4, vcc_lo, s26, v4
	v_add_co_ci_u32_e32 v5, vcc_lo, s27, v5, vcc_lo
	s_delay_alu instid0(VALU_DEP_3) | instskip(SKIP_4) | instid1(VALU_DEP_1)
	v_cmp_le_u32_e32 vcc_lo, s8, v1
	global_load_b128 v[11:14], v[4:5], off
	s_or_not1_b32 s23, vcc_lo, exec_lo
	s_waitcnt vmcnt(0)
	v_fmac_f32_e32 v6, v11, v11
	v_fmac_f32_e32 v6, v12, v12
	s_delay_alu instid0(VALU_DEP_1) | instskip(NEXT) | instid1(VALU_DEP_1)
	v_fmac_f32_e32 v6, v13, v13
	v_fmac_f32_e32 v6, v14, v14
	s_branch .LBB24_2
.LBB24_9:
	s_or_b32 exec_lo, exec_lo, s9
.LBB24_10:
	s_delay_alu instid0(SALU_CYCLE_1) | instskip(SKIP_4) | instid1(VALU_DEP_2)
	s_or_b32 exec_lo, exec_lo, s3
	v_mbcnt_lo_u32_b32 v1, -1, 0
	s_load_b32 s3, s[18:19], 0xc
	v_and_b32_e32 v7, 0x3e0, v0
	s_mov_b32 s9, exec_lo
	v_cmp_ne_u32_e32 vcc_lo, 31, v1
	v_add_nc_u32_e32 v3, 1, v1
	v_add_co_ci_u32_e32 v2, vcc_lo, 0, v1, vcc_lo
	v_cmp_gt_u32_e32 vcc_lo, 30, v1
	s_delay_alu instid0(VALU_DEP_2)
	v_lshlrev_b32_e32 v2, 2, v2
	v_cndmask_b32_e64 v5, 0, 1, vcc_lo
	ds_bpermute_b32 v4, v2, v6
	s_waitcnt lgkmcnt(0)
	s_and_b32 s3, s3, 0xffff
	v_lshlrev_b32_e32 v5, 1, v5
	v_sub_nc_u32_e64 v12, s3, v7 clamp
	s_delay_alu instid0(VALU_DEP_1) | instskip(SKIP_1) | instid1(VALU_DEP_4)
	v_cmp_lt_u32_e32 vcc_lo, v3, v12
	v_add_f32_e32 v7, v6, v4
	v_add_lshl_u32 v4, v5, v1, 2
	s_delay_alu instid0(VALU_DEP_2) | instskip(SKIP_2) | instid1(VALU_DEP_1)
	v_cndmask_b32_e32 v7, v6, v7, vcc_lo
	v_cmp_gt_u32_e32 vcc_lo, 28, v1
	v_cndmask_b32_e64 v5, 0, 1, vcc_lo
	v_lshlrev_b32_e32 v8, 2, v5
	ds_bpermute_b32 v6, v4, v7
	v_add_nc_u32_e32 v5, 2, v1
	s_delay_alu instid0(VALU_DEP_1) | instskip(SKIP_3) | instid1(VALU_DEP_2)
	v_cmp_lt_u32_e32 vcc_lo, v5, v12
	s_waitcnt lgkmcnt(0)
	v_add_f32_e32 v9, v7, v6
	v_add_lshl_u32 v6, v8, v1, 2
	v_cndmask_b32_e32 v9, v7, v9, vcc_lo
	v_cmp_gt_u32_e32 vcc_lo, 24, v1
	ds_bpermute_b32 v8, v6, v9
	v_cndmask_b32_e64 v7, 0, 1, vcc_lo
	s_delay_alu instid0(VALU_DEP_1) | instskip(SKIP_1) | instid1(VALU_DEP_1)
	v_lshlrev_b32_e32 v10, 3, v7
	v_add_nc_u32_e32 v7, 4, v1
	v_cmp_lt_u32_e32 vcc_lo, v7, v12
	s_waitcnt lgkmcnt(0)
	v_add_f32_e32 v11, v9, v8
	v_add_lshl_u32 v8, v10, v1, 2
	s_delay_alu instid0(VALU_DEP_2) | instskip(SKIP_3) | instid1(VALU_DEP_1)
	v_cndmask_b32_e32 v11, v9, v11, vcc_lo
	v_cmp_gt_u32_e32 vcc_lo, 16, v1
	ds_bpermute_b32 v10, v8, v11
	v_cndmask_b32_e64 v9, 0, 1, vcc_lo
	v_lshlrev_b32_e32 v13, 4, v9
	v_add_nc_u32_e32 v9, 8, v1
	s_delay_alu instid0(VALU_DEP_1) | instskip(SKIP_3) | instid1(VALU_DEP_2)
	v_cmp_lt_u32_e32 vcc_lo, v9, v12
	s_waitcnt lgkmcnt(0)
	v_add_f32_e32 v14, v11, v10
	v_add_lshl_u32 v10, v13, v1, 2
	v_cndmask_b32_e32 v13, v11, v14, vcc_lo
	v_add_nc_u32_e32 v11, 16, v1
	ds_bpermute_b32 v14, v10, v13
	v_cmp_lt_u32_e32 vcc_lo, v11, v12
	s_waitcnt lgkmcnt(0)
	v_add_f32_e32 v14, v13, v14
	s_delay_alu instid0(VALU_DEP_1)
	v_cndmask_b32_e32 v12, v13, v14, vcc_lo
	v_cmpx_eq_u32_e32 0, v1
	s_cbranch_execz .LBB24_12
; %bb.11:
	v_lshrrev_b32_e32 v13, 3, v0
	s_delay_alu instid0(VALU_DEP_1)
	v_and_b32_e32 v13, 0x7c, v13
	ds_store_b32 v13, v12 offset:4096
.LBB24_12:
	s_or_b32 exec_lo, exec_lo, s9
	s_delay_alu instid0(SALU_CYCLE_1)
	s_mov_b32 s9, exec_lo
	s_waitcnt lgkmcnt(0)
	s_barrier
	buffer_gl0_inv
	v_cmpx_gt_u32_e32 32, v0
	s_cbranch_execz .LBB24_14
; %bb.13:
	v_lshlrev_b32_e32 v1, 2, v1
	s_add_i32 s3, s3, 31
	s_delay_alu instid0(SALU_CYCLE_1) | instskip(NEXT) | instid1(SALU_CYCLE_1)
	s_lshr_b32 s3, s3, 5
	v_cmp_gt_u32_e32 vcc_lo, s3, v3
	ds_load_b32 v1, v1 offset:4096
	s_waitcnt lgkmcnt(0)
	ds_bpermute_b32 v2, v2, v1
	s_waitcnt lgkmcnt(0)
	v_add_f32_e32 v2, v1, v2
	s_delay_alu instid0(VALU_DEP_1) | instskip(SKIP_4) | instid1(VALU_DEP_1)
	v_cndmask_b32_e32 v1, v1, v2, vcc_lo
	v_cmp_gt_u32_e32 vcc_lo, s3, v5
	ds_bpermute_b32 v2, v4, v1
	s_waitcnt lgkmcnt(0)
	v_add_f32_e32 v2, v1, v2
	v_cndmask_b32_e32 v1, v1, v2, vcc_lo
	v_cmp_gt_u32_e32 vcc_lo, s3, v7
	ds_bpermute_b32 v2, v6, v1
	s_waitcnt lgkmcnt(0)
	v_add_f32_e32 v2, v1, v2
	s_delay_alu instid0(VALU_DEP_1) | instskip(SKIP_4) | instid1(VALU_DEP_1)
	v_cndmask_b32_e32 v1, v1, v2, vcc_lo
	v_cmp_gt_u32_e32 vcc_lo, s3, v9
	ds_bpermute_b32 v2, v8, v1
	s_waitcnt lgkmcnt(0)
	v_add_f32_e32 v2, v1, v2
	v_cndmask_b32_e32 v1, v1, v2, vcc_lo
	v_cmp_gt_u32_e32 vcc_lo, s3, v11
	ds_bpermute_b32 v2, v10, v1
	s_waitcnt lgkmcnt(0)
	v_add_f32_e32 v2, v1, v2
	s_delay_alu instid0(VALU_DEP_1)
	v_cndmask_b32_e32 v12, v1, v2, vcc_lo
.LBB24_14:
	s_or_b32 exec_lo, exec_lo, s9
	s_delay_alu instid0(SALU_CYCLE_1)
	s_mov_b32 s3, exec_lo
	v_cmpx_eq_u32_e32 0, v0
	s_cbranch_execz .LBB24_16
; %bb.15:
	v_cvt_f32_i32_e32 v1, s13
	s_delay_alu instid0(VALU_DEP_1) | instskip(SKIP_1) | instid1(VALU_DEP_2)
	v_div_scale_f32 v2, null, v1, v1, v12
	v_div_scale_f32 v5, vcc_lo, v12, v1, v12
	v_rcp_f32_e32 v3, v2
	s_waitcnt_depctr 0xfff
	v_fma_f32 v4, -v2, v3, 1.0
	s_delay_alu instid0(VALU_DEP_1) | instskip(NEXT) | instid1(VALU_DEP_1)
	v_fmac_f32_e32 v3, v4, v3
	v_mul_f32_e32 v4, v5, v3
	s_delay_alu instid0(VALU_DEP_1) | instskip(NEXT) | instid1(VALU_DEP_1)
	v_fma_f32 v6, -v2, v4, v5
	v_fmac_f32_e32 v4, v6, v3
	s_delay_alu instid0(VALU_DEP_1) | instskip(NEXT) | instid1(VALU_DEP_1)
	v_fma_f32 v2, -v2, v4, v5
	v_div_fmas_f32 v2, v2, v3, v4
	s_delay_alu instid0(VALU_DEP_1) | instskip(NEXT) | instid1(VALU_DEP_1)
	v_div_fixup_f32 v1, v2, v1, v12
	v_add_f32_e32 v1, s12, v1
	s_delay_alu instid0(VALU_DEP_1) | instskip(SKIP_1) | instid1(VALU_DEP_2)
	v_mul_f32_e32 v2, 0x4b800000, v1
	v_cmp_gt_f32_e32 vcc_lo, 0x800000, v1
	v_cndmask_b32_e32 v1, v1, v2, vcc_lo
	s_delay_alu instid0(VALU_DEP_1) | instskip(SKIP_2) | instid1(VALU_DEP_1)
	v_rsq_f32_e32 v1, v1
	s_waitcnt_depctr 0xfff
	v_mul_f32_e32 v2, 0x45800000, v1
	v_dual_cndmask_b32 v1, v1, v2 :: v_dual_mov_b32 v2, 0
	ds_store_b32 v2, v1 offset:4224
.LBB24_16:
	s_or_b32 exec_lo, exec_lo, s3
	s_ashr_i32 s15, s13, 31
	v_mov_b32_e32 v4, 0
	s_lshr_b32 s3, s15, 25
	s_waitcnt lgkmcnt(0)
	s_add_i32 s3, s13, s3
	s_barrier
	s_ashr_i32 s12, s3, 7
	s_cmp_lt_u32 s16, s29
	buffer_gl0_inv
	s_cselect_b32 s9, 12, 18
	ds_load_b32 v28, v4 offset:4224
	s_add_u32 s18, s18, s9
	s_addc_u32 s19, s19, 0
	s_abs_i32 s9, s12
	global_load_u16 v1, v4, s[18:19]
	v_cvt_f32_u32_e32 v2, s9
	s_sub_i32 s18, 0, s9
	s_ashr_i32 s3, s3, 31
	s_delay_alu instid0(VALU_DEP_1) | instskip(SKIP_2) | instid1(VALU_DEP_1)
	v_rcp_iflag_f32_e32 v2, v2
	s_waitcnt_depctr 0xfff
	v_mul_f32_e32 v2, 0x4f7ffffe, v2
	v_cvt_u32_f32_e32 v2, v2
	s_delay_alu instid0(VALU_DEP_1) | instskip(NEXT) | instid1(VALU_DEP_1)
	v_readfirstlane_b32 s13, v2
	s_mul_i32 s18, s18, s13
	s_delay_alu instid0(SALU_CYCLE_1) | instskip(NEXT) | instid1(SALU_CYCLE_1)
	s_mul_hi_u32 s18, s13, s18
	s_add_i32 s13, s13, s18
	s_waitcnt vmcnt(0)
	v_readfirstlane_b32 s28, v1
	s_delay_alu instid0(VALU_DEP_1) | instskip(NEXT) | instid1(SALU_CYCLE_1)
	s_mul_hi_u32 s13, s28, s13
	s_mul_i32 s18, s13, s9
	s_add_i32 s19, s13, 1
	s_sub_i32 s18, s28, s18
	s_delay_alu instid0(SALU_CYCLE_1)
	s_sub_i32 s20, s18, s9
	s_cmp_ge_u32 s18, s9
	s_cselect_b32 s13, s19, s13
	s_cselect_b32 s18, s20, s18
	s_add_i32 s19, s13, 1
	s_cmp_ge_u32 s18, s9
	s_cselect_b32 s9, s19, s13
	s_delay_alu instid0(SALU_CYCLE_1) | instskip(NEXT) | instid1(SALU_CYCLE_1)
	s_xor_b32 s9, s9, s3
	s_sub_i32 s18, s9, s3
	s_delay_alu instid0(SALU_CYCLE_1) | instskip(SKIP_3) | instid1(VALU_DEP_1)
	s_abs_i32 s3, s18
	s_ashr_i32 s19, s18, 31
	v_cvt_f32_u32_e32 v1, s3
	s_sub_i32 s9, 0, s3
	v_rcp_iflag_f32_e32 v1, v1
	s_waitcnt_depctr 0xfff
	v_mul_f32_e32 v1, 0x4f7ffffe, v1
	s_delay_alu instid0(VALU_DEP_1) | instskip(NEXT) | instid1(VALU_DEP_1)
	v_cvt_u32_f32_e32 v1, v1
	v_mul_lo_u32 v2, s9, v1
	s_ashr_i32 s9, s8, 31
	s_delay_alu instid0(VALU_DEP_1) | instskip(NEXT) | instid1(VALU_DEP_1)
	v_mul_hi_u32 v2, v1, v2
	v_add_nc_u32_e32 v1, v1, v2
	s_delay_alu instid0(VALU_DEP_1) | instskip(NEXT) | instid1(VALU_DEP_1)
	v_mul_hi_u32 v1, v0, v1
	v_mul_lo_u32 v2, v1, s3
	v_add_nc_u32_e32 v3, 1, v1
	s_delay_alu instid0(VALU_DEP_2) | instskip(NEXT) | instid1(VALU_DEP_1)
	v_sub_nc_u32_e32 v2, v0, v2
	v_subrev_nc_u32_e32 v5, s3, v2
	v_cmp_le_u32_e32 vcc_lo, s3, v2
	s_delay_alu instid0(VALU_DEP_2) | instskip(NEXT) | instid1(VALU_DEP_1)
	v_dual_cndmask_b32 v2, v2, v5 :: v_dual_cndmask_b32 v1, v1, v3
	v_cmp_le_u32_e32 vcc_lo, s3, v2
	s_delay_alu instid0(VALU_DEP_2) | instskip(NEXT) | instid1(VALU_DEP_1)
	v_add_nc_u32_e32 v3, 1, v1
	v_cndmask_b32_e32 v1, v1, v3, vcc_lo
	s_delay_alu instid0(VALU_DEP_1) | instskip(NEXT) | instid1(VALU_DEP_1)
	v_xor_b32_e32 v1, s19, v1
	v_subrev_nc_u32_e32 v1, s19, v1
	s_delay_alu instid0(VALU_DEP_1) | instskip(SKIP_1) | instid1(VALU_DEP_2)
	v_ashrrev_i32_e32 v2, 31, v1
	v_mul_lo_u32 v3, v1, s18
	v_lshlrev_b64 v[7:8], 5, v[1:2]
	s_delay_alu instid0(VALU_DEP_2) | instskip(NEXT) | instid1(VALU_DEP_2)
	v_sub_nc_u32_e32 v3, v0, v3
	v_add_co_u32 v5, vcc_lo, v7, 32
	s_delay_alu instid0(VALU_DEP_3) | instskip(NEXT) | instid1(VALU_DEP_1)
	v_add_co_ci_u32_e32 v6, vcc_lo, 0, v8, vcc_lo
	v_cmp_gt_i64_e32 vcc_lo, s[8:9], v[5:6]
	v_cndmask_b32_e32 v6, s9, v6, vcc_lo
	v_cndmask_b32_e32 v5, s8, v5, vcc_lo
	v_add_co_u32 v7, vcc_lo, v7, v3
	v_add_co_ci_u32_e32 v8, vcc_lo, 0, v8, vcc_lo
	s_delay_alu instid0(VALU_DEP_3) | instskip(SKIP_2) | instid1(VALU_DEP_1)
	v_ashrrev_i32_e32 v10, 31, v5
	v_mov_b32_e32 v9, v5
	s_mov_b32 s9, exec_lo
	v_cmpx_lt_i64_e64 v[7:8], v[9:10]
	s_cbranch_execz .LBB24_26
; %bb.17:
	v_lshlrev_b64 v[11:12], 9, v[1:2]
	v_lshlrev_b64 v[13:14], 4, v[3:4]
	v_mov_b32_e32 v4, 0
	s_lshl_b64 s[20:21], s[18:19], 6
	s_mul_hi_i32 s13, s18, 3
	s_mul_i32 s30, s18, 3
	s_lshl_b64 s[22:23], s[18:19], 1
	v_add_co_u32 v19, vcc_lo, v11, v13
	v_add_co_ci_u32_e32 v20, vcc_lo, v12, v14, vcc_lo
	v_dual_mov_b32 v12, v8 :: v_dual_mov_b32 v11, v7
	s_lshl_b64 s[24:25], s[18:19], 4
	s_mov_b32 s31, 0
                                        ; implicit-def: $sgpr33
	s_branch .LBB24_21
.LBB24_18:                              ;   in Loop: Header=BB24_21 Depth=1
	s_or_b32 exec_lo, exec_lo, s36
	s_delay_alu instid0(SALU_CYCLE_1)
	s_or_not1_b32 s3, s3, exec_lo
.LBB24_19:                              ;   in Loop: Header=BB24_21 Depth=1
	s_or_b32 exec_lo, exec_lo, s35
	s_delay_alu instid0(SALU_CYCLE_1) | instskip(SKIP_1) | instid1(SALU_CYCLE_1)
	s_and_not1_b32 s33, s33, exec_lo
	s_and_b32 s3, s3, exec_lo
	s_or_b32 s33, s33, s3
.LBB24_20:                              ;   in Loop: Header=BB24_21 Depth=1
	s_or_b32 exec_lo, exec_lo, s34
	s_delay_alu instid0(SALU_CYCLE_1) | instskip(NEXT) | instid1(SALU_CYCLE_1)
	s_and_b32 s3, exec_lo, s33
	s_or_b32 s31, s3, s31
	s_delay_alu instid0(SALU_CYCLE_1)
	s_and_not1_b32 exec_lo, exec_lo, s31
	s_cbranch_execz .LBB24_25
.LBB24_21:                              ; =>This Inner Loop Header: Depth=1
	v_add_co_u32 v15, vcc_lo, s26, v19
	v_add_co_ci_u32_e32 v16, vcc_lo, s27, v20, vcc_lo
	v_add_co_u32 v17, vcc_lo, s10, v19
	v_add_co_ci_u32_e32 v18, vcc_lo, s11, v20, vcc_lo
	s_or_b32 s33, s33, exec_lo
	global_load_b128 v[21:24], v[15:16], off
	global_load_b128 v[29:32], v[17:18], off
	s_mov_b32 s34, exec_lo
	s_waitcnt vmcnt(1) lgkmcnt(0)
	v_mul_f32_e32 v14, v28, v22
	v_mul_f32_e32 v13, v28, v21
	;; [unrolled: 1-line block ×3, first 2 shown]
	s_waitcnt vmcnt(0)
	s_delay_alu instid0(VALU_DEP_3) | instskip(NEXT) | instid1(VALU_DEP_2)
	v_dual_mul_f32 v21, v28, v23 :: v_dual_mul_f32 v24, v14, v30
	v_dual_mul_f32 v23, v13, v29 :: v_dual_mul_f32 v22, v22, v32
	s_delay_alu instid0(VALU_DEP_2) | instskip(SKIP_1) | instid1(VALU_DEP_3)
	v_mul_f32_e32 v21, v21, v31
	v_add_co_u32 v13, vcc_lo, v11, s18
	v_max3_f32 v4, v4, |v23|, |v24|
	v_add_co_ci_u32_e32 v14, vcc_lo, s19, v12, vcc_lo
	s_delay_alu instid0(VALU_DEP_2) | instskip(NEXT) | instid1(VALU_DEP_2)
	v_max3_f32 v4, v4, |v21|, |v22|
	v_cmpx_lt_i64_e64 v[13:14], v[9:10]
	s_cbranch_execz .LBB24_20
; %bb.22:                               ;   in Loop: Header=BB24_21 Depth=1
	v_add_co_u32 v15, vcc_lo, v15, s24
	v_add_co_ci_u32_e32 v16, vcc_lo, s25, v16, vcc_lo
	v_add_co_u32 v17, vcc_lo, v17, s24
	v_add_co_ci_u32_e32 v18, vcc_lo, s25, v18, vcc_lo
	s_mov_b32 s3, -1
	global_load_b128 v[21:24], v[15:16], off
	global_load_b128 v[29:32], v[17:18], off
	s_mov_b32 s35, exec_lo
	s_waitcnt vmcnt(1)
	v_mul_f32_e32 v22, v28, v22
	v_mul_f32_e32 v21, v28, v21
	;; [unrolled: 1-line block ×4, first 2 shown]
	s_waitcnt vmcnt(0)
	s_delay_alu instid0(VALU_DEP_3) | instskip(NEXT) | instid1(VALU_DEP_2)
	v_dual_mul_f32 v26, v22, v30 :: v_dual_mul_f32 v25, v21, v29
	v_dual_mul_f32 v23, v23, v31 :: v_dual_mul_f32 v24, v24, v32
	v_add_co_u32 v21, vcc_lo, s22, v11
	s_delay_alu instid0(VALU_DEP_3) | instskip(SKIP_1) | instid1(VALU_DEP_2)
	v_max3_f32 v4, v4, |v25|, |v26|
	v_add_co_ci_u32_e32 v22, vcc_lo, s23, v12, vcc_lo
	v_max3_f32 v4, v4, |v23|, |v24|
	s_delay_alu instid0(VALU_DEP_2)
	v_cmpx_lt_i64_e64 v[21:22], v[9:10]
	s_cbranch_execz .LBB24_19
; %bb.23:                               ;   in Loop: Header=BB24_21 Depth=1
	v_add_co_u32 v15, vcc_lo, v15, s24
	v_add_co_ci_u32_e32 v16, vcc_lo, s25, v16, vcc_lo
	v_add_co_u32 v17, vcc_lo, v17, s24
	v_add_co_ci_u32_e32 v18, vcc_lo, s25, v18, vcc_lo
	v_add_co_u32 v11, vcc_lo, s30, v11
	global_load_b128 v[21:24], v[15:16], off
	global_load_b128 v[29:32], v[17:18], off
	v_add_co_ci_u32_e32 v12, vcc_lo, s13, v12, vcc_lo
	s_delay_alu instid0(VALU_DEP_1)
	v_cmp_lt_i64_e32 vcc_lo, v[11:12], v[9:10]
                                        ; implicit-def: $vgpr11_vgpr12
	s_waitcnt vmcnt(1)
	v_mul_f32_e32 v22, v28, v22
	v_mul_f32_e32 v21, v28, v21
	;; [unrolled: 1-line block ×4, first 2 shown]
	s_waitcnt vmcnt(0)
	s_delay_alu instid0(VALU_DEP_3) | instskip(NEXT) | instid1(VALU_DEP_3)
	v_dual_mul_f32 v22, v22, v30 :: v_dual_mul_f32 v21, v21, v29
	v_mul_f32_e32 v23, v23, v31
	s_delay_alu instid0(VALU_DEP_2) | instskip(SKIP_1) | instid1(VALU_DEP_1)
	v_max3_f32 v4, v4, |v21|, |v22|
	v_mul_f32_e32 v21, v24, v32
	v_max3_f32 v4, v4, |v23|, |v21|
	s_and_saveexec_b32 s36, vcc_lo
	s_delay_alu instid0(SALU_CYCLE_1)
	s_xor_b32 s36, exec_lo, s36
	s_cbranch_execz .LBB24_18
; %bb.24:                               ;   in Loop: Header=BB24_21 Depth=1
	v_add_co_u32 v11, vcc_lo, v15, s24
	v_add_co_ci_u32_e32 v12, vcc_lo, s25, v16, vcc_lo
	v_add_co_u32 v21, vcc_lo, v17, s24
	v_add_co_ci_u32_e32 v22, vcc_lo, s25, v18, vcc_lo
	s_add_u32 s3, s18, s18
	global_load_b128 v[15:18], v[11:12], off
	global_load_b128 v[21:24], v[21:22], off
	s_addc_u32 s37, s19, s19
	s_add_u32 s3, s3, s18
	s_addc_u32 s37, s37, s19
	s_waitcnt vmcnt(1)
	v_mul_f32_e32 v11, v28, v15
	v_mul_f32_e32 v12, v28, v16
	;; [unrolled: 1-line block ×3, first 2 shown]
	s_waitcnt vmcnt(0)
	s_delay_alu instid0(VALU_DEP_3) | instskip(NEXT) | instid1(VALU_DEP_3)
	v_dual_mul_f32 v16, v28, v18 :: v_dual_mul_f32 v17, v11, v21
	v_mul_f32_e32 v18, v12, v22
	v_add_co_u32 v11, vcc_lo, s3, v13
	v_mul_f32_e32 v13, v15, v23
	v_add_co_ci_u32_e32 v12, vcc_lo, s37, v14, vcc_lo
	v_mul_f32_e32 v14, v16, v24
	v_max3_f32 v4, v4, |v17|, |v18|
	v_add_co_u32 v19, s3, v19, s20
	s_delay_alu instid0(VALU_DEP_4) | instskip(SKIP_1) | instid1(VALU_DEP_4)
	v_cmp_ge_i64_e32 vcc_lo, v[11:12], v[9:10]
	v_add_co_ci_u32_e64 v20, s3, s21, v20, s3
	v_max3_f32 v4, v4, |v13|, |v14|
	s_or_not1_b32 s3, vcc_lo, exec_lo
	s_branch .LBB24_18
.LBB24_25:
	s_or_b32 exec_lo, exec_lo, s31
.LBB24_26:
	s_delay_alu instid0(SALU_CYCLE_1)
	s_or_b32 exec_lo, exec_lo, s9
	s_lshr_b32 s9, s28, 5
	v_lshlrev_b32_e32 v29, 2, v0
	v_cvt_f32_u32_e32 v9, s9
	s_sub_i32 s13, 0, s9
	s_add_i32 s20, s12, s9
	s_delay_alu instid0(SALU_CYCLE_1) | instskip(NEXT) | instid1(VALU_DEP_1)
	s_add_i32 s20, s20, -1
	v_rcp_iflag_f32_e32 v9, v9
	s_abs_i32 s21, s20
	s_ashr_i32 s20, s20, 31
	ds_store_b32 v29, v4
	s_waitcnt lgkmcnt(0)
	s_barrier
	buffer_gl0_inv
	v_mul_f32_e32 v9, 0x4f7ffffe, v9
	s_delay_alu instid0(VALU_DEP_1) | instskip(NEXT) | instid1(VALU_DEP_1)
	v_cvt_u32_f32_e32 v9, v9
	v_readfirstlane_b32 s3, v9
	s_delay_alu instid0(VALU_DEP_1) | instskip(NEXT) | instid1(SALU_CYCLE_1)
	s_mul_i32 s13, s13, s3
	s_mul_hi_u32 s13, s3, s13
	s_delay_alu instid0(SALU_CYCLE_1) | instskip(NEXT) | instid1(SALU_CYCLE_1)
	s_add_i32 s3, s3, s13
	s_mul_hi_u32 s3, s21, s3
	s_delay_alu instid0(SALU_CYCLE_1) | instskip(NEXT) | instid1(SALU_CYCLE_1)
	s_mul_i32 s13, s3, s9
	s_sub_i32 s13, s21, s13
	s_add_i32 s21, s3, 1
	s_sub_i32 s22, s13, s9
	s_cmp_ge_u32 s13, s9
	s_cselect_b32 s3, s21, s3
	s_cselect_b32 s13, s22, s13
	s_add_i32 s21, s3, 1
	s_cmp_ge_u32 s13, s9
	s_cselect_b32 s3, s21, s3
	s_delay_alu instid0(SALU_CYCLE_1) | instskip(NEXT) | instid1(SALU_CYCLE_1)
	s_xor_b32 s3, s3, s20
	s_sub_i32 s20, s3, s20
	s_delay_alu instid0(SALU_CYCLE_1) | instskip(NEXT) | instid1(SALU_CYCLE_1)
	s_ashr_i32 s21, s20, 31
	v_cmp_lt_i64_e64 s3, s[20:21], 1
	s_delay_alu instid0(VALU_DEP_1)
	s_and_b32 vcc_lo, exec_lo, s3
	s_cbranch_vccnz .LBB24_46
; %bb.27:
	v_lshrrev_b32_e32 v9, 5, v0
	v_and_b32_e32 v4, 31, v0
	s_ashr_i32 s13, s12, 31
	s_mov_b64 s[22:23], 0
	s_mov_b64 s[24:25], src_shared_base
	v_mul_lo_u32 v19, s18, v9
	v_add_co_u32 v11, s3, v4, 16
	s_delay_alu instid0(VALU_DEP_1) | instskip(SKIP_1) | instid1(VALU_DEP_1)
	v_add_co_ci_u32_e64 v12, null, 0, 0, s3
	v_add_co_u32 v13, s3, v4, 8
	v_add_co_ci_u32_e64 v14, null, 0, 0, s3
	v_add_co_u32 v15, s3, v4, 4
	v_dual_mov_b32 v10, 0 :: v_dual_lshlrev_b32 v21, 2, v19
	v_lshlrev_b32_e32 v22, 2, v4
	v_add_co_ci_u32_e64 v16, null, 0, 0, s3
	v_add_co_u32 v17, s3, v4, 2
	s_delay_alu instid0(VALU_DEP_1) | instskip(SKIP_1) | instid1(VALU_DEP_1)
	v_add_co_ci_u32_e64 v18, null, 0, 0, s3
	v_add_co_u32 v19, s3, v4, 1
	v_add_co_ci_u32_e64 v20, null, 0, 0, s3
	v_add3_u32 v30, v21, v22, 0x80
	s_mul_i32 s3, s18, s9
	s_delay_alu instid0(SALU_CYCLE_1)
	s_lshl_b32 s30, s3, 2
	s_branch .LBB24_30
.LBB24_28:                              ;   in Loop: Header=BB24_30 Depth=1
	s_or_b32 exec_lo, exec_lo, s3
	v_mov_b32_e32 v22, s25
	flat_load_b32 v21, v[21:22] glc dlc
	s_waitcnt vmcnt(0)
.LBB24_29:                              ;   in Loop: Header=BB24_30 Depth=1
	s_or_b32 exec_lo, exec_lo, s24
	s_add_u32 s22, s22, 1
	v_add_nc_u32_e32 v30, s30, v30
	s_addc_u32 s23, s23, 0
	s_delay_alu instid0(SALU_CYCLE_1)
	s_cmp_eq_u64 s[22:23], s[20:21]
	s_cbranch_scc1 .LBB24_46
.LBB24_30:                              ; =>This Loop Header: Depth=1
                                        ;     Child Loop BB24_33 Depth 2
	s_waitcnt lgkmcnt(0)
	v_mad_u64_u32 v[21:22], null, s22, s9, v[9:10]
	s_mov_b32 s24, exec_lo
	s_delay_alu instid0(VALU_DEP_1) | instskip(NEXT) | instid1(VALU_DEP_1)
	v_mad_u64_u32 v[23:24], null, s23, s9, v[22:23]
	v_mov_b32_e32 v22, v23
	s_delay_alu instid0(VALU_DEP_1)
	v_cmpx_gt_i64_e64 s[12:13], v[21:22]
	s_cbranch_execz .LBB24_29
; %bb.31:                               ;   in Loop: Header=BB24_30 Depth=1
	v_mul_lo_u32 v24, v22, s18
	v_mul_lo_u32 v25, v21, s19
	v_mad_u64_u32 v[22:23], null, v21, s18, 0
	s_delay_alu instid0(VALU_DEP_1) | instskip(NEXT) | instid1(VALU_DEP_2)
	v_add3_u32 v23, v23, v25, v24
	v_add_co_u32 v24, vcc_lo, v22, s18
	v_add_co_u32 v31, s3, v22, v4
	s_delay_alu instid0(VALU_DEP_3) | instskip(SKIP_2) | instid1(VALU_DEP_2)
	v_add_co_ci_u32_e32 v25, vcc_lo, s19, v23, vcc_lo
	v_add_co_ci_u32_e64 v21, s3, 0, v23, s3
	s_mov_b32 s3, exec_lo
	v_cmp_gt_i64_e32 vcc_lo, s[14:15], v[24:25]
	v_cndmask_b32_e32 v25, s15, v25, vcc_lo
	v_cndmask_b32_e32 v24, s14, v24, vcc_lo
	v_add_co_u32 v26, vcc_lo, v31, 32
	v_add_co_ci_u32_e32 v27, vcc_lo, 0, v21, vcc_lo
	v_lshlrev_b32_e32 v21, 2, v31
	s_delay_alu instid0(VALU_DEP_2)
	v_cmpx_lt_i64_e64 v[26:27], v[24:25]
	s_cbranch_execz .LBB24_34
; %bb.32:                               ;   in Loop: Header=BB24_30 Depth=1
	ds_load_b32 v33, v21
	v_mov_b32_e32 v32, v30
	s_mov_b32 s31, 0
.LBB24_33:                              ;   Parent Loop BB24_30 Depth=1
                                        ; =>  This Inner Loop Header: Depth=2
	ds_load_b32 v34, v32
	v_add_co_u32 v26, vcc_lo, v26, 32
	v_add_co_ci_u32_e32 v27, vcc_lo, 0, v27, vcc_lo
	s_waitcnt lgkmcnt(1)
	v_dual_max_f32 v33, v33, v33 :: v_dual_add_nc_u32 v32, 0x80, v32
	s_delay_alu instid0(VALU_DEP_2) | instskip(SKIP_3) | instid1(VALU_DEP_1)
	v_cmp_ge_i64_e32 vcc_lo, v[26:27], v[24:25]
	s_or_b32 s31, vcc_lo, s31
	s_waitcnt lgkmcnt(0)
	v_max_f32_e32 v34, v34, v34
	v_max_f32_e32 v33, v33, v34
	ds_store_b32 v21, v33
	s_and_not1_b32 exec_lo, exec_lo, s31
	s_cbranch_execnz .LBB24_33
.LBB24_34:                              ;   in Loop: Header=BB24_30 Depth=1
	s_or_b32 exec_lo, exec_lo, s3
	v_sub_co_u32 v22, vcc_lo, v24, v22
	v_sub_co_ci_u32_e32 v23, vcc_lo, v25, v23, vcc_lo
	s_mov_b32 s3, exec_lo
	s_delay_alu instid0(VALU_DEP_1) | instskip(SKIP_1) | instid1(VALU_DEP_1)
	v_cmp_gt_i64_e32 vcc_lo, 32, v[22:23]
	v_dual_cndmask_b32 v24, 0, v23 :: v_dual_cndmask_b32 v23, 32, v22
	v_cmpx_lt_i64_e64 v[11:12], v[23:24]
	s_cbranch_execz .LBB24_36
; %bb.35:                               ;   in Loop: Header=BB24_30 Depth=1
	v_dual_mov_b32 v22, s25 :: v_dual_add_nc_u32 v25, 64, v21
	v_mov_b32_e32 v26, s25
	flat_load_b32 v27, v[21:22] glc dlc
	s_waitcnt vmcnt(0)
	flat_load_b32 v25, v[25:26] glc dlc
	s_waitcnt vmcnt(0) lgkmcnt(0)
	v_dual_max_f32 v26, v27, v27 :: v_dual_max_f32 v25, v25, v25
	s_delay_alu instid0(VALU_DEP_1)
	v_max_f32_e32 v25, v26, v25
	flat_store_b32 v[21:22], v25 dlc
	s_waitcnt_vscnt null, 0x0
.LBB24_36:                              ;   in Loop: Header=BB24_30 Depth=1
	s_or_b32 exec_lo, exec_lo, s3
	s_delay_alu instid0(SALU_CYCLE_1)
	s_mov_b32 s3, exec_lo
	v_cmpx_lt_i64_e64 v[13:14], v[23:24]
	s_cbranch_execz .LBB24_38
; %bb.37:                               ;   in Loop: Header=BB24_30 Depth=1
	v_dual_mov_b32 v22, s25 :: v_dual_add_nc_u32 v25, 32, v21
	v_mov_b32_e32 v26, s25
	flat_load_b32 v27, v[21:22] glc dlc
	s_waitcnt vmcnt(0)
	flat_load_b32 v25, v[25:26] glc dlc
	s_waitcnt vmcnt(0) lgkmcnt(0)
	v_dual_max_f32 v26, v27, v27 :: v_dual_max_f32 v25, v25, v25
	s_delay_alu instid0(VALU_DEP_1)
	v_max_f32_e32 v25, v26, v25
	flat_store_b32 v[21:22], v25 dlc
	s_waitcnt_vscnt null, 0x0
.LBB24_38:                              ;   in Loop: Header=BB24_30 Depth=1
	s_or_b32 exec_lo, exec_lo, s3
	s_delay_alu instid0(SALU_CYCLE_1)
	s_mov_b32 s3, exec_lo
	v_cmpx_ge_i64_e64 v[15:16], v[23:24]
	s_xor_b32 s3, exec_lo, s3
; %bb.39:                               ;   in Loop: Header=BB24_30 Depth=1
                                        ; implicit-def: $vgpr21
; %bb.40:                               ;   in Loop: Header=BB24_30 Depth=1
	s_delay_alu instid0(SALU_CYCLE_1)
	s_and_not1_saveexec_b32 s3, s3
	s_cbranch_execz .LBB24_42
; %bb.41:                               ;   in Loop: Header=BB24_30 Depth=1
	v_dual_mov_b32 v22, s25 :: v_dual_add_nc_u32 v25, 16, v21
	v_mov_b32_e32 v26, s25
	flat_load_b32 v27, v[21:22] glc dlc
	s_waitcnt vmcnt(0)
	flat_load_b32 v25, v[25:26] glc dlc
	s_waitcnt vmcnt(0) lgkmcnt(0)
	v_dual_max_f32 v26, v27, v27 :: v_dual_max_f32 v25, v25, v25
	s_delay_alu instid0(VALU_DEP_1)
	v_max_f32_e32 v25, v26, v25
	flat_store_b32 v[21:22], v25 dlc
	s_waitcnt_vscnt null, 0x0
.LBB24_42:                              ;   in Loop: Header=BB24_30 Depth=1
	s_or_b32 exec_lo, exec_lo, s3
	v_lshlrev_b32_e32 v21, 2, v31
	s_mov_b32 s3, exec_lo
	v_cmpx_lt_i64_e64 v[17:18], v[23:24]
	s_cbranch_execz .LBB24_44
; %bb.43:                               ;   in Loop: Header=BB24_30 Depth=1
	s_delay_alu instid0(VALU_DEP_2)
	v_dual_mov_b32 v22, s25 :: v_dual_add_nc_u32 v25, 8, v21
	v_mov_b32_e32 v26, s25
	flat_load_b32 v27, v[21:22] glc dlc
	s_waitcnt vmcnt(0)
	flat_load_b32 v25, v[25:26] glc dlc
	s_waitcnt vmcnt(0) lgkmcnt(0)
	v_dual_max_f32 v26, v27, v27 :: v_dual_max_f32 v25, v25, v25
	s_delay_alu instid0(VALU_DEP_1)
	v_max_f32_e32 v25, v26, v25
	flat_store_b32 v[21:22], v25 dlc
	s_waitcnt_vscnt null, 0x0
.LBB24_44:                              ;   in Loop: Header=BB24_30 Depth=1
	s_or_b32 exec_lo, exec_lo, s3
	s_delay_alu instid0(SALU_CYCLE_1)
	s_mov_b32 s3, exec_lo
	v_cmpx_lt_i64_e64 v[19:20], v[23:24]
	s_cbranch_execz .LBB24_28
; %bb.45:                               ;   in Loop: Header=BB24_30 Depth=1
	v_dual_mov_b32 v22, s25 :: v_dual_add_nc_u32 v23, 4, v21
	v_mov_b32_e32 v24, s25
	flat_load_b32 v25, v[21:22] glc dlc
	s_waitcnt vmcnt(0)
	flat_load_b32 v23, v[23:24] glc dlc
	s_waitcnt vmcnt(0) lgkmcnt(0)
	v_dual_max_f32 v24, v25, v25 :: v_dual_max_f32 v23, v23, v23
	s_delay_alu instid0(VALU_DEP_1)
	v_max_f32_e32 v23, v24, v23
	flat_store_b32 v[21:22], v23 dlc
	s_waitcnt_vscnt null, 0x0
	s_branch .LBB24_28
.LBB24_46:
	s_load_b64 s[12:13], s[0:1], 0x40
	v_cmp_lt_i64_e32 vcc_lo, v[7:8], v[5:6]
	v_cmp_eq_u32_e64 s3, 0, v3
	s_waitcnt lgkmcnt(0)
	s_barrier
	buffer_gl0_inv
	s_and_b32 s9, s3, vcc_lo
	s_delay_alu instid0(SALU_CYCLE_1)
	s_and_saveexec_b32 s3, s9
	s_cbranch_execz .LBB24_53
; %bb.47:
	s_load_b64 s[0:1], s[0:1], 0x20
	ds_load_b32 v5, v29
	s_waitcnt lgkmcnt(0)
	s_cmp_eq_u64 s[0:1], 0
	s_cbranch_scc1 .LBB24_49
; %bb.48:
	s_load_b32 s0, s[0:1], 0x0
	v_max_f32_e32 v3, v5, v5
	s_waitcnt lgkmcnt(0)
	v_max_f32_e64 v4, s0, s0
	s_delay_alu instid0(VALU_DEP_1)
	v_min_f32_e32 v5, v3, v4
.LBB24_49:
	s_add_u32 s0, s12, s29
	s_addc_u32 s1, s13, 0
	s_add_u32 s18, s0, -1
	s_addc_u32 s19, s1, -1
	s_delay_alu instid0(SALU_CYCLE_1) | instskip(SKIP_1) | instid1(SALU_CYCLE_1)
	s_or_b64 s[20:21], s[18:19], s[12:13]
	s_mov_b32 s20, 0
	s_cmp_lg_u64 s[20:21], 0
	s_cbranch_scc0 .LBB24_162
; %bb.50:
	s_ashr_i32 s0, s13, 31
	s_delay_alu instid0(SALU_CYCLE_1) | instskip(SKIP_2) | instid1(SALU_CYCLE_1)
	s_add_u32 s22, s12, s0
	s_mov_b32 s1, s0
	s_addc_u32 s23, s13, s0
	s_xor_b64 s[0:1], s[22:23], s[0:1]
	s_delay_alu instid0(SALU_CYCLE_1) | instskip(SKIP_3) | instid1(VALU_DEP_1)
	v_cvt_f32_u32_e32 v3, s0
	v_cvt_f32_u32_e32 v4, s1
	s_sub_u32 s22, 0, s0
	s_subb_u32 s23, 0, s1
	v_fmamk_f32 v3, v4, 0x4f800000, v3
	s_delay_alu instid0(VALU_DEP_1) | instskip(SKIP_2) | instid1(VALU_DEP_1)
	v_rcp_f32_e32 v3, v3
	s_waitcnt_depctr 0xfff
	v_mul_f32_e32 v3, 0x5f7ffffc, v3
	v_mul_f32_e32 v4, 0x2f800000, v3
	s_delay_alu instid0(VALU_DEP_1) | instskip(NEXT) | instid1(VALU_DEP_1)
	v_trunc_f32_e32 v4, v4
	v_fmamk_f32 v3, v4, 0xcf800000, v3
	v_cvt_u32_f32_e32 v4, v4
	s_delay_alu instid0(VALU_DEP_2) | instskip(NEXT) | instid1(VALU_DEP_2)
	v_cvt_u32_f32_e32 v3, v3
	v_readfirstlane_b32 s9, v4
	s_delay_alu instid0(VALU_DEP_2) | instskip(NEXT) | instid1(VALU_DEP_2)
	v_readfirstlane_b32 s21, v3
	s_mul_i32 s24, s22, s9
	s_delay_alu instid0(VALU_DEP_1)
	s_mul_hi_u32 s30, s22, s21
	s_mul_i32 s25, s23, s21
	s_add_i32 s24, s30, s24
	s_mul_i32 s31, s22, s21
	s_add_i32 s24, s24, s25
	s_mul_hi_u32 s30, s21, s31
	s_mul_hi_u32 s33, s9, s31
	s_mul_i32 s25, s9, s31
	s_mul_hi_u32 s31, s21, s24
	s_mul_i32 s21, s21, s24
	s_mul_hi_u32 s34, s9, s24
	s_add_u32 s21, s30, s21
	s_addc_u32 s30, 0, s31
	s_add_u32 s21, s21, s25
	s_mul_i32 s24, s9, s24
	s_addc_u32 s21, s30, s33
	s_addc_u32 s25, s34, 0
	s_add_u32 s21, s21, s24
	s_addc_u32 s24, 0, s25
	v_add_co_u32 v3, s21, v3, s21
	s_delay_alu instid0(VALU_DEP_1) | instskip(SKIP_1) | instid1(VALU_DEP_1)
	s_cmp_lg_u32 s21, 0
	s_addc_u32 s9, s9, s24
	v_readfirstlane_b32 s21, v3
	s_mul_i32 s24, s22, s9
	s_delay_alu instid0(VALU_DEP_1)
	s_mul_hi_u32 s25, s22, s21
	s_mul_i32 s23, s23, s21
	s_add_i32 s24, s25, s24
	s_mul_i32 s22, s22, s21
	s_add_i32 s24, s24, s23
	s_mul_hi_u32 s25, s9, s22
	s_mul_i32 s30, s9, s22
	s_mul_hi_u32 s22, s21, s22
	s_mul_hi_u32 s31, s21, s24
	s_mul_i32 s21, s21, s24
	s_mul_hi_u32 s23, s9, s24
	s_add_u32 s21, s22, s21
	s_addc_u32 s22, 0, s31
	s_add_u32 s21, s21, s30
	s_mul_i32 s24, s9, s24
	s_addc_u32 s21, s22, s25
	s_addc_u32 s22, s23, 0
	s_add_u32 s21, s21, s24
	s_addc_u32 s22, 0, s22
	v_add_co_u32 v3, s21, v3, s21
	s_delay_alu instid0(VALU_DEP_1) | instskip(SKIP_2) | instid1(VALU_DEP_1)
	s_cmp_lg_u32 s21, 0
	s_addc_u32 s9, s9, s22
	s_ashr_i32 s22, s19, 31
	v_readfirstlane_b32 s21, v3
	s_add_u32 s24, s18, s22
	s_mov_b32 s23, s22
	s_addc_u32 s25, s19, s22
	s_delay_alu instid0(SALU_CYCLE_1) | instskip(NEXT) | instid1(SALU_CYCLE_1)
	s_xor_b64 s[24:25], s[24:25], s[22:23]
	s_mul_i32 s30, s24, s9
	s_mul_hi_u32 s31, s24, s21
	s_mul_hi_u32 s23, s24, s9
	;; [unrolled: 1-line block ×3, first 2 shown]
	s_mul_i32 s21, s25, s21
	s_add_u32 s30, s31, s30
	s_addc_u32 s23, 0, s23
	s_mul_hi_u32 s33, s25, s9
	s_add_u32 s21, s30, s21
	s_mul_i32 s9, s25, s9
	s_addc_u32 s21, s23, s34
	s_addc_u32 s23, s33, 0
	s_add_u32 s9, s21, s9
	s_addc_u32 s21, 0, s23
	s_mul_hi_u32 s23, s0, s9
	s_mul_i32 s21, s0, s21
	s_mul_i32 s30, s1, s9
	;; [unrolled: 1-line block ×3, first 2 shown]
	s_add_i32 s21, s23, s21
	v_sub_co_u32 v3, s9, s24, s9
	s_add_i32 s21, s21, s30
	s_delay_alu instid0(SALU_CYCLE_1) | instskip(SKIP_1) | instid1(VALU_DEP_1)
	s_sub_i32 s23, s25, s21
	s_cmp_lg_u32 s9, 0
	v_sub_co_u32 v4, s24, v3, s0
	s_subb_u32 s23, s23, s1
	s_cmp_lg_u32 s24, 0
	s_subb_u32 s30, s23, 0
	s_delay_alu instid0(VALU_DEP_1)
	v_cmp_le_u32_e32 vcc_lo, s0, v4
	s_cmp_ge_u32 s30, s1
	s_cselect_b32 s31, -1, 0
	s_cmp_eq_u32 s30, s1
	v_cndmask_b32_e64 v6, 0, -1, vcc_lo
	s_cselect_b32 vcc_lo, -1, 0
	s_cmp_lg_u32 s24, 0
	v_sub_co_u32 v7, s24, v4, s0
	s_subb_u32 s23, s23, s1
	s_cmp_lg_u32 s24, 0
	v_cndmask_b32_e32 v6, s31, v6, vcc_lo
	s_subb_u32 s23, s23, 0
	s_cmp_lg_u32 s9, 0
	v_cmp_le_u32_e32 vcc_lo, s0, v3
	s_subb_u32 s9, s25, s21
	s_delay_alu instid0(SALU_CYCLE_1)
	s_cmp_ge_u32 s9, s1
	v_cndmask_b32_e64 v8, 0, -1, vcc_lo
	s_cselect_b32 s21, -1, 0
	s_cmp_eq_u32 s9, s1
	v_cmp_ne_u32_e32 vcc_lo, 0, v6
	v_mov_b32_e32 v6, s23
	s_cselect_b32 s0, -1, 0
	s_delay_alu instid0(SALU_CYCLE_1) | instskip(SKIP_1) | instid1(VALU_DEP_3)
	v_cndmask_b32_e64 v8, s21, v8, s0
	v_cndmask_b32_e32 v4, v4, v7, vcc_lo
	v_cndmask_b32_e32 v6, s30, v6, vcc_lo
	s_delay_alu instid0(VALU_DEP_3) | instskip(NEXT) | instid1(VALU_DEP_3)
	v_cmp_ne_u32_e32 vcc_lo, 0, v8
	v_cndmask_b32_e32 v3, v3, v4, vcc_lo
	s_delay_alu instid0(VALU_DEP_3) | instskip(NEXT) | instid1(VALU_DEP_2)
	v_cndmask_b32_e32 v6, s9, v6, vcc_lo
	v_xor_b32_e32 v3, s22, v3
	s_delay_alu instid0(VALU_DEP_2) | instskip(NEXT) | instid1(VALU_DEP_2)
	v_xor_b32_e32 v4, s22, v6
	v_sub_co_u32 v3, vcc_lo, v3, s22
	s_delay_alu instid0(VALU_DEP_2)
	v_subrev_co_ci_u32_e32 v4, vcc_lo, s22, v4, vcc_lo
	s_and_not1_b32 vcc_lo, exec_lo, s20
	s_cbranch_vccnz .LBB24_52
.LBB24_51:
	v_cvt_f32_u32_e32 v3, s12
	s_sub_i32 s0, 0, s12
	s_delay_alu instid0(VALU_DEP_1) | instskip(SKIP_2) | instid1(VALU_DEP_1)
	v_rcp_iflag_f32_e32 v3, v3
	s_waitcnt_depctr 0xfff
	v_mul_f32_e32 v3, 0x4f7ffffe, v3
	v_cvt_u32_f32_e32 v3, v3
	s_delay_alu instid0(VALU_DEP_1) | instskip(NEXT) | instid1(VALU_DEP_1)
	v_mul_lo_u32 v4, s0, v3
	v_mul_hi_u32 v4, v3, v4
	s_delay_alu instid0(VALU_DEP_1) | instskip(NEXT) | instid1(VALU_DEP_1)
	v_add_nc_u32_e32 v3, v3, v4
	v_mul_hi_u32 v3, s18, v3
	s_delay_alu instid0(VALU_DEP_1) | instskip(NEXT) | instid1(VALU_DEP_1)
	v_mul_lo_u32 v3, v3, s12
	v_sub_nc_u32_e32 v3, s18, v3
	s_delay_alu instid0(VALU_DEP_1) | instskip(SKIP_1) | instid1(VALU_DEP_2)
	v_subrev_nc_u32_e32 v4, s12, v3
	v_cmp_le_u32_e32 vcc_lo, s12, v3
	v_cndmask_b32_e32 v3, v3, v4, vcc_lo
	s_delay_alu instid0(VALU_DEP_1) | instskip(SKIP_1) | instid1(VALU_DEP_2)
	v_subrev_nc_u32_e32 v4, s12, v3
	v_cmp_le_u32_e32 vcc_lo, s12, v3
	v_dual_cndmask_b32 v3, v3, v4 :: v_dual_mov_b32 v4, 0
.LBB24_52:
	v_div_scale_f32 v6, null, 0x43e00000, 0x43e00000, v5
	v_div_scale_f32 v9, vcc_lo, v5, 0x43e00000, v5
	s_delay_alu instid0(VALU_DEP_3) | instskip(NEXT) | instid1(VALU_DEP_3)
	v_sub_co_u32 v10, s0, s18, v3
	v_rcp_f32_e32 v7, v6
	v_sub_co_ci_u32_e64 v3, s0, s19, v4, s0
	s_lshl_b64 s[0:1], s[16:17], 2
	s_delay_alu instid0(SALU_CYCLE_1) | instskip(NEXT) | instid1(VALU_DEP_1)
	s_add_u32 s0, s0, s6
	v_mul_lo_u32 v11, v3, v1
	s_addc_u32 s1, s1, s7
	s_waitcnt_depctr 0xfff
	v_fma_f32 v8, -v6, v7, 1.0
	s_delay_alu instid0(VALU_DEP_1) | instskip(NEXT) | instid1(VALU_DEP_1)
	v_fmac_f32_e32 v7, v8, v7
	v_mul_f32_e32 v8, v9, v7
	s_delay_alu instid0(VALU_DEP_1) | instskip(NEXT) | instid1(VALU_DEP_1)
	v_fma_f32 v4, -v6, v8, v9
	v_fmac_f32_e32 v8, v4, v7
	v_mul_lo_u32 v4, v10, v2
	v_mad_u64_u32 v[2:3], null, v10, v1, 0
	s_delay_alu instid0(VALU_DEP_3) | instskip(NEXT) | instid1(VALU_DEP_2)
	v_fma_f32 v1, -v6, v8, v9
	v_add3_u32 v3, v3, v4, v11
	s_delay_alu instid0(VALU_DEP_2) | instskip(NEXT) | instid1(VALU_DEP_1)
	v_div_fmas_f32 v1, v1, v7, v8
	v_div_fixup_f32 v4, v1, 0x43e00000, v5
	s_delay_alu instid0(VALU_DEP_3) | instskip(NEXT) | instid1(VALU_DEP_2)
	v_lshlrev_b64 v[1:2], 2, v[2:3]
	v_max_f32_e32 v3, 0x36924925, v4
	s_delay_alu instid0(VALU_DEP_2) | instskip(NEXT) | instid1(VALU_DEP_3)
	v_add_co_u32 v1, vcc_lo, s0, v1
	v_add_co_ci_u32_e32 v2, vcc_lo, s1, v2, vcc_lo
	global_store_b32 v[1:2], v3, off
.LBB24_53:
	s_or_b32 exec_lo, exec_lo, s3
	s_waitcnt_vscnt null, 0x0
	s_barrier
	buffer_gl0_inv
	s_and_saveexec_b32 s0, s2
	s_cbranch_execz .LBB24_161
; %bb.54:
	s_add_u32 s0, s12, s29
	s_addc_u32 s1, s13, 0
	s_add_u32 s2, s0, -1
	s_addc_u32 s3, s1, -1
	s_delay_alu instid0(SALU_CYCLE_1) | instskip(SKIP_1) | instid1(SALU_CYCLE_1)
	s_or_b64 s[18:19], s[2:3], s[12:13]
	s_mov_b32 s18, 0
	s_cmp_lg_u64 s[18:19], 0
	s_cbranch_scc0 .LBB24_163
; %bb.55:
	s_ashr_i32 s0, s13, 31
	s_delay_alu instid0(SALU_CYCLE_1) | instskip(SKIP_2) | instid1(SALU_CYCLE_1)
	s_add_u32 s20, s12, s0
	s_mov_b32 s1, s0
	s_addc_u32 s21, s13, s0
	s_xor_b64 s[0:1], s[20:21], s[0:1]
	s_delay_alu instid0(SALU_CYCLE_1) | instskip(SKIP_3) | instid1(VALU_DEP_1)
	v_cvt_f32_u32_e32 v1, s0
	v_cvt_f32_u32_e32 v2, s1
	s_sub_u32 s19, 0, s0
	s_subb_u32 s20, 0, s1
	v_fmamk_f32 v1, v2, 0x4f800000, v1
	s_delay_alu instid0(VALU_DEP_1) | instskip(SKIP_2) | instid1(VALU_DEP_1)
	v_rcp_f32_e32 v1, v1
	s_waitcnt_depctr 0xfff
	v_mul_f32_e32 v1, 0x5f7ffffc, v1
	v_mul_f32_e32 v2, 0x2f800000, v1
	s_delay_alu instid0(VALU_DEP_1) | instskip(NEXT) | instid1(VALU_DEP_1)
	v_trunc_f32_e32 v2, v2
	v_fmamk_f32 v1, v2, 0xcf800000, v1
	v_cvt_u32_f32_e32 v2, v2
	s_delay_alu instid0(VALU_DEP_2) | instskip(NEXT) | instid1(VALU_DEP_2)
	v_cvt_u32_f32_e32 v1, v1
	v_readfirstlane_b32 s9, v2
	s_delay_alu instid0(VALU_DEP_2) | instskip(NEXT) | instid1(VALU_DEP_2)
	v_readfirstlane_b32 s13, v1
	s_mul_i32 s21, s19, s9
	s_delay_alu instid0(VALU_DEP_1)
	s_mul_hi_u32 s23, s19, s13
	s_mul_i32 s22, s20, s13
	s_add_i32 s21, s23, s21
	s_mul_i32 s24, s19, s13
	s_add_i32 s21, s21, s22
	s_mul_hi_u32 s23, s13, s24
	s_mul_hi_u32 s25, s9, s24
	s_mul_i32 s22, s9, s24
	s_mul_hi_u32 s24, s13, s21
	s_mul_i32 s13, s13, s21
	s_mul_hi_u32 s29, s9, s21
	s_add_u32 s13, s23, s13
	s_addc_u32 s23, 0, s24
	s_add_u32 s13, s13, s22
	s_mul_i32 s21, s9, s21
	s_addc_u32 s13, s23, s25
	s_addc_u32 s22, s29, 0
	s_add_u32 s13, s13, s21
	s_addc_u32 s21, 0, s22
	v_add_co_u32 v1, s13, v1, s13
	s_delay_alu instid0(VALU_DEP_1) | instskip(SKIP_1) | instid1(VALU_DEP_1)
	s_cmp_lg_u32 s13, 0
	s_addc_u32 s9, s9, s21
	v_readfirstlane_b32 s13, v1
	s_mul_i32 s21, s19, s9
	s_delay_alu instid0(VALU_DEP_1)
	s_mul_hi_u32 s22, s19, s13
	s_mul_i32 s20, s20, s13
	s_add_i32 s21, s22, s21
	s_mul_i32 s19, s19, s13
	s_add_i32 s21, s21, s20
	s_mul_hi_u32 s22, s9, s19
	s_mul_i32 s23, s9, s19
	s_mul_hi_u32 s19, s13, s19
	s_mul_hi_u32 s24, s13, s21
	s_mul_i32 s13, s13, s21
	s_mul_hi_u32 s20, s9, s21
	s_add_u32 s13, s19, s13
	s_addc_u32 s19, 0, s24
	s_add_u32 s13, s13, s23
	s_mul_i32 s21, s9, s21
	s_addc_u32 s13, s19, s22
	s_addc_u32 s19, s20, 0
	s_add_u32 s13, s13, s21
	s_addc_u32 s19, 0, s19
	v_add_co_u32 v1, s13, v1, s13
	s_delay_alu instid0(VALU_DEP_1) | instskip(SKIP_2) | instid1(VALU_DEP_1)
	s_cmp_lg_u32 s13, 0
	s_addc_u32 s9, s9, s19
	s_ashr_i32 s20, s3, 31
	v_readfirstlane_b32 s13, v1
	s_add_u32 s22, s2, s20
	s_mov_b32 s21, s20
	s_addc_u32 s23, s3, s20
	s_delay_alu instid0(SALU_CYCLE_1) | instskip(NEXT) | instid1(SALU_CYCLE_1)
	s_xor_b64 s[22:23], s[22:23], s[20:21]
	s_mul_i32 s21, s22, s9
	s_mul_hi_u32 s24, s22, s13
	s_mul_hi_u32 s19, s22, s9
	;; [unrolled: 1-line block ×3, first 2 shown]
	s_mul_i32 s13, s23, s13
	s_add_u32 s21, s24, s21
	s_addc_u32 s19, 0, s19
	s_mul_hi_u32 s25, s23, s9
	s_add_u32 s13, s21, s13
	s_mul_i32 s9, s23, s9
	s_addc_u32 s13, s19, s29
	s_addc_u32 s19, s25, 0
	s_add_u32 s9, s13, s9
	s_addc_u32 s13, 0, s19
	s_mul_hi_u32 s19, s0, s9
	s_mul_i32 s13, s0, s13
	s_mul_i32 s21, s1, s9
	;; [unrolled: 1-line block ×3, first 2 shown]
	s_add_i32 s13, s19, s13
	v_sub_co_u32 v1, s9, s22, s9
	s_add_i32 s13, s13, s21
	s_delay_alu instid0(SALU_CYCLE_1) | instskip(SKIP_1) | instid1(VALU_DEP_1)
	s_sub_i32 s19, s23, s13
	s_cmp_lg_u32 s9, 0
	v_sub_co_u32 v2, s21, v1, s0
	s_subb_u32 s19, s19, s1
	s_cmp_lg_u32 s21, 0
	s_subb_u32 s22, s19, 0
	s_delay_alu instid0(VALU_DEP_1)
	v_cmp_le_u32_e32 vcc_lo, s0, v2
	s_cmp_ge_u32 s22, s1
	s_cselect_b32 s24, -1, 0
	s_cmp_eq_u32 s22, s1
	v_cndmask_b32_e64 v3, 0, -1, vcc_lo
	s_cselect_b32 vcc_lo, -1, 0
	s_cmp_lg_u32 s21, 0
	v_sub_co_u32 v4, s21, v2, s0
	s_subb_u32 s19, s19, s1
	s_cmp_lg_u32 s21, 0
	v_cndmask_b32_e32 v3, s24, v3, vcc_lo
	s_subb_u32 s19, s19, 0
	s_cmp_lg_u32 s9, 0
	v_cmp_le_u32_e32 vcc_lo, s0, v1
	s_subb_u32 s9, s23, s13
	s_delay_alu instid0(SALU_CYCLE_1)
	s_cmp_ge_u32 s9, s1
	v_cndmask_b32_e64 v5, 0, -1, vcc_lo
	s_cselect_b32 s13, -1, 0
	s_cmp_eq_u32 s9, s1
	v_cmp_ne_u32_e32 vcc_lo, 0, v3
	v_mov_b32_e32 v3, s19
	s_cselect_b32 s0, -1, 0
	s_delay_alu instid0(SALU_CYCLE_1) | instskip(SKIP_1) | instid1(VALU_DEP_3)
	v_cndmask_b32_e64 v5, s13, v5, s0
	v_cndmask_b32_e32 v2, v2, v4, vcc_lo
	v_cndmask_b32_e32 v3, s22, v3, vcc_lo
	s_delay_alu instid0(VALU_DEP_3) | instskip(NEXT) | instid1(VALU_DEP_3)
	v_cmp_ne_u32_e32 vcc_lo, 0, v5
	v_cndmask_b32_e32 v1, v1, v2, vcc_lo
	s_delay_alu instid0(VALU_DEP_3) | instskip(NEXT) | instid1(VALU_DEP_2)
	v_cndmask_b32_e32 v3, s9, v3, vcc_lo
	v_xor_b32_e32 v1, s20, v1
	s_delay_alu instid0(VALU_DEP_2) | instskip(NEXT) | instid1(VALU_DEP_2)
	v_xor_b32_e32 v2, s20, v3
	v_sub_co_u32 v1, vcc_lo, v1, s20
	s_delay_alu instid0(VALU_DEP_2)
	v_subrev_co_ci_u32_e32 v2, vcc_lo, s20, v2, vcc_lo
	s_and_not1_b32 vcc_lo, exec_lo, s18
	s_cbranch_vccnz .LBB24_57
.LBB24_56:
	v_cvt_f32_u32_e32 v1, s12
	s_sub_i32 s0, 0, s12
	s_delay_alu instid0(VALU_DEP_1) | instskip(SKIP_2) | instid1(VALU_DEP_1)
	v_rcp_iflag_f32_e32 v1, v1
	s_waitcnt_depctr 0xfff
	v_mul_f32_e32 v1, 0x4f7ffffe, v1
	v_cvt_u32_f32_e32 v1, v1
	s_delay_alu instid0(VALU_DEP_1) | instskip(NEXT) | instid1(VALU_DEP_1)
	v_mul_lo_u32 v2, s0, v1
	v_mul_hi_u32 v2, v1, v2
	s_delay_alu instid0(VALU_DEP_1) | instskip(NEXT) | instid1(VALU_DEP_1)
	v_add_nc_u32_e32 v1, v1, v2
	v_mul_hi_u32 v1, s2, v1
	s_delay_alu instid0(VALU_DEP_1) | instskip(NEXT) | instid1(VALU_DEP_1)
	v_mul_lo_u32 v1, v1, s12
	v_sub_nc_u32_e32 v1, s2, v1
	s_delay_alu instid0(VALU_DEP_1) | instskip(SKIP_1) | instid1(VALU_DEP_2)
	v_subrev_nc_u32_e32 v2, s12, v1
	v_cmp_le_u32_e32 vcc_lo, s12, v1
	v_cndmask_b32_e32 v1, v1, v2, vcc_lo
	s_delay_alu instid0(VALU_DEP_1) | instskip(SKIP_1) | instid1(VALU_DEP_2)
	v_subrev_nc_u32_e32 v2, s12, v1
	v_cmp_le_u32_e32 vcc_lo, s12, v1
	v_dual_cndmask_b32 v1, v1, v2 :: v_dual_mov_b32 v2, 0
.LBB24_57:
	s_mul_i32 s0, s15, s16
	s_mul_hi_u32 s1, s14, s16
	s_mul_i32 s9, s14, s16
	s_add_i32 s1, s1, s0
	v_sub_co_u32 v13, vcc_lo, s2, v1
	s_add_u32 s0, s4, s9
	s_addc_u32 s1, s5, s1
	s_lshl_b64 s[4:5], s[16:17], 2
	v_sub_co_ci_u32_e32 v14, vcc_lo, s3, v2, vcc_lo
	v_mov_b32_e32 v1, 0
	s_add_u32 s4, s6, s4
	s_addc_u32 s5, s7, s5
	s_mul_i32 s2, s28, 3
	s_lshl_b32 s3, s28, 1
	s_mov_b32 s6, 0
	s_mov_b32 s7, 0x43e00000
	s_add_i32 s9, s28, s28
	s_branch .LBB24_63
.LBB24_58:                              ;   in Loop: Header=BB24_63 Depth=1
	s_or_b32 exec_lo, exec_lo, s16
.LBB24_59:                              ;   in Loop: Header=BB24_63 Depth=1
	s_delay_alu instid0(SALU_CYCLE_1)
	s_or_b32 exec_lo, exec_lo, s15
	v_lshrrev_b32_e32 v8, 24, v8
	v_lshrrev_b32_e32 v3, 24, v3
	;; [unrolled: 1-line block ×3, first 2 shown]
	v_lshlrev_b32_e32 v4, 24, v4
	v_and_b32_e32 v5, 0x80000000, v5
	v_and_b32_e32 v8, 0x80, v8
	;; [unrolled: 1-line block ×4, first 2 shown]
	s_delay_alu instid0(VALU_DEP_3) | instskip(NEXT) | instid1(VALU_DEP_3)
	v_and_or_b32 v7, 0xff, v7, v8
	v_and_or_b32 v8, 0xff, v2, v3
	v_lshlrev_b64 v[2:3], 2, v[0:1]
	v_add3_u32 v0, s9, s28, v10
	v_and_or_b32 v6, 0x80, v9, v6
	v_lshlrev_b32_e32 v7, 16, v7
	v_lshlrev_b32_e32 v8, 8, v8
	v_add_co_u32 v2, vcc_lo, s0, v2
	s_delay_alu instid0(VALU_DEP_3) | instskip(SKIP_2) | instid1(VALU_DEP_3)
	v_or3_b32 v4, v5, v4, v7
	v_add_co_ci_u32_e32 v3, vcc_lo, s1, v3, vcc_lo
	v_cmp_le_u32_e32 vcc_lo, s8, v0
	v_or3_b32 v4, v4, v8, v6
	s_or_not1_b32 s15, vcc_lo, exec_lo
	global_store_b32 v[2:3], v4, off
.LBB24_60:                              ;   in Loop: Header=BB24_63 Depth=1
	s_or_b32 exec_lo, exec_lo, s14
	s_delay_alu instid0(SALU_CYCLE_1)
	s_or_not1_b32 s14, s15, exec_lo
.LBB24_61:                              ;   in Loop: Header=BB24_63 Depth=1
	s_or_b32 exec_lo, exec_lo, s13
	s_delay_alu instid0(SALU_CYCLE_1)
	s_or_not1_b32 s13, s14, exec_lo
.LBB24_62:                              ;   in Loop: Header=BB24_63 Depth=1
	s_or_b32 exec_lo, exec_lo, s12
	s_delay_alu instid0(SALU_CYCLE_1) | instskip(NEXT) | instid1(SALU_CYCLE_1)
	s_and_b32 s12, exec_lo, s13
	s_or_b32 s6, s12, s6
	s_delay_alu instid0(SALU_CYCLE_1)
	s_and_not1_b32 exec_lo, exec_lo, s6
	s_cbranch_execz .LBB24_161
.LBB24_63:                              ; =>This Inner Loop Header: Depth=1
	v_bfe_u32 v8, v0, 5, 25
	v_lshlrev_b64 v[4:5], 4, v[0:1]
	s_mov_b32 s12, exec_lo
	s_delay_alu instid0(VALU_DEP_2) | instskip(NEXT) | instid1(VALU_DEP_1)
	v_mad_u64_u32 v[2:3], null, v13, v8, 0
	v_mad_u64_u32 v[6:7], null, v14, v8, v[3:4]
	v_add_co_u32 v7, vcc_lo, s26, v4
	s_delay_alu instid0(VALU_DEP_4) | instskip(SKIP_1) | instid1(VALU_DEP_4)
	v_add_co_ci_u32_e32 v8, vcc_lo, s27, v5, vcc_lo
	v_add_co_u32 v9, vcc_lo, s10, v4
	v_mov_b32_e32 v3, v6
	v_add_co_ci_u32_e32 v10, vcc_lo, s11, v5, vcc_lo
	s_delay_alu instid0(VALU_DEP_2)
	v_lshlrev_b64 v[11:12], 2, v[2:3]
	global_load_b128 v[2:5], v[7:8], off
	global_load_b128 v[6:9], v[9:10], off
	v_add_co_u32 v10, vcc_lo, s4, v11
	v_add_co_ci_u32_e32 v11, vcc_lo, s5, v12, vcc_lo
	global_load_b32 v11, v[10:11], off
	s_waitcnt vmcnt(2)
	v_mul_f32_e32 v2, v28, v2
	s_waitcnt vmcnt(1)
	s_delay_alu instid0(VALU_DEP_1) | instskip(SKIP_1) | instid1(VALU_DEP_1)
	v_mul_f32_e32 v2, v2, v6
	s_waitcnt vmcnt(0)
	v_div_scale_f32 v6, null, v11, v11, v2
	v_div_scale_f32 v15, vcc_lo, v2, v11, v2
	s_delay_alu instid0(VALU_DEP_2) | instskip(SKIP_2) | instid1(VALU_DEP_1)
	v_rcp_f32_e32 v10, v6
	s_waitcnt_depctr 0xfff
	v_fma_f32 v12, -v6, v10, 1.0
	v_fmac_f32_e32 v10, v12, v10
	s_delay_alu instid0(VALU_DEP_1) | instskip(NEXT) | instid1(VALU_DEP_1)
	v_mul_f32_e32 v12, v15, v10
	v_fma_f32 v16, -v6, v12, v15
	s_delay_alu instid0(VALU_DEP_1) | instskip(NEXT) | instid1(VALU_DEP_1)
	v_fmac_f32_e32 v12, v16, v10
	v_fma_f32 v6, -v6, v12, v15
	s_delay_alu instid0(VALU_DEP_1) | instskip(NEXT) | instid1(VALU_DEP_1)
	v_div_fmas_f32 v6, v6, v10, v12
	v_div_fixup_f32 v2, v6, v11, v2
	v_mov_b32_e32 v6, 0x7f
	s_delay_alu instid0(VALU_DEP_2) | instskip(SKIP_1) | instid1(VALU_DEP_2)
	v_minmax_f32 v10, v2, s7, 0xc3e00000
	v_mov_b32_e32 v2, 0x7f
	v_and_b32_e32 v12, 0x7fffffff, v10
	s_delay_alu instid0(VALU_DEP_1)
	v_cmpx_gt_u32_e32 0x43f00000, v12
	s_cbranch_execz .LBB24_69
; %bb.64:                               ;   in Loop: Header=BB24_63 Depth=1
	s_mov_b32 s13, exec_lo
                                        ; implicit-def: $vgpr6
	v_cmpx_lt_u32_e32 0x3c7fffff, v12
	s_xor_b32 s13, exec_lo, s13
; %bb.65:                               ;   in Loop: Header=BB24_63 Depth=1
	v_bfe_u32 v6, v10, 20, 1
	s_delay_alu instid0(VALU_DEP_1) | instskip(NEXT) | instid1(VALU_DEP_1)
	v_add3_u32 v6, v10, v6, 0x407ffff
	v_lshrrev_b32_e32 v6, 20, v6
; %bb.66:                               ;   in Loop: Header=BB24_63 Depth=1
	s_and_not1_saveexec_b32 s13, s13
; %bb.67:                               ;   in Loop: Header=BB24_63 Depth=1
	v_add_f32_e64 v6, 0x46800000, |v10|
; %bb.68:                               ;   in Loop: Header=BB24_63 Depth=1
	s_or_b32 exec_lo, exec_lo, s13
.LBB24_69:                              ;   in Loop: Header=BB24_63 Depth=1
	s_delay_alu instid0(SALU_CYCLE_1) | instskip(SKIP_2) | instid1(VALU_DEP_1)
	s_or_b32 exec_lo, exec_lo, s12
	v_mul_f32_e32 v3, v28, v3
	s_mov_b32 s12, exec_lo
	v_mul_f32_e32 v3, v3, v7
	s_delay_alu instid0(VALU_DEP_1) | instskip(NEXT) | instid1(VALU_DEP_1)
	v_div_scale_f32 v7, null, v11, v11, v3
	v_rcp_f32_e32 v12, v7
	s_waitcnt_depctr 0xfff
	v_fma_f32 v15, -v7, v12, 1.0
	s_delay_alu instid0(VALU_DEP_1) | instskip(SKIP_1) | instid1(VALU_DEP_1)
	v_fmac_f32_e32 v12, v15, v12
	v_div_scale_f32 v15, vcc_lo, v3, v11, v3
	v_mul_f32_e32 v16, v15, v12
	s_delay_alu instid0(VALU_DEP_1) | instskip(NEXT) | instid1(VALU_DEP_1)
	v_fma_f32 v17, -v7, v16, v15
	v_fmac_f32_e32 v16, v17, v12
	s_delay_alu instid0(VALU_DEP_1) | instskip(NEXT) | instid1(VALU_DEP_1)
	v_fma_f32 v7, -v7, v16, v15
	v_div_fmas_f32 v7, v7, v12, v16
	s_delay_alu instid0(VALU_DEP_1) | instskip(NEXT) | instid1(VALU_DEP_1)
	v_div_fixup_f32 v3, v7, v11, v3
	v_minmax_f32 v3, v3, s7, 0xc3e00000
	s_delay_alu instid0(VALU_DEP_1) | instskip(NEXT) | instid1(VALU_DEP_1)
	v_and_b32_e32 v7, 0x7fffffff, v3
	v_cmpx_gt_u32_e32 0x43f00000, v7
	s_cbranch_execz .LBB24_75
; %bb.70:                               ;   in Loop: Header=BB24_63 Depth=1
	s_mov_b32 s13, exec_lo
                                        ; implicit-def: $vgpr2
	v_cmpx_lt_u32_e32 0x3c7fffff, v7
	s_xor_b32 s13, exec_lo, s13
; %bb.71:                               ;   in Loop: Header=BB24_63 Depth=1
	v_bfe_u32 v2, v3, 20, 1
	s_delay_alu instid0(VALU_DEP_1) | instskip(NEXT) | instid1(VALU_DEP_1)
	v_add3_u32 v2, v3, v2, 0x407ffff
	v_lshrrev_b32_e32 v2, 20, v2
; %bb.72:                               ;   in Loop: Header=BB24_63 Depth=1
	s_and_not1_saveexec_b32 s13, s13
; %bb.73:                               ;   in Loop: Header=BB24_63 Depth=1
	v_add_f32_e64 v2, 0x46800000, |v3|
; %bb.74:                               ;   in Loop: Header=BB24_63 Depth=1
	s_or_b32 exec_lo, exec_lo, s13
.LBB24_75:                              ;   in Loop: Header=BB24_63 Depth=1
	s_delay_alu instid0(SALU_CYCLE_1) | instskip(SKIP_2) | instid1(VALU_DEP_1)
	s_or_b32 exec_lo, exec_lo, s12
	v_mul_f32_e32 v4, v28, v4
	s_mov_b32 s12, exec_lo
	v_mul_f32_e32 v4, v4, v8
	s_delay_alu instid0(VALU_DEP_1) | instskip(SKIP_1) | instid1(VALU_DEP_2)
	v_div_scale_f32 v7, null, v11, v11, v4
	v_div_scale_f32 v15, vcc_lo, v4, v11, v4
	v_rcp_f32_e32 v8, v7
	s_waitcnt_depctr 0xfff
	v_fma_f32 v12, -v7, v8, 1.0
	s_delay_alu instid0(VALU_DEP_1) | instskip(NEXT) | instid1(VALU_DEP_1)
	v_fmac_f32_e32 v8, v12, v8
	v_mul_f32_e32 v12, v15, v8
	s_delay_alu instid0(VALU_DEP_1) | instskip(NEXT) | instid1(VALU_DEP_1)
	v_fma_f32 v16, -v7, v12, v15
	v_fmac_f32_e32 v12, v16, v8
	s_delay_alu instid0(VALU_DEP_1) | instskip(NEXT) | instid1(VALU_DEP_1)
	v_fma_f32 v7, -v7, v12, v15
	v_div_fmas_f32 v7, v7, v8, v12
	s_delay_alu instid0(VALU_DEP_1) | instskip(SKIP_1) | instid1(VALU_DEP_2)
	v_div_fixup_f32 v4, v7, v11, v4
	v_mov_b32_e32 v7, 0x7f
	v_minmax_f32 v8, v4, s7, 0xc3e00000
	v_mov_b32_e32 v4, 0x7f
	s_delay_alu instid0(VALU_DEP_2) | instskip(NEXT) | instid1(VALU_DEP_1)
	v_and_b32_e32 v12, 0x7fffffff, v8
	v_cmpx_gt_u32_e32 0x43f00000, v12
	s_cbranch_execz .LBB24_81
; %bb.76:                               ;   in Loop: Header=BB24_63 Depth=1
	s_mov_b32 s13, exec_lo
                                        ; implicit-def: $vgpr7
	v_cmpx_lt_u32_e32 0x3c7fffff, v12
	s_xor_b32 s13, exec_lo, s13
; %bb.77:                               ;   in Loop: Header=BB24_63 Depth=1
	v_bfe_u32 v7, v8, 20, 1
	s_delay_alu instid0(VALU_DEP_1) | instskip(NEXT) | instid1(VALU_DEP_1)
	v_add3_u32 v7, v8, v7, 0x407ffff
	v_lshrrev_b32_e32 v7, 20, v7
; %bb.78:                               ;   in Loop: Header=BB24_63 Depth=1
	s_and_not1_saveexec_b32 s13, s13
; %bb.79:                               ;   in Loop: Header=BB24_63 Depth=1
	v_add_f32_e64 v7, 0x46800000, |v8|
; %bb.80:                               ;   in Loop: Header=BB24_63 Depth=1
	s_or_b32 exec_lo, exec_lo, s13
.LBB24_81:                              ;   in Loop: Header=BB24_63 Depth=1
	s_delay_alu instid0(SALU_CYCLE_1) | instskip(SKIP_2) | instid1(VALU_DEP_1)
	s_or_b32 exec_lo, exec_lo, s12
	v_mul_f32_e32 v5, v28, v5
	s_mov_b32 s12, exec_lo
	v_mul_f32_e32 v5, v5, v9
	s_delay_alu instid0(VALU_DEP_1) | instskip(NEXT) | instid1(VALU_DEP_1)
	v_div_scale_f32 v9, null, v11, v11, v5
	v_rcp_f32_e32 v12, v9
	s_waitcnt_depctr 0xfff
	v_fma_f32 v15, -v9, v12, 1.0
	s_delay_alu instid0(VALU_DEP_1) | instskip(SKIP_1) | instid1(VALU_DEP_1)
	v_fmac_f32_e32 v12, v15, v12
	v_div_scale_f32 v15, vcc_lo, v5, v11, v5
	v_mul_f32_e32 v16, v15, v12
	s_delay_alu instid0(VALU_DEP_1) | instskip(NEXT) | instid1(VALU_DEP_1)
	v_fma_f32 v17, -v9, v16, v15
	v_fmac_f32_e32 v16, v17, v12
	s_delay_alu instid0(VALU_DEP_1) | instskip(NEXT) | instid1(VALU_DEP_1)
	v_fma_f32 v9, -v9, v16, v15
	v_div_fmas_f32 v9, v9, v12, v16
	s_delay_alu instid0(VALU_DEP_1) | instskip(NEXT) | instid1(VALU_DEP_1)
	v_div_fixup_f32 v5, v9, v11, v5
	v_minmax_f32 v5, v5, s7, 0xc3e00000
	s_delay_alu instid0(VALU_DEP_1) | instskip(NEXT) | instid1(VALU_DEP_1)
	v_and_b32_e32 v9, 0x7fffffff, v5
	v_cmpx_gt_u32_e32 0x43f00000, v9
	s_cbranch_execz .LBB24_87
; %bb.82:                               ;   in Loop: Header=BB24_63 Depth=1
	s_mov_b32 s13, exec_lo
                                        ; implicit-def: $vgpr4
	v_cmpx_lt_u32_e32 0x3c7fffff, v9
	s_xor_b32 s13, exec_lo, s13
; %bb.83:                               ;   in Loop: Header=BB24_63 Depth=1
	v_bfe_u32 v4, v5, 20, 1
	s_delay_alu instid0(VALU_DEP_1) | instskip(NEXT) | instid1(VALU_DEP_1)
	v_add3_u32 v4, v5, v4, 0x407ffff
	v_lshrrev_b32_e32 v4, 20, v4
; %bb.84:                               ;   in Loop: Header=BB24_63 Depth=1
	s_and_not1_saveexec_b32 s13, s13
; %bb.85:                               ;   in Loop: Header=BB24_63 Depth=1
	v_add_f32_e64 v4, 0x46800000, |v5|
; %bb.86:                               ;   in Loop: Header=BB24_63 Depth=1
	s_or_b32 exec_lo, exec_lo, s13
.LBB24_87:                              ;   in Loop: Header=BB24_63 Depth=1
	s_delay_alu instid0(SALU_CYCLE_1)
	s_or_b32 exec_lo, exec_lo, s12
	v_lshrrev_b32_e32 v8, 24, v8
	v_lshrrev_b32_e32 v3, 24, v3
	;; [unrolled: 1-line block ×3, first 2 shown]
	v_lshlrev_b32_e32 v4, 24, v4
	v_and_b32_e32 v5, 0x80000000, v5
	v_and_b32_e32 v8, 0x80, v8
	;; [unrolled: 1-line block ×4, first 2 shown]
	v_add_nc_u32_e32 v10, s28, v0
	s_mov_b32 s13, -1
	v_and_or_b32 v7, 0xff, v7, v8
	v_and_or_b32 v8, 0xff, v2, v3
	v_lshlrev_b64 v[2:3], 2, v[0:1]
	v_and_or_b32 v6, 0x80, v9, v6
	s_mov_b32 s12, exec_lo
	v_lshlrev_b32_e32 v7, 16, v7
	v_lshlrev_b32_e32 v8, 8, v8
	s_delay_alu instid0(VALU_DEP_4) | instskip(NEXT) | instid1(VALU_DEP_3)
	v_add_co_u32 v2, vcc_lo, s0, v2
	v_or3_b32 v4, v5, v4, v7
	v_add_co_ci_u32_e32 v3, vcc_lo, s1, v3, vcc_lo
	s_delay_alu instid0(VALU_DEP_2)
	v_or3_b32 v4, v4, v8, v6
	global_store_b32 v[2:3], v4, off
	v_cmpx_gt_u32_e64 s8, v10
	s_cbranch_execz .LBB24_62
; %bb.88:                               ;   in Loop: Header=BB24_63 Depth=1
	v_bfe_u32 v8, v10, 5, 25
	v_mov_b32_e32 v11, v1
	s_mov_b32 s13, exec_lo
	s_delay_alu instid0(VALU_DEP_2) | instskip(NEXT) | instid1(VALU_DEP_2)
	v_mad_u64_u32 v[2:3], null, v13, v8, 0
	v_lshlrev_b64 v[4:5], 4, v[10:11]
	s_delay_alu instid0(VALU_DEP_1) | instskip(SKIP_1) | instid1(VALU_DEP_3)
	v_mad_u64_u32 v[6:7], null, v14, v8, v[3:4]
	v_add_co_u32 v7, vcc_lo, s26, v4
	v_add_co_ci_u32_e32 v8, vcc_lo, s27, v5, vcc_lo
	v_add_co_u32 v15, vcc_lo, s10, v4
	s_delay_alu instid0(VALU_DEP_4) | instskip(SKIP_1) | instid1(VALU_DEP_2)
	v_mov_b32_e32 v3, v6
	v_add_co_ci_u32_e32 v16, vcc_lo, s11, v5, vcc_lo
	v_lshlrev_b64 v[17:18], 2, v[2:3]
	global_load_b128 v[2:5], v[7:8], off
	global_load_b128 v[6:9], v[15:16], off
	v_add_co_u32 v15, vcc_lo, s4, v17
	v_add_co_ci_u32_e32 v16, vcc_lo, s5, v18, vcc_lo
	global_load_b32 v15, v[15:16], off
	s_waitcnt vmcnt(2)
	v_mul_f32_e32 v2, v28, v2
	s_waitcnt vmcnt(1)
	s_delay_alu instid0(VALU_DEP_1) | instskip(SKIP_1) | instid1(VALU_DEP_1)
	v_mul_f32_e32 v2, v2, v6
	s_waitcnt vmcnt(0)
	v_div_scale_f32 v6, null, v15, v15, v2
	v_div_scale_f32 v17, vcc_lo, v2, v15, v2
	s_delay_alu instid0(VALU_DEP_2) | instskip(SKIP_2) | instid1(VALU_DEP_1)
	v_rcp_f32_e32 v12, v6
	s_waitcnt_depctr 0xfff
	v_fma_f32 v16, -v6, v12, 1.0
	v_fmac_f32_e32 v12, v16, v12
	s_delay_alu instid0(VALU_DEP_1) | instskip(NEXT) | instid1(VALU_DEP_1)
	v_mul_f32_e32 v16, v17, v12
	v_fma_f32 v18, -v6, v16, v17
	s_delay_alu instid0(VALU_DEP_1) | instskip(NEXT) | instid1(VALU_DEP_1)
	v_fmac_f32_e32 v16, v18, v12
	v_fma_f32 v6, -v6, v16, v17
	s_delay_alu instid0(VALU_DEP_1) | instskip(NEXT) | instid1(VALU_DEP_1)
	v_div_fmas_f32 v6, v6, v12, v16
	v_div_fixup_f32 v2, v6, v15, v2
	v_mov_b32_e32 v6, 0x7f
	s_delay_alu instid0(VALU_DEP_2) | instskip(SKIP_1) | instid1(VALU_DEP_2)
	v_minmax_f32 v12, v2, s7, 0xc3e00000
	v_mov_b32_e32 v2, 0x7f
	v_and_b32_e32 v16, 0x7fffffff, v12
	s_delay_alu instid0(VALU_DEP_1)
	v_cmpx_gt_u32_e32 0x43f00000, v16
	s_cbranch_execz .LBB24_94
; %bb.89:                               ;   in Loop: Header=BB24_63 Depth=1
	s_mov_b32 s14, exec_lo
                                        ; implicit-def: $vgpr6
	v_cmpx_lt_u32_e32 0x3c7fffff, v16
	s_xor_b32 s14, exec_lo, s14
; %bb.90:                               ;   in Loop: Header=BB24_63 Depth=1
	v_bfe_u32 v6, v12, 20, 1
	s_delay_alu instid0(VALU_DEP_1) | instskip(NEXT) | instid1(VALU_DEP_1)
	v_add3_u32 v6, v12, v6, 0x407ffff
	v_lshrrev_b32_e32 v6, 20, v6
; %bb.91:                               ;   in Loop: Header=BB24_63 Depth=1
	s_and_not1_saveexec_b32 s14, s14
; %bb.92:                               ;   in Loop: Header=BB24_63 Depth=1
	v_add_f32_e64 v6, 0x46800000, |v12|
; %bb.93:                               ;   in Loop: Header=BB24_63 Depth=1
	s_or_b32 exec_lo, exec_lo, s14
.LBB24_94:                              ;   in Loop: Header=BB24_63 Depth=1
	s_delay_alu instid0(SALU_CYCLE_1) | instskip(SKIP_2) | instid1(VALU_DEP_1)
	s_or_b32 exec_lo, exec_lo, s13
	v_mul_f32_e32 v3, v28, v3
	s_mov_b32 s13, exec_lo
	v_mul_f32_e32 v3, v3, v7
	s_delay_alu instid0(VALU_DEP_1) | instskip(NEXT) | instid1(VALU_DEP_1)
	v_div_scale_f32 v7, null, v15, v15, v3
	v_rcp_f32_e32 v16, v7
	s_waitcnt_depctr 0xfff
	v_fma_f32 v17, -v7, v16, 1.0
	s_delay_alu instid0(VALU_DEP_1) | instskip(SKIP_1) | instid1(VALU_DEP_1)
	v_fmac_f32_e32 v16, v17, v16
	v_div_scale_f32 v17, vcc_lo, v3, v15, v3
	v_mul_f32_e32 v18, v17, v16
	s_delay_alu instid0(VALU_DEP_1) | instskip(NEXT) | instid1(VALU_DEP_1)
	v_fma_f32 v19, -v7, v18, v17
	v_fmac_f32_e32 v18, v19, v16
	s_delay_alu instid0(VALU_DEP_1) | instskip(NEXT) | instid1(VALU_DEP_1)
	v_fma_f32 v7, -v7, v18, v17
	v_div_fmas_f32 v7, v7, v16, v18
	s_delay_alu instid0(VALU_DEP_1) | instskip(NEXT) | instid1(VALU_DEP_1)
	v_div_fixup_f32 v3, v7, v15, v3
	v_minmax_f32 v3, v3, s7, 0xc3e00000
	s_delay_alu instid0(VALU_DEP_1) | instskip(NEXT) | instid1(VALU_DEP_1)
	v_and_b32_e32 v7, 0x7fffffff, v3
	v_cmpx_gt_u32_e32 0x43f00000, v7
	s_cbranch_execz .LBB24_100
; %bb.95:                               ;   in Loop: Header=BB24_63 Depth=1
	s_mov_b32 s14, exec_lo
                                        ; implicit-def: $vgpr2
	v_cmpx_lt_u32_e32 0x3c7fffff, v7
	s_xor_b32 s14, exec_lo, s14
; %bb.96:                               ;   in Loop: Header=BB24_63 Depth=1
	v_bfe_u32 v2, v3, 20, 1
	s_delay_alu instid0(VALU_DEP_1) | instskip(NEXT) | instid1(VALU_DEP_1)
	v_add3_u32 v2, v3, v2, 0x407ffff
	v_lshrrev_b32_e32 v2, 20, v2
; %bb.97:                               ;   in Loop: Header=BB24_63 Depth=1
	s_and_not1_saveexec_b32 s14, s14
; %bb.98:                               ;   in Loop: Header=BB24_63 Depth=1
	v_add_f32_e64 v2, 0x46800000, |v3|
; %bb.99:                               ;   in Loop: Header=BB24_63 Depth=1
	s_or_b32 exec_lo, exec_lo, s14
.LBB24_100:                             ;   in Loop: Header=BB24_63 Depth=1
	s_delay_alu instid0(SALU_CYCLE_1) | instskip(SKIP_2) | instid1(VALU_DEP_1)
	s_or_b32 exec_lo, exec_lo, s13
	v_mul_f32_e32 v4, v28, v4
	s_mov_b32 s13, exec_lo
	v_mul_f32_e32 v4, v4, v8
	s_delay_alu instid0(VALU_DEP_1) | instskip(SKIP_1) | instid1(VALU_DEP_2)
	v_div_scale_f32 v7, null, v15, v15, v4
	v_div_scale_f32 v17, vcc_lo, v4, v15, v4
	v_rcp_f32_e32 v8, v7
	s_waitcnt_depctr 0xfff
	v_fma_f32 v16, -v7, v8, 1.0
	s_delay_alu instid0(VALU_DEP_1) | instskip(NEXT) | instid1(VALU_DEP_1)
	v_fmac_f32_e32 v8, v16, v8
	v_mul_f32_e32 v16, v17, v8
	s_delay_alu instid0(VALU_DEP_1) | instskip(NEXT) | instid1(VALU_DEP_1)
	v_fma_f32 v18, -v7, v16, v17
	v_fmac_f32_e32 v16, v18, v8
	s_delay_alu instid0(VALU_DEP_1) | instskip(NEXT) | instid1(VALU_DEP_1)
	v_fma_f32 v7, -v7, v16, v17
	v_div_fmas_f32 v7, v7, v8, v16
	s_delay_alu instid0(VALU_DEP_1) | instskip(SKIP_1) | instid1(VALU_DEP_2)
	v_div_fixup_f32 v4, v7, v15, v4
	v_mov_b32_e32 v7, 0x7f
	v_minmax_f32 v8, v4, s7, 0xc3e00000
	v_mov_b32_e32 v4, 0x7f
	s_delay_alu instid0(VALU_DEP_2) | instskip(NEXT) | instid1(VALU_DEP_1)
	v_and_b32_e32 v16, 0x7fffffff, v8
	v_cmpx_gt_u32_e32 0x43f00000, v16
	s_cbranch_execz .LBB24_106
; %bb.101:                              ;   in Loop: Header=BB24_63 Depth=1
	s_mov_b32 s14, exec_lo
                                        ; implicit-def: $vgpr7
	v_cmpx_lt_u32_e32 0x3c7fffff, v16
	s_xor_b32 s14, exec_lo, s14
; %bb.102:                              ;   in Loop: Header=BB24_63 Depth=1
	v_bfe_u32 v7, v8, 20, 1
	s_delay_alu instid0(VALU_DEP_1) | instskip(NEXT) | instid1(VALU_DEP_1)
	v_add3_u32 v7, v8, v7, 0x407ffff
	v_lshrrev_b32_e32 v7, 20, v7
; %bb.103:                              ;   in Loop: Header=BB24_63 Depth=1
	s_and_not1_saveexec_b32 s14, s14
; %bb.104:                              ;   in Loop: Header=BB24_63 Depth=1
	v_add_f32_e64 v7, 0x46800000, |v8|
; %bb.105:                              ;   in Loop: Header=BB24_63 Depth=1
	s_or_b32 exec_lo, exec_lo, s14
.LBB24_106:                             ;   in Loop: Header=BB24_63 Depth=1
	s_delay_alu instid0(SALU_CYCLE_1) | instskip(SKIP_2) | instid1(VALU_DEP_1)
	s_or_b32 exec_lo, exec_lo, s13
	v_mul_f32_e32 v5, v28, v5
	s_mov_b32 s13, exec_lo
	v_mul_f32_e32 v5, v5, v9
	s_delay_alu instid0(VALU_DEP_1) | instskip(NEXT) | instid1(VALU_DEP_1)
	v_div_scale_f32 v9, null, v15, v15, v5
	v_rcp_f32_e32 v16, v9
	s_waitcnt_depctr 0xfff
	v_fma_f32 v17, -v9, v16, 1.0
	s_delay_alu instid0(VALU_DEP_1) | instskip(SKIP_1) | instid1(VALU_DEP_1)
	v_fmac_f32_e32 v16, v17, v16
	v_div_scale_f32 v17, vcc_lo, v5, v15, v5
	v_mul_f32_e32 v18, v17, v16
	s_delay_alu instid0(VALU_DEP_1) | instskip(NEXT) | instid1(VALU_DEP_1)
	v_fma_f32 v19, -v9, v18, v17
	v_fmac_f32_e32 v18, v19, v16
	s_delay_alu instid0(VALU_DEP_1) | instskip(NEXT) | instid1(VALU_DEP_1)
	v_fma_f32 v9, -v9, v18, v17
	v_div_fmas_f32 v9, v9, v16, v18
	s_delay_alu instid0(VALU_DEP_1) | instskip(NEXT) | instid1(VALU_DEP_1)
	v_div_fixup_f32 v5, v9, v15, v5
	v_minmax_f32 v5, v5, s7, 0xc3e00000
	s_delay_alu instid0(VALU_DEP_1) | instskip(NEXT) | instid1(VALU_DEP_1)
	v_and_b32_e32 v9, 0x7fffffff, v5
	v_cmpx_gt_u32_e32 0x43f00000, v9
	s_cbranch_execz .LBB24_112
; %bb.107:                              ;   in Loop: Header=BB24_63 Depth=1
	s_mov_b32 s14, exec_lo
                                        ; implicit-def: $vgpr4
	v_cmpx_lt_u32_e32 0x3c7fffff, v9
	s_xor_b32 s14, exec_lo, s14
; %bb.108:                              ;   in Loop: Header=BB24_63 Depth=1
	v_bfe_u32 v4, v5, 20, 1
	s_delay_alu instid0(VALU_DEP_1) | instskip(NEXT) | instid1(VALU_DEP_1)
	v_add3_u32 v4, v5, v4, 0x407ffff
	v_lshrrev_b32_e32 v4, 20, v4
; %bb.109:                              ;   in Loop: Header=BB24_63 Depth=1
	s_and_not1_saveexec_b32 s14, s14
; %bb.110:                              ;   in Loop: Header=BB24_63 Depth=1
	v_add_f32_e64 v4, 0x46800000, |v5|
; %bb.111:                              ;   in Loop: Header=BB24_63 Depth=1
	s_or_b32 exec_lo, exec_lo, s14
.LBB24_112:                             ;   in Loop: Header=BB24_63 Depth=1
	s_delay_alu instid0(SALU_CYCLE_1)
	s_or_b32 exec_lo, exec_lo, s13
	v_lshrrev_b32_e32 v8, 24, v8
	v_lshrrev_b32_e32 v3, 24, v3
	;; [unrolled: 1-line block ×3, first 2 shown]
	v_lshlrev_b32_e32 v4, 24, v4
	v_and_b32_e32 v5, 0x80000000, v5
	v_and_b32_e32 v8, 0x80, v8
	;; [unrolled: 1-line block ×4, first 2 shown]
	s_mov_b32 s14, -1
	s_mov_b32 s13, exec_lo
	v_and_or_b32 v7, 0xff, v7, v8
	v_and_or_b32 v8, 0xff, v2, v3
	v_lshlrev_b64 v[2:3], 2, v[10:11]
	v_and_or_b32 v6, 0x80, v9, v6
	v_add_nc_u32_e32 v11, s3, v0
	v_lshlrev_b32_e32 v7, 16, v7
	v_lshlrev_b32_e32 v8, 8, v8
	v_add_co_u32 v2, vcc_lo, s0, v2
	s_delay_alu instid0(VALU_DEP_3) | instskip(SKIP_1) | instid1(VALU_DEP_2)
	v_or3_b32 v4, v5, v4, v7
	v_add_co_ci_u32_e32 v3, vcc_lo, s1, v3, vcc_lo
	v_or3_b32 v4, v4, v8, v6
	global_store_b32 v[2:3], v4, off
	v_cmpx_gt_u32_e64 s8, v11
	s_cbranch_execz .LBB24_61
; %bb.113:                              ;   in Loop: Header=BB24_63 Depth=1
	v_bfe_u32 v8, v11, 5, 25
	v_mov_b32_e32 v12, v1
	s_mov_b32 s14, exec_lo
	s_delay_alu instid0(VALU_DEP_2) | instskip(NEXT) | instid1(VALU_DEP_2)
	v_mad_u64_u32 v[2:3], null, v13, v8, 0
	v_lshlrev_b64 v[4:5], 4, v[11:12]
	s_delay_alu instid0(VALU_DEP_1) | instskip(SKIP_1) | instid1(VALU_DEP_3)
	v_mad_u64_u32 v[6:7], null, v14, v8, v[3:4]
	v_add_co_u32 v7, vcc_lo, s26, v4
	v_add_co_ci_u32_e32 v8, vcc_lo, s27, v5, vcc_lo
	v_add_co_u32 v15, vcc_lo, s10, v4
	s_delay_alu instid0(VALU_DEP_4) | instskip(SKIP_1) | instid1(VALU_DEP_2)
	v_mov_b32_e32 v3, v6
	v_add_co_ci_u32_e32 v16, vcc_lo, s11, v5, vcc_lo
	v_lshlrev_b64 v[17:18], 2, v[2:3]
	global_load_b128 v[2:5], v[7:8], off
	global_load_b128 v[6:9], v[15:16], off
	v_add_co_u32 v15, vcc_lo, s4, v17
	v_add_co_ci_u32_e32 v16, vcc_lo, s5, v18, vcc_lo
	global_load_b32 v16, v[15:16], off
	s_waitcnt vmcnt(2)
	v_mul_f32_e32 v2, v28, v2
	s_waitcnt vmcnt(1)
	s_delay_alu instid0(VALU_DEP_1) | instskip(SKIP_1) | instid1(VALU_DEP_1)
	v_mul_f32_e32 v2, v2, v6
	s_waitcnt vmcnt(0)
	v_div_scale_f32 v6, null, v16, v16, v2
	v_div_scale_f32 v18, vcc_lo, v2, v16, v2
	s_delay_alu instid0(VALU_DEP_2) | instskip(SKIP_2) | instid1(VALU_DEP_1)
	v_rcp_f32_e32 v15, v6
	s_waitcnt_depctr 0xfff
	v_fma_f32 v17, -v6, v15, 1.0
	v_fmac_f32_e32 v15, v17, v15
	s_delay_alu instid0(VALU_DEP_1) | instskip(NEXT) | instid1(VALU_DEP_1)
	v_mul_f32_e32 v17, v18, v15
	v_fma_f32 v19, -v6, v17, v18
	s_delay_alu instid0(VALU_DEP_1) | instskip(NEXT) | instid1(VALU_DEP_1)
	v_fmac_f32_e32 v17, v19, v15
	v_fma_f32 v6, -v6, v17, v18
	s_delay_alu instid0(VALU_DEP_1) | instskip(NEXT) | instid1(VALU_DEP_1)
	v_div_fmas_f32 v6, v6, v15, v17
	v_div_fixup_f32 v2, v6, v16, v2
	v_mov_b32_e32 v6, 0x7f
	s_delay_alu instid0(VALU_DEP_2) | instskip(SKIP_1) | instid1(VALU_DEP_2)
	v_minmax_f32 v15, v2, s7, 0xc3e00000
	v_mov_b32_e32 v2, 0x7f
	v_and_b32_e32 v17, 0x7fffffff, v15
	s_delay_alu instid0(VALU_DEP_1)
	v_cmpx_gt_u32_e32 0x43f00000, v17
	s_cbranch_execz .LBB24_119
; %bb.114:                              ;   in Loop: Header=BB24_63 Depth=1
	s_mov_b32 s15, exec_lo
                                        ; implicit-def: $vgpr6
	v_cmpx_lt_u32_e32 0x3c7fffff, v17
	s_xor_b32 s15, exec_lo, s15
; %bb.115:                              ;   in Loop: Header=BB24_63 Depth=1
	v_bfe_u32 v6, v15, 20, 1
	s_delay_alu instid0(VALU_DEP_1) | instskip(NEXT) | instid1(VALU_DEP_1)
	v_add3_u32 v6, v15, v6, 0x407ffff
	v_lshrrev_b32_e32 v6, 20, v6
; %bb.116:                              ;   in Loop: Header=BB24_63 Depth=1
	s_and_not1_saveexec_b32 s15, s15
; %bb.117:                              ;   in Loop: Header=BB24_63 Depth=1
	v_add_f32_e64 v6, 0x46800000, |v15|
; %bb.118:                              ;   in Loop: Header=BB24_63 Depth=1
	s_or_b32 exec_lo, exec_lo, s15
.LBB24_119:                             ;   in Loop: Header=BB24_63 Depth=1
	s_delay_alu instid0(SALU_CYCLE_1) | instskip(SKIP_2) | instid1(VALU_DEP_1)
	s_or_b32 exec_lo, exec_lo, s14
	v_mul_f32_e32 v3, v28, v3
	s_mov_b32 s14, exec_lo
	v_mul_f32_e32 v3, v3, v7
	s_delay_alu instid0(VALU_DEP_1) | instskip(NEXT) | instid1(VALU_DEP_1)
	v_div_scale_f32 v7, null, v16, v16, v3
	v_rcp_f32_e32 v17, v7
	s_waitcnt_depctr 0xfff
	v_fma_f32 v18, -v7, v17, 1.0
	s_delay_alu instid0(VALU_DEP_1) | instskip(SKIP_1) | instid1(VALU_DEP_1)
	v_fmac_f32_e32 v17, v18, v17
	v_div_scale_f32 v18, vcc_lo, v3, v16, v3
	v_mul_f32_e32 v19, v18, v17
	s_delay_alu instid0(VALU_DEP_1) | instskip(NEXT) | instid1(VALU_DEP_1)
	v_fma_f32 v20, -v7, v19, v18
	v_fmac_f32_e32 v19, v20, v17
	s_delay_alu instid0(VALU_DEP_1) | instskip(NEXT) | instid1(VALU_DEP_1)
	v_fma_f32 v7, -v7, v19, v18
	v_div_fmas_f32 v7, v7, v17, v19
	s_delay_alu instid0(VALU_DEP_1) | instskip(NEXT) | instid1(VALU_DEP_1)
	v_div_fixup_f32 v3, v7, v16, v3
	v_minmax_f32 v3, v3, s7, 0xc3e00000
	s_delay_alu instid0(VALU_DEP_1) | instskip(NEXT) | instid1(VALU_DEP_1)
	v_and_b32_e32 v7, 0x7fffffff, v3
	v_cmpx_gt_u32_e32 0x43f00000, v7
	s_cbranch_execz .LBB24_125
; %bb.120:                              ;   in Loop: Header=BB24_63 Depth=1
	s_mov_b32 s15, exec_lo
                                        ; implicit-def: $vgpr2
	v_cmpx_lt_u32_e32 0x3c7fffff, v7
	s_xor_b32 s15, exec_lo, s15
; %bb.121:                              ;   in Loop: Header=BB24_63 Depth=1
	v_bfe_u32 v2, v3, 20, 1
	s_delay_alu instid0(VALU_DEP_1) | instskip(NEXT) | instid1(VALU_DEP_1)
	v_add3_u32 v2, v3, v2, 0x407ffff
	v_lshrrev_b32_e32 v2, 20, v2
; %bb.122:                              ;   in Loop: Header=BB24_63 Depth=1
	s_and_not1_saveexec_b32 s15, s15
; %bb.123:                              ;   in Loop: Header=BB24_63 Depth=1
	v_add_f32_e64 v2, 0x46800000, |v3|
; %bb.124:                              ;   in Loop: Header=BB24_63 Depth=1
	s_or_b32 exec_lo, exec_lo, s15
.LBB24_125:                             ;   in Loop: Header=BB24_63 Depth=1
	s_delay_alu instid0(SALU_CYCLE_1) | instskip(SKIP_2) | instid1(VALU_DEP_1)
	s_or_b32 exec_lo, exec_lo, s14
	v_mul_f32_e32 v4, v28, v4
	s_mov_b32 s14, exec_lo
	v_mul_f32_e32 v4, v4, v8
	s_delay_alu instid0(VALU_DEP_1) | instskip(SKIP_1) | instid1(VALU_DEP_2)
	v_div_scale_f32 v7, null, v16, v16, v4
	v_div_scale_f32 v18, vcc_lo, v4, v16, v4
	v_rcp_f32_e32 v8, v7
	s_waitcnt_depctr 0xfff
	v_fma_f32 v17, -v7, v8, 1.0
	s_delay_alu instid0(VALU_DEP_1) | instskip(NEXT) | instid1(VALU_DEP_1)
	v_fmac_f32_e32 v8, v17, v8
	v_mul_f32_e32 v17, v18, v8
	s_delay_alu instid0(VALU_DEP_1) | instskip(NEXT) | instid1(VALU_DEP_1)
	v_fma_f32 v19, -v7, v17, v18
	v_fmac_f32_e32 v17, v19, v8
	s_delay_alu instid0(VALU_DEP_1) | instskip(NEXT) | instid1(VALU_DEP_1)
	v_fma_f32 v7, -v7, v17, v18
	v_div_fmas_f32 v7, v7, v8, v17
	s_delay_alu instid0(VALU_DEP_1) | instskip(SKIP_1) | instid1(VALU_DEP_2)
	v_div_fixup_f32 v4, v7, v16, v4
	v_mov_b32_e32 v7, 0x7f
	v_minmax_f32 v8, v4, s7, 0xc3e00000
	v_mov_b32_e32 v4, 0x7f
	s_delay_alu instid0(VALU_DEP_2) | instskip(NEXT) | instid1(VALU_DEP_1)
	v_and_b32_e32 v17, 0x7fffffff, v8
	v_cmpx_gt_u32_e32 0x43f00000, v17
	s_cbranch_execz .LBB24_131
; %bb.126:                              ;   in Loop: Header=BB24_63 Depth=1
	s_mov_b32 s15, exec_lo
                                        ; implicit-def: $vgpr7
	v_cmpx_lt_u32_e32 0x3c7fffff, v17
	s_xor_b32 s15, exec_lo, s15
; %bb.127:                              ;   in Loop: Header=BB24_63 Depth=1
	v_bfe_u32 v7, v8, 20, 1
	s_delay_alu instid0(VALU_DEP_1) | instskip(NEXT) | instid1(VALU_DEP_1)
	v_add3_u32 v7, v8, v7, 0x407ffff
	v_lshrrev_b32_e32 v7, 20, v7
; %bb.128:                              ;   in Loop: Header=BB24_63 Depth=1
	s_and_not1_saveexec_b32 s15, s15
; %bb.129:                              ;   in Loop: Header=BB24_63 Depth=1
	v_add_f32_e64 v7, 0x46800000, |v8|
; %bb.130:                              ;   in Loop: Header=BB24_63 Depth=1
	s_or_b32 exec_lo, exec_lo, s15
.LBB24_131:                             ;   in Loop: Header=BB24_63 Depth=1
	s_delay_alu instid0(SALU_CYCLE_1) | instskip(SKIP_2) | instid1(VALU_DEP_1)
	s_or_b32 exec_lo, exec_lo, s14
	v_mul_f32_e32 v5, v28, v5
	s_mov_b32 s14, exec_lo
	v_mul_f32_e32 v5, v5, v9
	s_delay_alu instid0(VALU_DEP_1) | instskip(NEXT) | instid1(VALU_DEP_1)
	v_div_scale_f32 v9, null, v16, v16, v5
	v_rcp_f32_e32 v17, v9
	s_waitcnt_depctr 0xfff
	v_fma_f32 v18, -v9, v17, 1.0
	s_delay_alu instid0(VALU_DEP_1) | instskip(SKIP_1) | instid1(VALU_DEP_1)
	v_fmac_f32_e32 v17, v18, v17
	v_div_scale_f32 v18, vcc_lo, v5, v16, v5
	v_mul_f32_e32 v19, v18, v17
	s_delay_alu instid0(VALU_DEP_1) | instskip(NEXT) | instid1(VALU_DEP_1)
	v_fma_f32 v20, -v9, v19, v18
	v_fmac_f32_e32 v19, v20, v17
	s_delay_alu instid0(VALU_DEP_1) | instskip(NEXT) | instid1(VALU_DEP_1)
	v_fma_f32 v9, -v9, v19, v18
	v_div_fmas_f32 v9, v9, v17, v19
	s_delay_alu instid0(VALU_DEP_1) | instskip(NEXT) | instid1(VALU_DEP_1)
	v_div_fixup_f32 v5, v9, v16, v5
	v_minmax_f32 v5, v5, s7, 0xc3e00000
	s_delay_alu instid0(VALU_DEP_1) | instskip(NEXT) | instid1(VALU_DEP_1)
	v_and_b32_e32 v9, 0x7fffffff, v5
	v_cmpx_gt_u32_e32 0x43f00000, v9
	s_cbranch_execz .LBB24_137
; %bb.132:                              ;   in Loop: Header=BB24_63 Depth=1
	s_mov_b32 s15, exec_lo
                                        ; implicit-def: $vgpr4
	v_cmpx_lt_u32_e32 0x3c7fffff, v9
	s_xor_b32 s15, exec_lo, s15
; %bb.133:                              ;   in Loop: Header=BB24_63 Depth=1
	v_bfe_u32 v4, v5, 20, 1
	s_delay_alu instid0(VALU_DEP_1) | instskip(NEXT) | instid1(VALU_DEP_1)
	v_add3_u32 v4, v5, v4, 0x407ffff
	v_lshrrev_b32_e32 v4, 20, v4
; %bb.134:                              ;   in Loop: Header=BB24_63 Depth=1
	s_and_not1_saveexec_b32 s15, s15
; %bb.135:                              ;   in Loop: Header=BB24_63 Depth=1
	v_add_f32_e64 v4, 0x46800000, |v5|
; %bb.136:                              ;   in Loop: Header=BB24_63 Depth=1
	s_or_b32 exec_lo, exec_lo, s15
.LBB24_137:                             ;   in Loop: Header=BB24_63 Depth=1
	s_delay_alu instid0(SALU_CYCLE_1)
	s_or_b32 exec_lo, exec_lo, s14
	v_lshrrev_b32_e32 v8, 24, v8
	v_lshrrev_b32_e32 v3, 24, v3
	;; [unrolled: 1-line block ×3, first 2 shown]
	v_lshlrev_b32_e32 v4, 24, v4
	v_and_b32_e32 v5, 0x80000000, v5
	v_and_b32_e32 v8, 0x80, v8
	;; [unrolled: 1-line block ×4, first 2 shown]
	v_add_nc_u32_e32 v0, s2, v0
	s_mov_b32 s15, -1
	v_and_or_b32 v7, 0xff, v7, v8
	v_and_or_b32 v8, 0xff, v2, v3
	v_lshlrev_b64 v[2:3], 2, v[11:12]
	v_and_or_b32 v6, 0x80, v9, v6
	s_mov_b32 s14, exec_lo
	v_lshlrev_b32_e32 v7, 16, v7
	v_lshlrev_b32_e32 v8, 8, v8
	s_delay_alu instid0(VALU_DEP_4) | instskip(NEXT) | instid1(VALU_DEP_3)
	v_add_co_u32 v2, vcc_lo, s0, v2
	v_or3_b32 v4, v5, v4, v7
	v_add_co_ci_u32_e32 v3, vcc_lo, s1, v3, vcc_lo
	s_delay_alu instid0(VALU_DEP_2)
	v_or3_b32 v4, v4, v8, v6
	global_store_b32 v[2:3], v4, off
	v_cmpx_gt_u32_e64 s8, v0
	s_cbranch_execz .LBB24_60
; %bb.138:                              ;   in Loop: Header=BB24_63 Depth=1
	v_bfe_u32 v8, v0, 5, 25
	v_lshlrev_b64 v[4:5], 4, v[0:1]
	s_mov_b32 s15, exec_lo
	s_delay_alu instid0(VALU_DEP_2) | instskip(NEXT) | instid1(VALU_DEP_1)
	v_mad_u64_u32 v[2:3], null, v13, v8, 0
	v_mad_u64_u32 v[6:7], null, v14, v8, v[3:4]
	v_add_co_u32 v7, vcc_lo, s26, v4
	s_delay_alu instid0(VALU_DEP_4) | instskip(SKIP_1) | instid1(VALU_DEP_4)
	v_add_co_ci_u32_e32 v8, vcc_lo, s27, v5, vcc_lo
	v_add_co_u32 v11, vcc_lo, s10, v4
	v_mov_b32_e32 v3, v6
	v_add_co_ci_u32_e32 v12, vcc_lo, s11, v5, vcc_lo
	s_delay_alu instid0(VALU_DEP_2)
	v_lshlrev_b64 v[15:16], 2, v[2:3]
	global_load_b128 v[2:5], v[7:8], off
	global_load_b128 v[6:9], v[11:12], off
	v_add_co_u32 v11, vcc_lo, s4, v15
	v_add_co_ci_u32_e32 v12, vcc_lo, s5, v16, vcc_lo
	global_load_b32 v12, v[11:12], off
	s_waitcnt vmcnt(2)
	v_mul_f32_e32 v2, v28, v2
	s_waitcnt vmcnt(1)
	s_delay_alu instid0(VALU_DEP_1) | instskip(SKIP_1) | instid1(VALU_DEP_1)
	v_mul_f32_e32 v2, v2, v6
	s_waitcnt vmcnt(0)
	v_div_scale_f32 v6, null, v12, v12, v2
	s_delay_alu instid0(VALU_DEP_1) | instskip(SKIP_2) | instid1(VALU_DEP_1)
	v_rcp_f32_e32 v11, v6
	s_waitcnt_depctr 0xfff
	v_fma_f32 v15, -v6, v11, 1.0
	v_fmac_f32_e32 v11, v15, v11
	v_div_scale_f32 v16, vcc_lo, v2, v12, v2
	s_delay_alu instid0(VALU_DEP_1) | instskip(NEXT) | instid1(VALU_DEP_1)
	v_mul_f32_e32 v15, v16, v11
	v_fma_f32 v17, -v6, v15, v16
	s_delay_alu instid0(VALU_DEP_1) | instskip(NEXT) | instid1(VALU_DEP_1)
	v_fmac_f32_e32 v15, v17, v11
	v_fma_f32 v6, -v6, v15, v16
	s_delay_alu instid0(VALU_DEP_1) | instskip(NEXT) | instid1(VALU_DEP_1)
	v_div_fmas_f32 v6, v6, v11, v15
	v_div_fixup_f32 v2, v6, v12, v2
	v_mov_b32_e32 v6, 0x7f
	s_delay_alu instid0(VALU_DEP_2) | instskip(SKIP_1) | instid1(VALU_DEP_2)
	v_minmax_f32 v11, v2, s7, 0xc3e00000
	v_mov_b32_e32 v2, 0x7f
	v_and_b32_e32 v15, 0x7fffffff, v11
	s_delay_alu instid0(VALU_DEP_1)
	v_cmpx_gt_u32_e32 0x43f00000, v15
	s_cbranch_execz .LBB24_144
; %bb.139:                              ;   in Loop: Header=BB24_63 Depth=1
	s_mov_b32 s16, exec_lo
                                        ; implicit-def: $vgpr6
	v_cmpx_lt_u32_e32 0x3c7fffff, v15
	s_xor_b32 s16, exec_lo, s16
; %bb.140:                              ;   in Loop: Header=BB24_63 Depth=1
	v_bfe_u32 v6, v11, 20, 1
	s_delay_alu instid0(VALU_DEP_1) | instskip(NEXT) | instid1(VALU_DEP_1)
	v_add3_u32 v6, v11, v6, 0x407ffff
	v_lshrrev_b32_e32 v6, 20, v6
; %bb.141:                              ;   in Loop: Header=BB24_63 Depth=1
	s_and_not1_saveexec_b32 s16, s16
; %bb.142:                              ;   in Loop: Header=BB24_63 Depth=1
	v_add_f32_e64 v6, 0x46800000, |v11|
; %bb.143:                              ;   in Loop: Header=BB24_63 Depth=1
	s_or_b32 exec_lo, exec_lo, s16
.LBB24_144:                             ;   in Loop: Header=BB24_63 Depth=1
	s_delay_alu instid0(SALU_CYCLE_1) | instskip(SKIP_2) | instid1(VALU_DEP_1)
	s_or_b32 exec_lo, exec_lo, s15
	v_mul_f32_e32 v3, v28, v3
	s_mov_b32 s15, exec_lo
	v_mul_f32_e32 v3, v3, v7
	s_delay_alu instid0(VALU_DEP_1) | instskip(NEXT) | instid1(VALU_DEP_1)
	v_div_scale_f32 v7, null, v12, v12, v3
	v_rcp_f32_e32 v15, v7
	s_waitcnt_depctr 0xfff
	v_fma_f32 v16, -v7, v15, 1.0
	s_delay_alu instid0(VALU_DEP_1) | instskip(SKIP_1) | instid1(VALU_DEP_1)
	v_fmac_f32_e32 v15, v16, v15
	v_div_scale_f32 v16, vcc_lo, v3, v12, v3
	v_mul_f32_e32 v17, v16, v15
	s_delay_alu instid0(VALU_DEP_1) | instskip(NEXT) | instid1(VALU_DEP_1)
	v_fma_f32 v18, -v7, v17, v16
	v_fmac_f32_e32 v17, v18, v15
	s_delay_alu instid0(VALU_DEP_1) | instskip(NEXT) | instid1(VALU_DEP_1)
	v_fma_f32 v7, -v7, v17, v16
	v_div_fmas_f32 v7, v7, v15, v17
	s_delay_alu instid0(VALU_DEP_1) | instskip(NEXT) | instid1(VALU_DEP_1)
	v_div_fixup_f32 v3, v7, v12, v3
	v_minmax_f32 v3, v3, s7, 0xc3e00000
	s_delay_alu instid0(VALU_DEP_1) | instskip(NEXT) | instid1(VALU_DEP_1)
	v_and_b32_e32 v7, 0x7fffffff, v3
	v_cmpx_gt_u32_e32 0x43f00000, v7
	s_cbranch_execz .LBB24_150
; %bb.145:                              ;   in Loop: Header=BB24_63 Depth=1
	s_mov_b32 s16, exec_lo
                                        ; implicit-def: $vgpr2
	v_cmpx_lt_u32_e32 0x3c7fffff, v7
	s_xor_b32 s16, exec_lo, s16
; %bb.146:                              ;   in Loop: Header=BB24_63 Depth=1
	v_bfe_u32 v2, v3, 20, 1
	s_delay_alu instid0(VALU_DEP_1) | instskip(NEXT) | instid1(VALU_DEP_1)
	v_add3_u32 v2, v3, v2, 0x407ffff
	v_lshrrev_b32_e32 v2, 20, v2
; %bb.147:                              ;   in Loop: Header=BB24_63 Depth=1
	s_and_not1_saveexec_b32 s16, s16
; %bb.148:                              ;   in Loop: Header=BB24_63 Depth=1
	v_add_f32_e64 v2, 0x46800000, |v3|
; %bb.149:                              ;   in Loop: Header=BB24_63 Depth=1
	s_or_b32 exec_lo, exec_lo, s16
.LBB24_150:                             ;   in Loop: Header=BB24_63 Depth=1
	s_delay_alu instid0(SALU_CYCLE_1) | instskip(SKIP_2) | instid1(VALU_DEP_1)
	s_or_b32 exec_lo, exec_lo, s15
	v_mul_f32_e32 v4, v28, v4
	s_mov_b32 s15, exec_lo
	v_mul_f32_e32 v4, v4, v8
	s_delay_alu instid0(VALU_DEP_1) | instskip(SKIP_1) | instid1(VALU_DEP_2)
	v_div_scale_f32 v7, null, v12, v12, v4
	v_div_scale_f32 v16, vcc_lo, v4, v12, v4
	v_rcp_f32_e32 v8, v7
	s_waitcnt_depctr 0xfff
	v_fma_f32 v15, -v7, v8, 1.0
	s_delay_alu instid0(VALU_DEP_1) | instskip(NEXT) | instid1(VALU_DEP_1)
	v_fmac_f32_e32 v8, v15, v8
	v_mul_f32_e32 v15, v16, v8
	s_delay_alu instid0(VALU_DEP_1) | instskip(NEXT) | instid1(VALU_DEP_1)
	v_fma_f32 v17, -v7, v15, v16
	v_fmac_f32_e32 v15, v17, v8
	s_delay_alu instid0(VALU_DEP_1) | instskip(NEXT) | instid1(VALU_DEP_1)
	v_fma_f32 v7, -v7, v15, v16
	v_div_fmas_f32 v7, v7, v8, v15
	s_delay_alu instid0(VALU_DEP_1) | instskip(SKIP_1) | instid1(VALU_DEP_2)
	v_div_fixup_f32 v4, v7, v12, v4
	v_mov_b32_e32 v7, 0x7f
	v_minmax_f32 v8, v4, s7, 0xc3e00000
	v_mov_b32_e32 v4, 0x7f
	s_delay_alu instid0(VALU_DEP_2) | instskip(NEXT) | instid1(VALU_DEP_1)
	v_and_b32_e32 v15, 0x7fffffff, v8
	v_cmpx_gt_u32_e32 0x43f00000, v15
	s_cbranch_execz .LBB24_156
; %bb.151:                              ;   in Loop: Header=BB24_63 Depth=1
	s_mov_b32 s16, exec_lo
                                        ; implicit-def: $vgpr7
	v_cmpx_lt_u32_e32 0x3c7fffff, v15
	s_xor_b32 s16, exec_lo, s16
; %bb.152:                              ;   in Loop: Header=BB24_63 Depth=1
	v_bfe_u32 v7, v8, 20, 1
	s_delay_alu instid0(VALU_DEP_1) | instskip(NEXT) | instid1(VALU_DEP_1)
	v_add3_u32 v7, v8, v7, 0x407ffff
	v_lshrrev_b32_e32 v7, 20, v7
; %bb.153:                              ;   in Loop: Header=BB24_63 Depth=1
	s_and_not1_saveexec_b32 s16, s16
; %bb.154:                              ;   in Loop: Header=BB24_63 Depth=1
	v_add_f32_e64 v7, 0x46800000, |v8|
; %bb.155:                              ;   in Loop: Header=BB24_63 Depth=1
	s_or_b32 exec_lo, exec_lo, s16
.LBB24_156:                             ;   in Loop: Header=BB24_63 Depth=1
	s_delay_alu instid0(SALU_CYCLE_1) | instskip(SKIP_2) | instid1(VALU_DEP_1)
	s_or_b32 exec_lo, exec_lo, s15
	v_mul_f32_e32 v5, v28, v5
	s_mov_b32 s15, exec_lo
	v_mul_f32_e32 v5, v5, v9
	s_delay_alu instid0(VALU_DEP_1) | instskip(NEXT) | instid1(VALU_DEP_1)
	v_div_scale_f32 v9, null, v12, v12, v5
	v_rcp_f32_e32 v15, v9
	s_waitcnt_depctr 0xfff
	v_fma_f32 v16, -v9, v15, 1.0
	s_delay_alu instid0(VALU_DEP_1) | instskip(SKIP_1) | instid1(VALU_DEP_1)
	v_fmac_f32_e32 v15, v16, v15
	v_div_scale_f32 v16, vcc_lo, v5, v12, v5
	v_mul_f32_e32 v17, v16, v15
	s_delay_alu instid0(VALU_DEP_1) | instskip(NEXT) | instid1(VALU_DEP_1)
	v_fma_f32 v18, -v9, v17, v16
	v_fmac_f32_e32 v17, v18, v15
	s_delay_alu instid0(VALU_DEP_1) | instskip(NEXT) | instid1(VALU_DEP_1)
	v_fma_f32 v9, -v9, v17, v16
	v_div_fmas_f32 v9, v9, v15, v17
	s_delay_alu instid0(VALU_DEP_1) | instskip(NEXT) | instid1(VALU_DEP_1)
	v_div_fixup_f32 v5, v9, v12, v5
	v_minmax_f32 v5, v5, s7, 0xc3e00000
	s_delay_alu instid0(VALU_DEP_1) | instskip(NEXT) | instid1(VALU_DEP_1)
	v_and_b32_e32 v9, 0x7fffffff, v5
	v_cmpx_gt_u32_e32 0x43f00000, v9
	s_cbranch_execz .LBB24_59
; %bb.157:                              ;   in Loop: Header=BB24_63 Depth=1
	s_mov_b32 s16, exec_lo
                                        ; implicit-def: $vgpr4
	v_cmpx_lt_u32_e32 0x3c7fffff, v9
	s_xor_b32 s16, exec_lo, s16
; %bb.158:                              ;   in Loop: Header=BB24_63 Depth=1
	v_bfe_u32 v4, v5, 20, 1
	s_delay_alu instid0(VALU_DEP_1) | instskip(NEXT) | instid1(VALU_DEP_1)
	v_add3_u32 v4, v5, v4, 0x407ffff
	v_lshrrev_b32_e32 v4, 20, v4
; %bb.159:                              ;   in Loop: Header=BB24_63 Depth=1
	s_and_not1_saveexec_b32 s16, s16
	s_cbranch_execz .LBB24_58
; %bb.160:                              ;   in Loop: Header=BB24_63 Depth=1
	v_add_f32_e64 v4, 0x46800000, |v5|
	s_branch .LBB24_58
.LBB24_161:
	s_nop 0
	s_sendmsg sendmsg(MSG_DEALLOC_VGPRS)
	s_endpgm
.LBB24_162:
                                        ; implicit-def: $vgpr3_vgpr4
	s_branch .LBB24_51
.LBB24_163:
                                        ; implicit-def: $vgpr1_vgpr2
	s_branch .LBB24_56
	.section	.rodata,"a",@progbits
	.p2align	6, 0x0
	.amdhsa_kernel _ZN4vllm31rms_norm_per_block_quant_kernelIfN3c1013Float8_e4m3fnELb0ELb1ELi128EEEvPT0_PfPKT_S8_PKffiiPS6_l
		.amdhsa_group_segment_fixed_size 4228
		.amdhsa_private_segment_fixed_size 0
		.amdhsa_kernarg_size 328
		.amdhsa_user_sgpr_count 15
		.amdhsa_user_sgpr_dispatch_ptr 0
		.amdhsa_user_sgpr_queue_ptr 0
		.amdhsa_user_sgpr_kernarg_segment_ptr 1
		.amdhsa_user_sgpr_dispatch_id 0
		.amdhsa_user_sgpr_private_segment_size 0
		.amdhsa_wavefront_size32 1
		.amdhsa_uses_dynamic_stack 0
		.amdhsa_enable_private_segment 0
		.amdhsa_system_sgpr_workgroup_id_x 1
		.amdhsa_system_sgpr_workgroup_id_y 0
		.amdhsa_system_sgpr_workgroup_id_z 0
		.amdhsa_system_sgpr_workgroup_info 0
		.amdhsa_system_vgpr_workitem_id 0
		.amdhsa_next_free_vgpr 35
		.amdhsa_next_free_sgpr 38
		.amdhsa_reserve_vcc 1
		.amdhsa_float_round_mode_32 0
		.amdhsa_float_round_mode_16_64 0
		.amdhsa_float_denorm_mode_32 3
		.amdhsa_float_denorm_mode_16_64 3
		.amdhsa_dx10_clamp 1
		.amdhsa_ieee_mode 1
		.amdhsa_fp16_overflow 0
		.amdhsa_workgroup_processor_mode 1
		.amdhsa_memory_ordered 1
		.amdhsa_forward_progress 0
		.amdhsa_shared_vgpr_count 0
		.amdhsa_exception_fp_ieee_invalid_op 0
		.amdhsa_exception_fp_denorm_src 0
		.amdhsa_exception_fp_ieee_div_zero 0
		.amdhsa_exception_fp_ieee_overflow 0
		.amdhsa_exception_fp_ieee_underflow 0
		.amdhsa_exception_fp_ieee_inexact 0
		.amdhsa_exception_int_div_zero 0
	.end_amdhsa_kernel
	.section	.text._ZN4vllm31rms_norm_per_block_quant_kernelIfN3c1013Float8_e4m3fnELb0ELb1ELi128EEEvPT0_PfPKT_S8_PKffiiPS6_l,"axG",@progbits,_ZN4vllm31rms_norm_per_block_quant_kernelIfN3c1013Float8_e4m3fnELb0ELb1ELi128EEEvPT0_PfPKT_S8_PKffiiPS6_l,comdat
.Lfunc_end24:
	.size	_ZN4vllm31rms_norm_per_block_quant_kernelIfN3c1013Float8_e4m3fnELb0ELb1ELi128EEEvPT0_PfPKT_S8_PKffiiPS6_l, .Lfunc_end24-_ZN4vllm31rms_norm_per_block_quant_kernelIfN3c1013Float8_e4m3fnELb0ELb1ELi128EEEvPT0_PfPKT_S8_PKffiiPS6_l
                                        ; -- End function
	.section	.AMDGPU.csdata,"",@progbits
; Kernel info:
; codeLenInByte = 10592
; NumSgprs: 40
; NumVgprs: 35
; ScratchSize: 0
; MemoryBound: 0
; FloatMode: 240
; IeeeMode: 1
; LDSByteSize: 4228 bytes/workgroup (compile time only)
; SGPRBlocks: 4
; VGPRBlocks: 4
; NumSGPRsForWavesPerEU: 40
; NumVGPRsForWavesPerEU: 35
; Occupancy: 16
; WaveLimiterHint : 0
; COMPUTE_PGM_RSRC2:SCRATCH_EN: 0
; COMPUTE_PGM_RSRC2:USER_SGPR: 15
; COMPUTE_PGM_RSRC2:TRAP_HANDLER: 0
; COMPUTE_PGM_RSRC2:TGID_X_EN: 1
; COMPUTE_PGM_RSRC2:TGID_Y_EN: 0
; COMPUTE_PGM_RSRC2:TGID_Z_EN: 0
; COMPUTE_PGM_RSRC2:TIDIG_COMP_CNT: 0
	.section	.text._ZN4vllm31rms_norm_per_block_quant_kernelIfN3c1015Float8_e4m3fnuzELb0ELb1ELi128EEEvPT0_PfPKT_S8_PKffiiPS6_l,"axG",@progbits,_ZN4vllm31rms_norm_per_block_quant_kernelIfN3c1015Float8_e4m3fnuzELb0ELb1ELi128EEEvPT0_PfPKT_S8_PKffiiPS6_l,comdat
	.protected	_ZN4vllm31rms_norm_per_block_quant_kernelIfN3c1015Float8_e4m3fnuzELb0ELb1ELi128EEEvPT0_PfPKT_S8_PKffiiPS6_l ; -- Begin function _ZN4vllm31rms_norm_per_block_quant_kernelIfN3c1015Float8_e4m3fnuzELb0ELb1ELi128EEEvPT0_PfPKT_S8_PKffiiPS6_l
	.globl	_ZN4vllm31rms_norm_per_block_quant_kernelIfN3c1015Float8_e4m3fnuzELb0ELb1ELi128EEEvPT0_PfPKT_S8_PKffiiPS6_l
	.p2align	8
	.type	_ZN4vllm31rms_norm_per_block_quant_kernelIfN3c1015Float8_e4m3fnuzELb0ELb1ELi128EEEvPT0_PfPKT_S8_PKffiiPS6_l,@function
_ZN4vllm31rms_norm_per_block_quant_kernelIfN3c1015Float8_e4m3fnuzELb0ELb1ELi128EEEvPT0_PfPKT_S8_PKffiiPS6_l: ; @_ZN4vllm31rms_norm_per_block_quant_kernelIfN3c1015Float8_e4m3fnuzELb0ELb1ELi128EEEvPT0_PfPKT_S8_PKffiiPS6_l
; %bb.0:
	s_mov_b32 s16, s15
	s_clause 0x2
	s_load_b128 s[12:15], s[0:1], 0x28
	s_load_b256 s[4:11], s[0:1], 0x0
	s_load_b32 s29, s[0:1], 0x48
	v_mov_b32_e32 v6, 0
	s_mov_b32 s17, 0
	s_waitcnt lgkmcnt(0)
	s_ashr_i32 s2, s14, 31
	s_mul_hi_u32 s3, s14, s16
	s_mul_i32 s15, s2, s16
	s_mul_i32 s2, s14, s16
	s_add_i32 s3, s3, s15
	s_mov_b32 s14, s13
	s_lshl_b64 s[2:3], s[2:3], 2
	s_delay_alu instid0(SALU_CYCLE_1)
	s_add_u32 s26, s8, s2
	s_addc_u32 s27, s9, s3
	s_ashr_i32 s8, s13, 2
	s_add_u32 s18, s0, 0x48
	v_cmp_gt_u32_e64 s2, s8, v0
	s_addc_u32 s19, s1, 0
	s_delay_alu instid0(VALU_DEP_1)
	s_and_saveexec_b32 s3, s2
	s_cbranch_execz .LBB25_10
; %bb.1:
	s_cmp_lt_u32 s16, s29
	v_mov_b32_e32 v2, 0
	s_cselect_b32 s9, 12, 18
                                        ; implicit-def: $sgpr15
	v_mov_b32_e32 v1, v0
	s_add_u32 s20, s18, s9
	s_addc_u32 s21, s19, 0
	s_mov_b32 s9, s17
	global_load_u16 v7, v2, s[20:21]
	s_waitcnt vmcnt(0)
	v_lshlrev_b32_e32 v9, 1, v7
	v_mul_lo_u32 v8, v7, 3
	v_add_nc_u32_e32 v10, v7, v7
	v_mov_b32_e32 v6, v2
	s_branch .LBB25_5
.LBB25_2:                               ;   in Loop: Header=BB25_5 Depth=1
	s_or_b32 exec_lo, exec_lo, s22
	s_delay_alu instid0(SALU_CYCLE_1)
	s_or_not1_b32 s22, s23, exec_lo
.LBB25_3:                               ;   in Loop: Header=BB25_5 Depth=1
	s_or_b32 exec_lo, exec_lo, s21
	s_delay_alu instid0(SALU_CYCLE_1) | instskip(SKIP_1) | instid1(SALU_CYCLE_1)
	s_and_not1_b32 s15, s15, exec_lo
	s_and_b32 s21, s22, exec_lo
	s_or_b32 s15, s15, s21
.LBB25_4:                               ;   in Loop: Header=BB25_5 Depth=1
	s_or_b32 exec_lo, exec_lo, s20
	s_delay_alu instid0(SALU_CYCLE_1) | instskip(NEXT) | instid1(SALU_CYCLE_1)
	s_and_b32 s20, exec_lo, s15
	s_or_b32 s9, s20, s9
	s_delay_alu instid0(SALU_CYCLE_1)
	s_and_not1_b32 exec_lo, exec_lo, s9
	s_cbranch_execz .LBB25_9
.LBB25_5:                               ; =>This Inner Loop Header: Depth=1
	v_lshlrev_b64 v[3:4], 4, v[1:2]
	s_or_b32 s15, s15, exec_lo
	s_mov_b32 s20, exec_lo
	s_delay_alu instid0(VALU_DEP_1) | instskip(NEXT) | instid1(VALU_DEP_2)
	v_add_co_u32 v3, vcc_lo, s26, v3
	v_add_co_ci_u32_e32 v4, vcc_lo, s27, v4, vcc_lo
	global_load_b128 v[11:14], v[3:4], off
	v_add_nc_u32_e32 v3, v1, v7
	s_waitcnt vmcnt(0)
	v_fmac_f32_e32 v6, v11, v11
	s_delay_alu instid0(VALU_DEP_1) | instskip(NEXT) | instid1(VALU_DEP_1)
	v_fmac_f32_e32 v6, v12, v12
	v_fmac_f32_e32 v6, v13, v13
	s_delay_alu instid0(VALU_DEP_1)
	v_fmac_f32_e32 v6, v14, v14
	v_cmpx_gt_u32_e64 s8, v3
	s_cbranch_execz .LBB25_4
; %bb.6:                                ;   in Loop: Header=BB25_5 Depth=1
	v_mov_b32_e32 v4, v2
	s_mov_b32 s22, -1
	s_mov_b32 s21, exec_lo
	s_delay_alu instid0(VALU_DEP_1) | instskip(NEXT) | instid1(VALU_DEP_1)
	v_lshlrev_b64 v[4:5], 4, v[3:4]
	v_add_co_u32 v4, vcc_lo, s26, v4
	s_delay_alu instid0(VALU_DEP_2) | instskip(SKIP_4) | instid1(VALU_DEP_1)
	v_add_co_ci_u32_e32 v5, vcc_lo, s27, v5, vcc_lo
	global_load_b128 v[11:14], v[4:5], off
	v_add_nc_u32_e32 v4, v9, v1
	s_waitcnt vmcnt(0)
	v_fmac_f32_e32 v6, v11, v11
	v_fmac_f32_e32 v6, v12, v12
	s_delay_alu instid0(VALU_DEP_1) | instskip(NEXT) | instid1(VALU_DEP_1)
	v_fmac_f32_e32 v6, v13, v13
	v_fmac_f32_e32 v6, v14, v14
	v_cmpx_gt_u32_e64 s8, v4
	s_cbranch_execz .LBB25_3
; %bb.7:                                ;   in Loop: Header=BB25_5 Depth=1
	v_mov_b32_e32 v5, v2
	s_mov_b32 s23, -1
	s_mov_b32 s22, exec_lo
	s_delay_alu instid0(VALU_DEP_1) | instskip(NEXT) | instid1(VALU_DEP_1)
	v_lshlrev_b64 v[4:5], 4, v[4:5]
	v_add_co_u32 v4, vcc_lo, s26, v4
	s_delay_alu instid0(VALU_DEP_2) | instskip(SKIP_3) | instid1(VALU_DEP_1)
	v_add_co_ci_u32_e32 v5, vcc_lo, s27, v5, vcc_lo
	global_load_b128 v[11:14], v[4:5], off
	s_waitcnt vmcnt(0)
	v_fmac_f32_e32 v6, v11, v11
	v_fmac_f32_e32 v6, v12, v12
	s_delay_alu instid0(VALU_DEP_1) | instskip(NEXT) | instid1(VALU_DEP_1)
	v_fmac_f32_e32 v6, v13, v13
	v_dual_fmac_f32 v6, v14, v14 :: v_dual_add_nc_u32 v1, v8, v1
	s_delay_alu instid0(VALU_DEP_1)
	v_cmpx_gt_u32_e64 s8, v1
	s_xor_b32 s22, exec_lo, s22
	s_cbranch_execz .LBB25_2
; %bb.8:                                ;   in Loop: Header=BB25_5 Depth=1
	v_lshlrev_b64 v[4:5], 4, v[1:2]
	v_add3_u32 v1, v10, v7, v3
	s_delay_alu instid0(VALU_DEP_2) | instskip(NEXT) | instid1(VALU_DEP_3)
	v_add_co_u32 v4, vcc_lo, s26, v4
	v_add_co_ci_u32_e32 v5, vcc_lo, s27, v5, vcc_lo
	s_delay_alu instid0(VALU_DEP_3) | instskip(SKIP_4) | instid1(VALU_DEP_1)
	v_cmp_le_u32_e32 vcc_lo, s8, v1
	global_load_b128 v[11:14], v[4:5], off
	s_or_not1_b32 s23, vcc_lo, exec_lo
	s_waitcnt vmcnt(0)
	v_fmac_f32_e32 v6, v11, v11
	v_fmac_f32_e32 v6, v12, v12
	s_delay_alu instid0(VALU_DEP_1) | instskip(NEXT) | instid1(VALU_DEP_1)
	v_fmac_f32_e32 v6, v13, v13
	v_fmac_f32_e32 v6, v14, v14
	s_branch .LBB25_2
.LBB25_9:
	s_or_b32 exec_lo, exec_lo, s9
.LBB25_10:
	s_delay_alu instid0(SALU_CYCLE_1) | instskip(SKIP_4) | instid1(VALU_DEP_2)
	s_or_b32 exec_lo, exec_lo, s3
	v_mbcnt_lo_u32_b32 v1, -1, 0
	s_load_b32 s3, s[18:19], 0xc
	v_and_b32_e32 v7, 0x3e0, v0
	s_mov_b32 s9, exec_lo
	v_cmp_ne_u32_e32 vcc_lo, 31, v1
	v_add_nc_u32_e32 v3, 1, v1
	v_add_co_ci_u32_e32 v2, vcc_lo, 0, v1, vcc_lo
	v_cmp_gt_u32_e32 vcc_lo, 30, v1
	s_delay_alu instid0(VALU_DEP_2)
	v_lshlrev_b32_e32 v2, 2, v2
	v_cndmask_b32_e64 v5, 0, 1, vcc_lo
	ds_bpermute_b32 v4, v2, v6
	s_waitcnt lgkmcnt(0)
	s_and_b32 s3, s3, 0xffff
	v_lshlrev_b32_e32 v5, 1, v5
	v_sub_nc_u32_e64 v12, s3, v7 clamp
	s_delay_alu instid0(VALU_DEP_1) | instskip(SKIP_1) | instid1(VALU_DEP_4)
	v_cmp_lt_u32_e32 vcc_lo, v3, v12
	v_add_f32_e32 v7, v6, v4
	v_add_lshl_u32 v4, v5, v1, 2
	s_delay_alu instid0(VALU_DEP_2) | instskip(SKIP_2) | instid1(VALU_DEP_1)
	v_cndmask_b32_e32 v7, v6, v7, vcc_lo
	v_cmp_gt_u32_e32 vcc_lo, 28, v1
	v_cndmask_b32_e64 v5, 0, 1, vcc_lo
	v_lshlrev_b32_e32 v8, 2, v5
	ds_bpermute_b32 v6, v4, v7
	v_add_nc_u32_e32 v5, 2, v1
	s_delay_alu instid0(VALU_DEP_1) | instskip(SKIP_3) | instid1(VALU_DEP_2)
	v_cmp_lt_u32_e32 vcc_lo, v5, v12
	s_waitcnt lgkmcnt(0)
	v_add_f32_e32 v9, v7, v6
	v_add_lshl_u32 v6, v8, v1, 2
	v_cndmask_b32_e32 v9, v7, v9, vcc_lo
	v_cmp_gt_u32_e32 vcc_lo, 24, v1
	ds_bpermute_b32 v8, v6, v9
	v_cndmask_b32_e64 v7, 0, 1, vcc_lo
	s_delay_alu instid0(VALU_DEP_1) | instskip(SKIP_1) | instid1(VALU_DEP_1)
	v_lshlrev_b32_e32 v10, 3, v7
	v_add_nc_u32_e32 v7, 4, v1
	v_cmp_lt_u32_e32 vcc_lo, v7, v12
	s_waitcnt lgkmcnt(0)
	v_add_f32_e32 v11, v9, v8
	v_add_lshl_u32 v8, v10, v1, 2
	s_delay_alu instid0(VALU_DEP_2) | instskip(SKIP_3) | instid1(VALU_DEP_1)
	v_cndmask_b32_e32 v11, v9, v11, vcc_lo
	v_cmp_gt_u32_e32 vcc_lo, 16, v1
	ds_bpermute_b32 v10, v8, v11
	v_cndmask_b32_e64 v9, 0, 1, vcc_lo
	v_lshlrev_b32_e32 v13, 4, v9
	v_add_nc_u32_e32 v9, 8, v1
	s_delay_alu instid0(VALU_DEP_1) | instskip(SKIP_3) | instid1(VALU_DEP_2)
	v_cmp_lt_u32_e32 vcc_lo, v9, v12
	s_waitcnt lgkmcnt(0)
	v_add_f32_e32 v14, v11, v10
	v_add_lshl_u32 v10, v13, v1, 2
	v_cndmask_b32_e32 v13, v11, v14, vcc_lo
	v_add_nc_u32_e32 v11, 16, v1
	ds_bpermute_b32 v14, v10, v13
	v_cmp_lt_u32_e32 vcc_lo, v11, v12
	s_waitcnt lgkmcnt(0)
	v_add_f32_e32 v14, v13, v14
	s_delay_alu instid0(VALU_DEP_1)
	v_cndmask_b32_e32 v12, v13, v14, vcc_lo
	v_cmpx_eq_u32_e32 0, v1
	s_cbranch_execz .LBB25_12
; %bb.11:
	v_lshrrev_b32_e32 v13, 3, v0
	s_delay_alu instid0(VALU_DEP_1)
	v_and_b32_e32 v13, 0x7c, v13
	ds_store_b32 v13, v12 offset:4096
.LBB25_12:
	s_or_b32 exec_lo, exec_lo, s9
	s_delay_alu instid0(SALU_CYCLE_1)
	s_mov_b32 s9, exec_lo
	s_waitcnt lgkmcnt(0)
	s_barrier
	buffer_gl0_inv
	v_cmpx_gt_u32_e32 32, v0
	s_cbranch_execz .LBB25_14
; %bb.13:
	v_lshlrev_b32_e32 v1, 2, v1
	s_add_i32 s3, s3, 31
	s_delay_alu instid0(SALU_CYCLE_1) | instskip(NEXT) | instid1(SALU_CYCLE_1)
	s_lshr_b32 s3, s3, 5
	v_cmp_gt_u32_e32 vcc_lo, s3, v3
	ds_load_b32 v1, v1 offset:4096
	s_waitcnt lgkmcnt(0)
	ds_bpermute_b32 v2, v2, v1
	s_waitcnt lgkmcnt(0)
	v_add_f32_e32 v2, v1, v2
	s_delay_alu instid0(VALU_DEP_1) | instskip(SKIP_4) | instid1(VALU_DEP_1)
	v_cndmask_b32_e32 v1, v1, v2, vcc_lo
	v_cmp_gt_u32_e32 vcc_lo, s3, v5
	ds_bpermute_b32 v2, v4, v1
	s_waitcnt lgkmcnt(0)
	v_add_f32_e32 v2, v1, v2
	v_cndmask_b32_e32 v1, v1, v2, vcc_lo
	v_cmp_gt_u32_e32 vcc_lo, s3, v7
	ds_bpermute_b32 v2, v6, v1
	s_waitcnt lgkmcnt(0)
	v_add_f32_e32 v2, v1, v2
	s_delay_alu instid0(VALU_DEP_1) | instskip(SKIP_4) | instid1(VALU_DEP_1)
	v_cndmask_b32_e32 v1, v1, v2, vcc_lo
	v_cmp_gt_u32_e32 vcc_lo, s3, v9
	ds_bpermute_b32 v2, v8, v1
	s_waitcnt lgkmcnt(0)
	v_add_f32_e32 v2, v1, v2
	v_cndmask_b32_e32 v1, v1, v2, vcc_lo
	v_cmp_gt_u32_e32 vcc_lo, s3, v11
	ds_bpermute_b32 v2, v10, v1
	s_waitcnt lgkmcnt(0)
	v_add_f32_e32 v2, v1, v2
	s_delay_alu instid0(VALU_DEP_1)
	v_cndmask_b32_e32 v12, v1, v2, vcc_lo
.LBB25_14:
	s_or_b32 exec_lo, exec_lo, s9
	s_delay_alu instid0(SALU_CYCLE_1)
	s_mov_b32 s3, exec_lo
	v_cmpx_eq_u32_e32 0, v0
	s_cbranch_execz .LBB25_16
; %bb.15:
	v_cvt_f32_i32_e32 v1, s13
	s_delay_alu instid0(VALU_DEP_1) | instskip(SKIP_1) | instid1(VALU_DEP_2)
	v_div_scale_f32 v2, null, v1, v1, v12
	v_div_scale_f32 v5, vcc_lo, v12, v1, v12
	v_rcp_f32_e32 v3, v2
	s_waitcnt_depctr 0xfff
	v_fma_f32 v4, -v2, v3, 1.0
	s_delay_alu instid0(VALU_DEP_1) | instskip(NEXT) | instid1(VALU_DEP_1)
	v_fmac_f32_e32 v3, v4, v3
	v_mul_f32_e32 v4, v5, v3
	s_delay_alu instid0(VALU_DEP_1) | instskip(NEXT) | instid1(VALU_DEP_1)
	v_fma_f32 v6, -v2, v4, v5
	v_fmac_f32_e32 v4, v6, v3
	s_delay_alu instid0(VALU_DEP_1) | instskip(NEXT) | instid1(VALU_DEP_1)
	v_fma_f32 v2, -v2, v4, v5
	v_div_fmas_f32 v2, v2, v3, v4
	s_delay_alu instid0(VALU_DEP_1) | instskip(NEXT) | instid1(VALU_DEP_1)
	v_div_fixup_f32 v1, v2, v1, v12
	v_add_f32_e32 v1, s12, v1
	s_delay_alu instid0(VALU_DEP_1) | instskip(SKIP_1) | instid1(VALU_DEP_2)
	v_mul_f32_e32 v2, 0x4b800000, v1
	v_cmp_gt_f32_e32 vcc_lo, 0x800000, v1
	v_cndmask_b32_e32 v1, v1, v2, vcc_lo
	s_delay_alu instid0(VALU_DEP_1) | instskip(SKIP_2) | instid1(VALU_DEP_1)
	v_rsq_f32_e32 v1, v1
	s_waitcnt_depctr 0xfff
	v_mul_f32_e32 v2, 0x45800000, v1
	v_dual_cndmask_b32 v1, v1, v2 :: v_dual_mov_b32 v2, 0
	ds_store_b32 v2, v1 offset:4224
.LBB25_16:
	s_or_b32 exec_lo, exec_lo, s3
	s_ashr_i32 s15, s13, 31
	v_mov_b32_e32 v4, 0
	s_lshr_b32 s3, s15, 25
	s_waitcnt lgkmcnt(0)
	s_add_i32 s3, s13, s3
	s_barrier
	s_ashr_i32 s12, s3, 7
	s_cmp_lt_u32 s16, s29
	buffer_gl0_inv
	s_cselect_b32 s9, 12, 18
	ds_load_b32 v28, v4 offset:4224
	s_add_u32 s18, s18, s9
	s_addc_u32 s19, s19, 0
	s_abs_i32 s9, s12
	global_load_u16 v1, v4, s[18:19]
	v_cvt_f32_u32_e32 v2, s9
	s_sub_i32 s18, 0, s9
	s_ashr_i32 s3, s3, 31
	s_delay_alu instid0(VALU_DEP_1) | instskip(SKIP_2) | instid1(VALU_DEP_1)
	v_rcp_iflag_f32_e32 v2, v2
	s_waitcnt_depctr 0xfff
	v_mul_f32_e32 v2, 0x4f7ffffe, v2
	v_cvt_u32_f32_e32 v2, v2
	s_delay_alu instid0(VALU_DEP_1) | instskip(NEXT) | instid1(VALU_DEP_1)
	v_readfirstlane_b32 s13, v2
	s_mul_i32 s18, s18, s13
	s_delay_alu instid0(SALU_CYCLE_1) | instskip(NEXT) | instid1(SALU_CYCLE_1)
	s_mul_hi_u32 s18, s13, s18
	s_add_i32 s13, s13, s18
	s_waitcnt vmcnt(0)
	v_readfirstlane_b32 s28, v1
	s_delay_alu instid0(VALU_DEP_1) | instskip(NEXT) | instid1(SALU_CYCLE_1)
	s_mul_hi_u32 s13, s28, s13
	s_mul_i32 s18, s13, s9
	s_add_i32 s19, s13, 1
	s_sub_i32 s18, s28, s18
	s_delay_alu instid0(SALU_CYCLE_1)
	s_sub_i32 s20, s18, s9
	s_cmp_ge_u32 s18, s9
	s_cselect_b32 s13, s19, s13
	s_cselect_b32 s18, s20, s18
	s_add_i32 s19, s13, 1
	s_cmp_ge_u32 s18, s9
	s_cselect_b32 s9, s19, s13
	s_delay_alu instid0(SALU_CYCLE_1) | instskip(NEXT) | instid1(SALU_CYCLE_1)
	s_xor_b32 s9, s9, s3
	s_sub_i32 s18, s9, s3
	s_delay_alu instid0(SALU_CYCLE_1) | instskip(SKIP_3) | instid1(VALU_DEP_1)
	s_abs_i32 s3, s18
	s_ashr_i32 s19, s18, 31
	v_cvt_f32_u32_e32 v1, s3
	s_sub_i32 s9, 0, s3
	v_rcp_iflag_f32_e32 v1, v1
	s_waitcnt_depctr 0xfff
	v_mul_f32_e32 v1, 0x4f7ffffe, v1
	s_delay_alu instid0(VALU_DEP_1) | instskip(NEXT) | instid1(VALU_DEP_1)
	v_cvt_u32_f32_e32 v1, v1
	v_mul_lo_u32 v2, s9, v1
	s_ashr_i32 s9, s8, 31
	s_delay_alu instid0(VALU_DEP_1) | instskip(NEXT) | instid1(VALU_DEP_1)
	v_mul_hi_u32 v2, v1, v2
	v_add_nc_u32_e32 v1, v1, v2
	s_delay_alu instid0(VALU_DEP_1) | instskip(NEXT) | instid1(VALU_DEP_1)
	v_mul_hi_u32 v1, v0, v1
	v_mul_lo_u32 v2, v1, s3
	v_add_nc_u32_e32 v3, 1, v1
	s_delay_alu instid0(VALU_DEP_2) | instskip(NEXT) | instid1(VALU_DEP_1)
	v_sub_nc_u32_e32 v2, v0, v2
	v_subrev_nc_u32_e32 v5, s3, v2
	v_cmp_le_u32_e32 vcc_lo, s3, v2
	s_delay_alu instid0(VALU_DEP_2) | instskip(NEXT) | instid1(VALU_DEP_1)
	v_dual_cndmask_b32 v2, v2, v5 :: v_dual_cndmask_b32 v1, v1, v3
	v_cmp_le_u32_e32 vcc_lo, s3, v2
	s_delay_alu instid0(VALU_DEP_2) | instskip(NEXT) | instid1(VALU_DEP_1)
	v_add_nc_u32_e32 v3, 1, v1
	v_cndmask_b32_e32 v1, v1, v3, vcc_lo
	s_delay_alu instid0(VALU_DEP_1) | instskip(NEXT) | instid1(VALU_DEP_1)
	v_xor_b32_e32 v1, s19, v1
	v_subrev_nc_u32_e32 v1, s19, v1
	s_delay_alu instid0(VALU_DEP_1) | instskip(SKIP_1) | instid1(VALU_DEP_2)
	v_ashrrev_i32_e32 v2, 31, v1
	v_mul_lo_u32 v3, v1, s18
	v_lshlrev_b64 v[7:8], 5, v[1:2]
	s_delay_alu instid0(VALU_DEP_2) | instskip(NEXT) | instid1(VALU_DEP_2)
	v_sub_nc_u32_e32 v3, v0, v3
	v_add_co_u32 v5, vcc_lo, v7, 32
	s_delay_alu instid0(VALU_DEP_3) | instskip(NEXT) | instid1(VALU_DEP_1)
	v_add_co_ci_u32_e32 v6, vcc_lo, 0, v8, vcc_lo
	v_cmp_gt_i64_e32 vcc_lo, s[8:9], v[5:6]
	v_cndmask_b32_e32 v6, s9, v6, vcc_lo
	v_cndmask_b32_e32 v5, s8, v5, vcc_lo
	v_add_co_u32 v7, vcc_lo, v7, v3
	v_add_co_ci_u32_e32 v8, vcc_lo, 0, v8, vcc_lo
	s_delay_alu instid0(VALU_DEP_3) | instskip(SKIP_2) | instid1(VALU_DEP_1)
	v_ashrrev_i32_e32 v10, 31, v5
	v_mov_b32_e32 v9, v5
	s_mov_b32 s9, exec_lo
	v_cmpx_lt_i64_e64 v[7:8], v[9:10]
	s_cbranch_execz .LBB25_26
; %bb.17:
	v_lshlrev_b64 v[11:12], 9, v[1:2]
	v_lshlrev_b64 v[13:14], 4, v[3:4]
	v_mov_b32_e32 v4, 0
	s_lshl_b64 s[20:21], s[18:19], 6
	s_mul_hi_i32 s13, s18, 3
	s_mul_i32 s30, s18, 3
	s_lshl_b64 s[22:23], s[18:19], 1
	v_add_co_u32 v19, vcc_lo, v11, v13
	v_add_co_ci_u32_e32 v20, vcc_lo, v12, v14, vcc_lo
	v_dual_mov_b32 v12, v8 :: v_dual_mov_b32 v11, v7
	s_lshl_b64 s[24:25], s[18:19], 4
	s_mov_b32 s31, 0
                                        ; implicit-def: $sgpr33
	s_branch .LBB25_21
.LBB25_18:                              ;   in Loop: Header=BB25_21 Depth=1
	s_or_b32 exec_lo, exec_lo, s36
	s_delay_alu instid0(SALU_CYCLE_1)
	s_or_not1_b32 s3, s3, exec_lo
.LBB25_19:                              ;   in Loop: Header=BB25_21 Depth=1
	s_or_b32 exec_lo, exec_lo, s35
	s_delay_alu instid0(SALU_CYCLE_1) | instskip(SKIP_1) | instid1(SALU_CYCLE_1)
	s_and_not1_b32 s33, s33, exec_lo
	s_and_b32 s3, s3, exec_lo
	s_or_b32 s33, s33, s3
.LBB25_20:                              ;   in Loop: Header=BB25_21 Depth=1
	s_or_b32 exec_lo, exec_lo, s34
	s_delay_alu instid0(SALU_CYCLE_1) | instskip(NEXT) | instid1(SALU_CYCLE_1)
	s_and_b32 s3, exec_lo, s33
	s_or_b32 s31, s3, s31
	s_delay_alu instid0(SALU_CYCLE_1)
	s_and_not1_b32 exec_lo, exec_lo, s31
	s_cbranch_execz .LBB25_25
.LBB25_21:                              ; =>This Inner Loop Header: Depth=1
	v_add_co_u32 v15, vcc_lo, s26, v19
	v_add_co_ci_u32_e32 v16, vcc_lo, s27, v20, vcc_lo
	v_add_co_u32 v17, vcc_lo, s10, v19
	v_add_co_ci_u32_e32 v18, vcc_lo, s11, v20, vcc_lo
	s_or_b32 s33, s33, exec_lo
	global_load_b128 v[21:24], v[15:16], off
	global_load_b128 v[29:32], v[17:18], off
	s_mov_b32 s34, exec_lo
	s_waitcnt vmcnt(1) lgkmcnt(0)
	v_mul_f32_e32 v14, v28, v22
	v_mul_f32_e32 v13, v28, v21
	;; [unrolled: 1-line block ×3, first 2 shown]
	s_waitcnt vmcnt(0)
	s_delay_alu instid0(VALU_DEP_3) | instskip(NEXT) | instid1(VALU_DEP_2)
	v_dual_mul_f32 v21, v28, v23 :: v_dual_mul_f32 v24, v14, v30
	v_dual_mul_f32 v23, v13, v29 :: v_dual_mul_f32 v22, v22, v32
	s_delay_alu instid0(VALU_DEP_2) | instskip(SKIP_1) | instid1(VALU_DEP_3)
	v_mul_f32_e32 v21, v21, v31
	v_add_co_u32 v13, vcc_lo, v11, s18
	v_max3_f32 v4, v4, |v23|, |v24|
	v_add_co_ci_u32_e32 v14, vcc_lo, s19, v12, vcc_lo
	s_delay_alu instid0(VALU_DEP_2) | instskip(NEXT) | instid1(VALU_DEP_2)
	v_max3_f32 v4, v4, |v21|, |v22|
	v_cmpx_lt_i64_e64 v[13:14], v[9:10]
	s_cbranch_execz .LBB25_20
; %bb.22:                               ;   in Loop: Header=BB25_21 Depth=1
	v_add_co_u32 v15, vcc_lo, v15, s24
	v_add_co_ci_u32_e32 v16, vcc_lo, s25, v16, vcc_lo
	v_add_co_u32 v17, vcc_lo, v17, s24
	v_add_co_ci_u32_e32 v18, vcc_lo, s25, v18, vcc_lo
	s_mov_b32 s3, -1
	global_load_b128 v[21:24], v[15:16], off
	global_load_b128 v[29:32], v[17:18], off
	s_mov_b32 s35, exec_lo
	s_waitcnt vmcnt(1)
	v_mul_f32_e32 v22, v28, v22
	v_mul_f32_e32 v21, v28, v21
	;; [unrolled: 1-line block ×4, first 2 shown]
	s_waitcnt vmcnt(0)
	s_delay_alu instid0(VALU_DEP_3) | instskip(NEXT) | instid1(VALU_DEP_2)
	v_dual_mul_f32 v26, v22, v30 :: v_dual_mul_f32 v25, v21, v29
	v_dual_mul_f32 v23, v23, v31 :: v_dual_mul_f32 v24, v24, v32
	v_add_co_u32 v21, vcc_lo, s22, v11
	s_delay_alu instid0(VALU_DEP_3) | instskip(SKIP_1) | instid1(VALU_DEP_2)
	v_max3_f32 v4, v4, |v25|, |v26|
	v_add_co_ci_u32_e32 v22, vcc_lo, s23, v12, vcc_lo
	v_max3_f32 v4, v4, |v23|, |v24|
	s_delay_alu instid0(VALU_DEP_2)
	v_cmpx_lt_i64_e64 v[21:22], v[9:10]
	s_cbranch_execz .LBB25_19
; %bb.23:                               ;   in Loop: Header=BB25_21 Depth=1
	v_add_co_u32 v15, vcc_lo, v15, s24
	v_add_co_ci_u32_e32 v16, vcc_lo, s25, v16, vcc_lo
	v_add_co_u32 v17, vcc_lo, v17, s24
	v_add_co_ci_u32_e32 v18, vcc_lo, s25, v18, vcc_lo
	v_add_co_u32 v11, vcc_lo, s30, v11
	global_load_b128 v[21:24], v[15:16], off
	global_load_b128 v[29:32], v[17:18], off
	v_add_co_ci_u32_e32 v12, vcc_lo, s13, v12, vcc_lo
	s_delay_alu instid0(VALU_DEP_1)
	v_cmp_lt_i64_e32 vcc_lo, v[11:12], v[9:10]
                                        ; implicit-def: $vgpr11_vgpr12
	s_waitcnt vmcnt(1)
	v_mul_f32_e32 v22, v28, v22
	v_mul_f32_e32 v21, v28, v21
	v_mul_f32_e32 v23, v28, v23
	v_mul_f32_e32 v24, v28, v24
	s_waitcnt vmcnt(0)
	s_delay_alu instid0(VALU_DEP_3) | instskip(NEXT) | instid1(VALU_DEP_3)
	v_dual_mul_f32 v22, v22, v30 :: v_dual_mul_f32 v21, v21, v29
	v_mul_f32_e32 v23, v23, v31
	s_delay_alu instid0(VALU_DEP_2) | instskip(SKIP_1) | instid1(VALU_DEP_1)
	v_max3_f32 v4, v4, |v21|, |v22|
	v_mul_f32_e32 v21, v24, v32
	v_max3_f32 v4, v4, |v23|, |v21|
	s_and_saveexec_b32 s36, vcc_lo
	s_delay_alu instid0(SALU_CYCLE_1)
	s_xor_b32 s36, exec_lo, s36
	s_cbranch_execz .LBB25_18
; %bb.24:                               ;   in Loop: Header=BB25_21 Depth=1
	v_add_co_u32 v11, vcc_lo, v15, s24
	v_add_co_ci_u32_e32 v12, vcc_lo, s25, v16, vcc_lo
	v_add_co_u32 v21, vcc_lo, v17, s24
	v_add_co_ci_u32_e32 v22, vcc_lo, s25, v18, vcc_lo
	s_add_u32 s3, s18, s18
	global_load_b128 v[15:18], v[11:12], off
	global_load_b128 v[21:24], v[21:22], off
	s_addc_u32 s37, s19, s19
	s_add_u32 s3, s3, s18
	s_addc_u32 s37, s37, s19
	s_waitcnt vmcnt(1)
	v_mul_f32_e32 v11, v28, v15
	v_mul_f32_e32 v12, v28, v16
	;; [unrolled: 1-line block ×3, first 2 shown]
	s_waitcnt vmcnt(0)
	s_delay_alu instid0(VALU_DEP_3) | instskip(NEXT) | instid1(VALU_DEP_3)
	v_dual_mul_f32 v16, v28, v18 :: v_dual_mul_f32 v17, v11, v21
	v_mul_f32_e32 v18, v12, v22
	v_add_co_u32 v11, vcc_lo, s3, v13
	v_mul_f32_e32 v13, v15, v23
	v_add_co_ci_u32_e32 v12, vcc_lo, s37, v14, vcc_lo
	v_mul_f32_e32 v14, v16, v24
	v_max3_f32 v4, v4, |v17|, |v18|
	v_add_co_u32 v19, s3, v19, s20
	s_delay_alu instid0(VALU_DEP_4) | instskip(SKIP_1) | instid1(VALU_DEP_4)
	v_cmp_ge_i64_e32 vcc_lo, v[11:12], v[9:10]
	v_add_co_ci_u32_e64 v20, s3, s21, v20, s3
	v_max3_f32 v4, v4, |v13|, |v14|
	s_or_not1_b32 s3, vcc_lo, exec_lo
	s_branch .LBB25_18
.LBB25_25:
	s_or_b32 exec_lo, exec_lo, s31
.LBB25_26:
	s_delay_alu instid0(SALU_CYCLE_1)
	s_or_b32 exec_lo, exec_lo, s9
	s_lshr_b32 s9, s28, 5
	v_lshlrev_b32_e32 v29, 2, v0
	v_cvt_f32_u32_e32 v9, s9
	s_sub_i32 s13, 0, s9
	s_add_i32 s20, s12, s9
	s_delay_alu instid0(SALU_CYCLE_1) | instskip(NEXT) | instid1(VALU_DEP_1)
	s_add_i32 s20, s20, -1
	v_rcp_iflag_f32_e32 v9, v9
	s_abs_i32 s21, s20
	s_ashr_i32 s20, s20, 31
	ds_store_b32 v29, v4
	s_waitcnt lgkmcnt(0)
	s_barrier
	buffer_gl0_inv
	v_mul_f32_e32 v9, 0x4f7ffffe, v9
	s_delay_alu instid0(VALU_DEP_1) | instskip(NEXT) | instid1(VALU_DEP_1)
	v_cvt_u32_f32_e32 v9, v9
	v_readfirstlane_b32 s3, v9
	s_delay_alu instid0(VALU_DEP_1) | instskip(NEXT) | instid1(SALU_CYCLE_1)
	s_mul_i32 s13, s13, s3
	s_mul_hi_u32 s13, s3, s13
	s_delay_alu instid0(SALU_CYCLE_1) | instskip(NEXT) | instid1(SALU_CYCLE_1)
	s_add_i32 s3, s3, s13
	s_mul_hi_u32 s3, s21, s3
	s_delay_alu instid0(SALU_CYCLE_1) | instskip(NEXT) | instid1(SALU_CYCLE_1)
	s_mul_i32 s13, s3, s9
	s_sub_i32 s13, s21, s13
	s_add_i32 s21, s3, 1
	s_sub_i32 s22, s13, s9
	s_cmp_ge_u32 s13, s9
	s_cselect_b32 s3, s21, s3
	s_cselect_b32 s13, s22, s13
	s_add_i32 s21, s3, 1
	s_cmp_ge_u32 s13, s9
	s_cselect_b32 s3, s21, s3
	s_delay_alu instid0(SALU_CYCLE_1) | instskip(NEXT) | instid1(SALU_CYCLE_1)
	s_xor_b32 s3, s3, s20
	s_sub_i32 s20, s3, s20
	s_delay_alu instid0(SALU_CYCLE_1) | instskip(NEXT) | instid1(SALU_CYCLE_1)
	s_ashr_i32 s21, s20, 31
	v_cmp_lt_i64_e64 s3, s[20:21], 1
	s_delay_alu instid0(VALU_DEP_1)
	s_and_b32 vcc_lo, exec_lo, s3
	s_cbranch_vccnz .LBB25_46
; %bb.27:
	v_lshrrev_b32_e32 v9, 5, v0
	v_and_b32_e32 v4, 31, v0
	s_ashr_i32 s13, s12, 31
	s_mov_b64 s[22:23], 0
	s_mov_b64 s[24:25], src_shared_base
	v_mul_lo_u32 v19, s18, v9
	v_add_co_u32 v11, s3, v4, 16
	s_delay_alu instid0(VALU_DEP_1) | instskip(SKIP_1) | instid1(VALU_DEP_1)
	v_add_co_ci_u32_e64 v12, null, 0, 0, s3
	v_add_co_u32 v13, s3, v4, 8
	v_add_co_ci_u32_e64 v14, null, 0, 0, s3
	v_add_co_u32 v15, s3, v4, 4
	v_dual_mov_b32 v10, 0 :: v_dual_lshlrev_b32 v21, 2, v19
	v_lshlrev_b32_e32 v22, 2, v4
	v_add_co_ci_u32_e64 v16, null, 0, 0, s3
	v_add_co_u32 v17, s3, v4, 2
	s_delay_alu instid0(VALU_DEP_1) | instskip(SKIP_1) | instid1(VALU_DEP_1)
	v_add_co_ci_u32_e64 v18, null, 0, 0, s3
	v_add_co_u32 v19, s3, v4, 1
	v_add_co_ci_u32_e64 v20, null, 0, 0, s3
	v_add3_u32 v30, v21, v22, 0x80
	s_mul_i32 s3, s18, s9
	s_delay_alu instid0(SALU_CYCLE_1)
	s_lshl_b32 s30, s3, 2
	s_branch .LBB25_30
.LBB25_28:                              ;   in Loop: Header=BB25_30 Depth=1
	s_or_b32 exec_lo, exec_lo, s3
	v_mov_b32_e32 v22, s25
	flat_load_b32 v21, v[21:22] glc dlc
	s_waitcnt vmcnt(0)
.LBB25_29:                              ;   in Loop: Header=BB25_30 Depth=1
	s_or_b32 exec_lo, exec_lo, s24
	s_add_u32 s22, s22, 1
	v_add_nc_u32_e32 v30, s30, v30
	s_addc_u32 s23, s23, 0
	s_delay_alu instid0(SALU_CYCLE_1)
	s_cmp_eq_u64 s[22:23], s[20:21]
	s_cbranch_scc1 .LBB25_46
.LBB25_30:                              ; =>This Loop Header: Depth=1
                                        ;     Child Loop BB25_33 Depth 2
	s_waitcnt lgkmcnt(0)
	v_mad_u64_u32 v[21:22], null, s22, s9, v[9:10]
	s_mov_b32 s24, exec_lo
	s_delay_alu instid0(VALU_DEP_1) | instskip(NEXT) | instid1(VALU_DEP_1)
	v_mad_u64_u32 v[23:24], null, s23, s9, v[22:23]
	v_mov_b32_e32 v22, v23
	s_delay_alu instid0(VALU_DEP_1)
	v_cmpx_gt_i64_e64 s[12:13], v[21:22]
	s_cbranch_execz .LBB25_29
; %bb.31:                               ;   in Loop: Header=BB25_30 Depth=1
	v_mul_lo_u32 v24, v22, s18
	v_mul_lo_u32 v25, v21, s19
	v_mad_u64_u32 v[22:23], null, v21, s18, 0
	s_delay_alu instid0(VALU_DEP_1) | instskip(NEXT) | instid1(VALU_DEP_2)
	v_add3_u32 v23, v23, v25, v24
	v_add_co_u32 v24, vcc_lo, v22, s18
	v_add_co_u32 v31, s3, v22, v4
	s_delay_alu instid0(VALU_DEP_3) | instskip(SKIP_2) | instid1(VALU_DEP_2)
	v_add_co_ci_u32_e32 v25, vcc_lo, s19, v23, vcc_lo
	v_add_co_ci_u32_e64 v21, s3, 0, v23, s3
	s_mov_b32 s3, exec_lo
	v_cmp_gt_i64_e32 vcc_lo, s[14:15], v[24:25]
	v_cndmask_b32_e32 v25, s15, v25, vcc_lo
	v_cndmask_b32_e32 v24, s14, v24, vcc_lo
	v_add_co_u32 v26, vcc_lo, v31, 32
	v_add_co_ci_u32_e32 v27, vcc_lo, 0, v21, vcc_lo
	v_lshlrev_b32_e32 v21, 2, v31
	s_delay_alu instid0(VALU_DEP_2)
	v_cmpx_lt_i64_e64 v[26:27], v[24:25]
	s_cbranch_execz .LBB25_34
; %bb.32:                               ;   in Loop: Header=BB25_30 Depth=1
	ds_load_b32 v33, v21
	v_mov_b32_e32 v32, v30
	s_mov_b32 s31, 0
.LBB25_33:                              ;   Parent Loop BB25_30 Depth=1
                                        ; =>  This Inner Loop Header: Depth=2
	ds_load_b32 v34, v32
	v_add_co_u32 v26, vcc_lo, v26, 32
	v_add_co_ci_u32_e32 v27, vcc_lo, 0, v27, vcc_lo
	s_waitcnt lgkmcnt(1)
	v_dual_max_f32 v33, v33, v33 :: v_dual_add_nc_u32 v32, 0x80, v32
	s_delay_alu instid0(VALU_DEP_2) | instskip(SKIP_3) | instid1(VALU_DEP_1)
	v_cmp_ge_i64_e32 vcc_lo, v[26:27], v[24:25]
	s_or_b32 s31, vcc_lo, s31
	s_waitcnt lgkmcnt(0)
	v_max_f32_e32 v34, v34, v34
	v_max_f32_e32 v33, v33, v34
	ds_store_b32 v21, v33
	s_and_not1_b32 exec_lo, exec_lo, s31
	s_cbranch_execnz .LBB25_33
.LBB25_34:                              ;   in Loop: Header=BB25_30 Depth=1
	s_or_b32 exec_lo, exec_lo, s3
	v_sub_co_u32 v22, vcc_lo, v24, v22
	v_sub_co_ci_u32_e32 v23, vcc_lo, v25, v23, vcc_lo
	s_mov_b32 s3, exec_lo
	s_delay_alu instid0(VALU_DEP_1) | instskip(SKIP_1) | instid1(VALU_DEP_1)
	v_cmp_gt_i64_e32 vcc_lo, 32, v[22:23]
	v_dual_cndmask_b32 v24, 0, v23 :: v_dual_cndmask_b32 v23, 32, v22
	v_cmpx_lt_i64_e64 v[11:12], v[23:24]
	s_cbranch_execz .LBB25_36
; %bb.35:                               ;   in Loop: Header=BB25_30 Depth=1
	v_dual_mov_b32 v22, s25 :: v_dual_add_nc_u32 v25, 64, v21
	v_mov_b32_e32 v26, s25
	flat_load_b32 v27, v[21:22] glc dlc
	s_waitcnt vmcnt(0)
	flat_load_b32 v25, v[25:26] glc dlc
	s_waitcnt vmcnt(0) lgkmcnt(0)
	v_dual_max_f32 v26, v27, v27 :: v_dual_max_f32 v25, v25, v25
	s_delay_alu instid0(VALU_DEP_1)
	v_max_f32_e32 v25, v26, v25
	flat_store_b32 v[21:22], v25 dlc
	s_waitcnt_vscnt null, 0x0
.LBB25_36:                              ;   in Loop: Header=BB25_30 Depth=1
	s_or_b32 exec_lo, exec_lo, s3
	s_delay_alu instid0(SALU_CYCLE_1)
	s_mov_b32 s3, exec_lo
	v_cmpx_lt_i64_e64 v[13:14], v[23:24]
	s_cbranch_execz .LBB25_38
; %bb.37:                               ;   in Loop: Header=BB25_30 Depth=1
	v_dual_mov_b32 v22, s25 :: v_dual_add_nc_u32 v25, 32, v21
	v_mov_b32_e32 v26, s25
	flat_load_b32 v27, v[21:22] glc dlc
	s_waitcnt vmcnt(0)
	flat_load_b32 v25, v[25:26] glc dlc
	s_waitcnt vmcnt(0) lgkmcnt(0)
	v_dual_max_f32 v26, v27, v27 :: v_dual_max_f32 v25, v25, v25
	s_delay_alu instid0(VALU_DEP_1)
	v_max_f32_e32 v25, v26, v25
	flat_store_b32 v[21:22], v25 dlc
	s_waitcnt_vscnt null, 0x0
.LBB25_38:                              ;   in Loop: Header=BB25_30 Depth=1
	s_or_b32 exec_lo, exec_lo, s3
	s_delay_alu instid0(SALU_CYCLE_1)
	s_mov_b32 s3, exec_lo
	v_cmpx_ge_i64_e64 v[15:16], v[23:24]
	s_xor_b32 s3, exec_lo, s3
; %bb.39:                               ;   in Loop: Header=BB25_30 Depth=1
                                        ; implicit-def: $vgpr21
; %bb.40:                               ;   in Loop: Header=BB25_30 Depth=1
	s_delay_alu instid0(SALU_CYCLE_1)
	s_and_not1_saveexec_b32 s3, s3
	s_cbranch_execz .LBB25_42
; %bb.41:                               ;   in Loop: Header=BB25_30 Depth=1
	v_dual_mov_b32 v22, s25 :: v_dual_add_nc_u32 v25, 16, v21
	v_mov_b32_e32 v26, s25
	flat_load_b32 v27, v[21:22] glc dlc
	s_waitcnt vmcnt(0)
	flat_load_b32 v25, v[25:26] glc dlc
	s_waitcnt vmcnt(0) lgkmcnt(0)
	v_dual_max_f32 v26, v27, v27 :: v_dual_max_f32 v25, v25, v25
	s_delay_alu instid0(VALU_DEP_1)
	v_max_f32_e32 v25, v26, v25
	flat_store_b32 v[21:22], v25 dlc
	s_waitcnt_vscnt null, 0x0
.LBB25_42:                              ;   in Loop: Header=BB25_30 Depth=1
	s_or_b32 exec_lo, exec_lo, s3
	v_lshlrev_b32_e32 v21, 2, v31
	s_mov_b32 s3, exec_lo
	v_cmpx_lt_i64_e64 v[17:18], v[23:24]
	s_cbranch_execz .LBB25_44
; %bb.43:                               ;   in Loop: Header=BB25_30 Depth=1
	s_delay_alu instid0(VALU_DEP_2)
	v_dual_mov_b32 v22, s25 :: v_dual_add_nc_u32 v25, 8, v21
	v_mov_b32_e32 v26, s25
	flat_load_b32 v27, v[21:22] glc dlc
	s_waitcnt vmcnt(0)
	flat_load_b32 v25, v[25:26] glc dlc
	s_waitcnt vmcnt(0) lgkmcnt(0)
	v_dual_max_f32 v26, v27, v27 :: v_dual_max_f32 v25, v25, v25
	s_delay_alu instid0(VALU_DEP_1)
	v_max_f32_e32 v25, v26, v25
	flat_store_b32 v[21:22], v25 dlc
	s_waitcnt_vscnt null, 0x0
.LBB25_44:                              ;   in Loop: Header=BB25_30 Depth=1
	s_or_b32 exec_lo, exec_lo, s3
	s_delay_alu instid0(SALU_CYCLE_1)
	s_mov_b32 s3, exec_lo
	v_cmpx_lt_i64_e64 v[19:20], v[23:24]
	s_cbranch_execz .LBB25_28
; %bb.45:                               ;   in Loop: Header=BB25_30 Depth=1
	v_dual_mov_b32 v22, s25 :: v_dual_add_nc_u32 v23, 4, v21
	v_mov_b32_e32 v24, s25
	flat_load_b32 v25, v[21:22] glc dlc
	s_waitcnt vmcnt(0)
	flat_load_b32 v23, v[23:24] glc dlc
	s_waitcnt vmcnt(0) lgkmcnt(0)
	v_dual_max_f32 v24, v25, v25 :: v_dual_max_f32 v23, v23, v23
	s_delay_alu instid0(VALU_DEP_1)
	v_max_f32_e32 v23, v24, v23
	flat_store_b32 v[21:22], v23 dlc
	s_waitcnt_vscnt null, 0x0
	s_branch .LBB25_28
.LBB25_46:
	s_load_b64 s[12:13], s[0:1], 0x40
	v_cmp_lt_i64_e32 vcc_lo, v[7:8], v[5:6]
	v_cmp_eq_u32_e64 s3, 0, v3
	s_waitcnt lgkmcnt(0)
	s_barrier
	buffer_gl0_inv
	s_and_b32 s9, s3, vcc_lo
	s_delay_alu instid0(SALU_CYCLE_1)
	s_and_saveexec_b32 s3, s9
	s_cbranch_execz .LBB25_53
; %bb.47:
	s_load_b64 s[0:1], s[0:1], 0x20
	ds_load_b32 v5, v29
	s_waitcnt lgkmcnt(0)
	s_cmp_eq_u64 s[0:1], 0
	s_cbranch_scc1 .LBB25_49
; %bb.48:
	s_load_b32 s0, s[0:1], 0x0
	v_max_f32_e32 v3, v5, v5
	s_waitcnt lgkmcnt(0)
	v_max_f32_e64 v4, s0, s0
	s_delay_alu instid0(VALU_DEP_1)
	v_min_f32_e32 v5, v3, v4
.LBB25_49:
	s_add_u32 s0, s12, s29
	s_addc_u32 s1, s13, 0
	s_add_u32 s18, s0, -1
	s_addc_u32 s19, s1, -1
	s_delay_alu instid0(SALU_CYCLE_1) | instskip(SKIP_1) | instid1(SALU_CYCLE_1)
	s_or_b64 s[20:21], s[18:19], s[12:13]
	s_mov_b32 s20, 0
	s_cmp_lg_u64 s[20:21], 0
	s_cbranch_scc0 .LBB25_194
; %bb.50:
	s_ashr_i32 s0, s13, 31
	s_delay_alu instid0(SALU_CYCLE_1) | instskip(SKIP_2) | instid1(SALU_CYCLE_1)
	s_add_u32 s22, s12, s0
	s_mov_b32 s1, s0
	s_addc_u32 s23, s13, s0
	s_xor_b64 s[0:1], s[22:23], s[0:1]
	s_delay_alu instid0(SALU_CYCLE_1) | instskip(SKIP_3) | instid1(VALU_DEP_1)
	v_cvt_f32_u32_e32 v3, s0
	v_cvt_f32_u32_e32 v4, s1
	s_sub_u32 s22, 0, s0
	s_subb_u32 s23, 0, s1
	v_fmamk_f32 v3, v4, 0x4f800000, v3
	s_delay_alu instid0(VALU_DEP_1) | instskip(SKIP_2) | instid1(VALU_DEP_1)
	v_rcp_f32_e32 v3, v3
	s_waitcnt_depctr 0xfff
	v_mul_f32_e32 v3, 0x5f7ffffc, v3
	v_mul_f32_e32 v4, 0x2f800000, v3
	s_delay_alu instid0(VALU_DEP_1) | instskip(NEXT) | instid1(VALU_DEP_1)
	v_trunc_f32_e32 v4, v4
	v_fmamk_f32 v3, v4, 0xcf800000, v3
	v_cvt_u32_f32_e32 v4, v4
	s_delay_alu instid0(VALU_DEP_2) | instskip(NEXT) | instid1(VALU_DEP_2)
	v_cvt_u32_f32_e32 v3, v3
	v_readfirstlane_b32 s9, v4
	s_delay_alu instid0(VALU_DEP_2) | instskip(NEXT) | instid1(VALU_DEP_2)
	v_readfirstlane_b32 s21, v3
	s_mul_i32 s24, s22, s9
	s_delay_alu instid0(VALU_DEP_1)
	s_mul_hi_u32 s30, s22, s21
	s_mul_i32 s25, s23, s21
	s_add_i32 s24, s30, s24
	s_mul_i32 s31, s22, s21
	s_add_i32 s24, s24, s25
	s_mul_hi_u32 s30, s21, s31
	s_mul_hi_u32 s33, s9, s31
	s_mul_i32 s25, s9, s31
	s_mul_hi_u32 s31, s21, s24
	s_mul_i32 s21, s21, s24
	s_mul_hi_u32 s34, s9, s24
	s_add_u32 s21, s30, s21
	s_addc_u32 s30, 0, s31
	s_add_u32 s21, s21, s25
	s_mul_i32 s24, s9, s24
	s_addc_u32 s21, s30, s33
	s_addc_u32 s25, s34, 0
	s_add_u32 s21, s21, s24
	s_addc_u32 s24, 0, s25
	v_add_co_u32 v3, s21, v3, s21
	s_delay_alu instid0(VALU_DEP_1) | instskip(SKIP_1) | instid1(VALU_DEP_1)
	s_cmp_lg_u32 s21, 0
	s_addc_u32 s9, s9, s24
	v_readfirstlane_b32 s21, v3
	s_mul_i32 s24, s22, s9
	s_delay_alu instid0(VALU_DEP_1)
	s_mul_hi_u32 s25, s22, s21
	s_mul_i32 s23, s23, s21
	s_add_i32 s24, s25, s24
	s_mul_i32 s22, s22, s21
	s_add_i32 s24, s24, s23
	s_mul_hi_u32 s25, s9, s22
	s_mul_i32 s30, s9, s22
	s_mul_hi_u32 s22, s21, s22
	s_mul_hi_u32 s31, s21, s24
	s_mul_i32 s21, s21, s24
	s_mul_hi_u32 s23, s9, s24
	s_add_u32 s21, s22, s21
	s_addc_u32 s22, 0, s31
	s_add_u32 s21, s21, s30
	s_mul_i32 s24, s9, s24
	s_addc_u32 s21, s22, s25
	s_addc_u32 s22, s23, 0
	s_add_u32 s21, s21, s24
	s_addc_u32 s22, 0, s22
	v_add_co_u32 v3, s21, v3, s21
	s_delay_alu instid0(VALU_DEP_1) | instskip(SKIP_2) | instid1(VALU_DEP_1)
	s_cmp_lg_u32 s21, 0
	s_addc_u32 s9, s9, s22
	s_ashr_i32 s22, s19, 31
	v_readfirstlane_b32 s21, v3
	s_add_u32 s24, s18, s22
	s_mov_b32 s23, s22
	s_addc_u32 s25, s19, s22
	s_delay_alu instid0(SALU_CYCLE_1) | instskip(NEXT) | instid1(SALU_CYCLE_1)
	s_xor_b64 s[24:25], s[24:25], s[22:23]
	s_mul_i32 s30, s24, s9
	s_mul_hi_u32 s31, s24, s21
	s_mul_hi_u32 s23, s24, s9
	;; [unrolled: 1-line block ×3, first 2 shown]
	s_mul_i32 s21, s25, s21
	s_add_u32 s30, s31, s30
	s_addc_u32 s23, 0, s23
	s_mul_hi_u32 s33, s25, s9
	s_add_u32 s21, s30, s21
	s_mul_i32 s9, s25, s9
	s_addc_u32 s21, s23, s34
	s_addc_u32 s23, s33, 0
	s_add_u32 s9, s21, s9
	s_addc_u32 s21, 0, s23
	s_mul_hi_u32 s23, s0, s9
	s_mul_i32 s21, s0, s21
	s_mul_i32 s30, s1, s9
	;; [unrolled: 1-line block ×3, first 2 shown]
	s_add_i32 s21, s23, s21
	v_sub_co_u32 v3, s9, s24, s9
	s_add_i32 s21, s21, s30
	s_delay_alu instid0(SALU_CYCLE_1) | instskip(SKIP_1) | instid1(VALU_DEP_1)
	s_sub_i32 s23, s25, s21
	s_cmp_lg_u32 s9, 0
	v_sub_co_u32 v4, s24, v3, s0
	s_subb_u32 s23, s23, s1
	s_cmp_lg_u32 s24, 0
	s_subb_u32 s30, s23, 0
	s_delay_alu instid0(VALU_DEP_1)
	v_cmp_le_u32_e32 vcc_lo, s0, v4
	s_cmp_ge_u32 s30, s1
	s_cselect_b32 s31, -1, 0
	s_cmp_eq_u32 s30, s1
	v_cndmask_b32_e64 v6, 0, -1, vcc_lo
	s_cselect_b32 vcc_lo, -1, 0
	s_cmp_lg_u32 s24, 0
	v_sub_co_u32 v7, s24, v4, s0
	s_subb_u32 s23, s23, s1
	s_cmp_lg_u32 s24, 0
	v_cndmask_b32_e32 v6, s31, v6, vcc_lo
	s_subb_u32 s23, s23, 0
	s_cmp_lg_u32 s9, 0
	v_cmp_le_u32_e32 vcc_lo, s0, v3
	s_subb_u32 s9, s25, s21
	s_delay_alu instid0(SALU_CYCLE_1)
	s_cmp_ge_u32 s9, s1
	v_cndmask_b32_e64 v8, 0, -1, vcc_lo
	s_cselect_b32 s21, -1, 0
	s_cmp_eq_u32 s9, s1
	v_cmp_ne_u32_e32 vcc_lo, 0, v6
	v_mov_b32_e32 v6, s23
	s_cselect_b32 s0, -1, 0
	s_delay_alu instid0(SALU_CYCLE_1) | instskip(SKIP_1) | instid1(VALU_DEP_3)
	v_cndmask_b32_e64 v8, s21, v8, s0
	v_cndmask_b32_e32 v4, v4, v7, vcc_lo
	v_cndmask_b32_e32 v6, s30, v6, vcc_lo
	s_delay_alu instid0(VALU_DEP_3) | instskip(NEXT) | instid1(VALU_DEP_3)
	v_cmp_ne_u32_e32 vcc_lo, 0, v8
	v_cndmask_b32_e32 v3, v3, v4, vcc_lo
	s_delay_alu instid0(VALU_DEP_3) | instskip(NEXT) | instid1(VALU_DEP_2)
	v_cndmask_b32_e32 v6, s9, v6, vcc_lo
	v_xor_b32_e32 v3, s22, v3
	s_delay_alu instid0(VALU_DEP_2) | instskip(NEXT) | instid1(VALU_DEP_2)
	v_xor_b32_e32 v4, s22, v6
	v_sub_co_u32 v3, vcc_lo, v3, s22
	s_delay_alu instid0(VALU_DEP_2)
	v_subrev_co_ci_u32_e32 v4, vcc_lo, s22, v4, vcc_lo
	s_and_not1_b32 vcc_lo, exec_lo, s20
	s_cbranch_vccnz .LBB25_52
.LBB25_51:
	v_cvt_f32_u32_e32 v3, s12
	s_sub_i32 s0, 0, s12
	s_delay_alu instid0(VALU_DEP_1) | instskip(SKIP_2) | instid1(VALU_DEP_1)
	v_rcp_iflag_f32_e32 v3, v3
	s_waitcnt_depctr 0xfff
	v_mul_f32_e32 v3, 0x4f7ffffe, v3
	v_cvt_u32_f32_e32 v3, v3
	s_delay_alu instid0(VALU_DEP_1) | instskip(NEXT) | instid1(VALU_DEP_1)
	v_mul_lo_u32 v4, s0, v3
	v_mul_hi_u32 v4, v3, v4
	s_delay_alu instid0(VALU_DEP_1) | instskip(NEXT) | instid1(VALU_DEP_1)
	v_add_nc_u32_e32 v3, v3, v4
	v_mul_hi_u32 v3, s18, v3
	s_delay_alu instid0(VALU_DEP_1) | instskip(NEXT) | instid1(VALU_DEP_1)
	v_mul_lo_u32 v3, v3, s12
	v_sub_nc_u32_e32 v3, s18, v3
	s_delay_alu instid0(VALU_DEP_1) | instskip(SKIP_1) | instid1(VALU_DEP_2)
	v_subrev_nc_u32_e32 v4, s12, v3
	v_cmp_le_u32_e32 vcc_lo, s12, v3
	v_cndmask_b32_e32 v3, v3, v4, vcc_lo
	s_delay_alu instid0(VALU_DEP_1) | instskip(SKIP_1) | instid1(VALU_DEP_2)
	v_subrev_nc_u32_e32 v4, s12, v3
	v_cmp_le_u32_e32 vcc_lo, s12, v3
	v_dual_cndmask_b32 v3, v3, v4 :: v_dual_mov_b32 v4, 0
.LBB25_52:
	v_div_scale_f32 v6, null, 0x43600000, 0x43600000, v5
	v_div_scale_f32 v9, vcc_lo, v5, 0x43600000, v5
	s_delay_alu instid0(VALU_DEP_3) | instskip(NEXT) | instid1(VALU_DEP_3)
	v_sub_co_u32 v10, s0, s18, v3
	v_rcp_f32_e32 v7, v6
	v_sub_co_ci_u32_e64 v3, s0, s19, v4, s0
	s_lshl_b64 s[0:1], s[16:17], 2
	s_delay_alu instid0(SALU_CYCLE_1) | instskip(NEXT) | instid1(VALU_DEP_1)
	s_add_u32 s0, s0, s6
	v_mul_lo_u32 v11, v3, v1
	s_addc_u32 s1, s1, s7
	s_waitcnt_depctr 0xfff
	v_fma_f32 v8, -v6, v7, 1.0
	s_delay_alu instid0(VALU_DEP_1) | instskip(NEXT) | instid1(VALU_DEP_1)
	v_fmac_f32_e32 v7, v8, v7
	v_mul_f32_e32 v8, v9, v7
	s_delay_alu instid0(VALU_DEP_1) | instskip(NEXT) | instid1(VALU_DEP_1)
	v_fma_f32 v4, -v6, v8, v9
	v_fmac_f32_e32 v8, v4, v7
	v_mul_lo_u32 v4, v10, v2
	v_mad_u64_u32 v[2:3], null, v10, v1, 0
	s_delay_alu instid0(VALU_DEP_3) | instskip(NEXT) | instid1(VALU_DEP_2)
	v_fma_f32 v1, -v6, v8, v9
	v_add3_u32 v3, v3, v4, v11
	s_delay_alu instid0(VALU_DEP_2) | instskip(NEXT) | instid1(VALU_DEP_1)
	v_div_fmas_f32 v1, v1, v7, v8
	v_div_fixup_f32 v4, v1, 0x43600000, v5
	s_delay_alu instid0(VALU_DEP_3) | instskip(NEXT) | instid1(VALU_DEP_2)
	v_lshlrev_b64 v[1:2], 2, v[2:3]
	v_max_f32_e32 v3, 0x37124925, v4
	s_delay_alu instid0(VALU_DEP_2) | instskip(NEXT) | instid1(VALU_DEP_3)
	v_add_co_u32 v1, vcc_lo, s0, v1
	v_add_co_ci_u32_e32 v2, vcc_lo, s1, v2, vcc_lo
	global_store_b32 v[1:2], v3, off
.LBB25_53:
	s_or_b32 exec_lo, exec_lo, s3
	s_waitcnt_vscnt null, 0x0
	s_barrier
	buffer_gl0_inv
	s_and_saveexec_b32 s0, s2
	s_cbranch_execz .LBB25_193
; %bb.54:
	s_add_u32 s0, s12, s29
	s_addc_u32 s1, s13, 0
	s_add_u32 s2, s0, -1
	s_addc_u32 s3, s1, -1
	s_delay_alu instid0(SALU_CYCLE_1) | instskip(SKIP_1) | instid1(SALU_CYCLE_1)
	s_or_b64 s[18:19], s[2:3], s[12:13]
	s_mov_b32 s18, 0
	s_cmp_lg_u64 s[18:19], 0
	s_cbranch_scc0 .LBB25_195
; %bb.55:
	s_ashr_i32 s0, s13, 31
	s_delay_alu instid0(SALU_CYCLE_1) | instskip(SKIP_2) | instid1(SALU_CYCLE_1)
	s_add_u32 s20, s12, s0
	s_mov_b32 s1, s0
	s_addc_u32 s21, s13, s0
	s_xor_b64 s[0:1], s[20:21], s[0:1]
	s_delay_alu instid0(SALU_CYCLE_1) | instskip(SKIP_3) | instid1(VALU_DEP_1)
	v_cvt_f32_u32_e32 v1, s0
	v_cvt_f32_u32_e32 v2, s1
	s_sub_u32 s19, 0, s0
	s_subb_u32 s20, 0, s1
	v_fmamk_f32 v1, v2, 0x4f800000, v1
	s_delay_alu instid0(VALU_DEP_1) | instskip(SKIP_2) | instid1(VALU_DEP_1)
	v_rcp_f32_e32 v1, v1
	s_waitcnt_depctr 0xfff
	v_mul_f32_e32 v1, 0x5f7ffffc, v1
	v_mul_f32_e32 v2, 0x2f800000, v1
	s_delay_alu instid0(VALU_DEP_1) | instskip(NEXT) | instid1(VALU_DEP_1)
	v_trunc_f32_e32 v2, v2
	v_fmamk_f32 v1, v2, 0xcf800000, v1
	v_cvt_u32_f32_e32 v2, v2
	s_delay_alu instid0(VALU_DEP_2) | instskip(NEXT) | instid1(VALU_DEP_2)
	v_cvt_u32_f32_e32 v1, v1
	v_readfirstlane_b32 s9, v2
	s_delay_alu instid0(VALU_DEP_2) | instskip(NEXT) | instid1(VALU_DEP_2)
	v_readfirstlane_b32 s13, v1
	s_mul_i32 s21, s19, s9
	s_delay_alu instid0(VALU_DEP_1)
	s_mul_hi_u32 s23, s19, s13
	s_mul_i32 s22, s20, s13
	s_add_i32 s21, s23, s21
	s_mul_i32 s24, s19, s13
	s_add_i32 s21, s21, s22
	s_mul_hi_u32 s23, s13, s24
	s_mul_hi_u32 s25, s9, s24
	s_mul_i32 s22, s9, s24
	s_mul_hi_u32 s24, s13, s21
	s_mul_i32 s13, s13, s21
	s_mul_hi_u32 s29, s9, s21
	s_add_u32 s13, s23, s13
	s_addc_u32 s23, 0, s24
	s_add_u32 s13, s13, s22
	s_mul_i32 s21, s9, s21
	s_addc_u32 s13, s23, s25
	s_addc_u32 s22, s29, 0
	s_add_u32 s13, s13, s21
	s_addc_u32 s21, 0, s22
	v_add_co_u32 v1, s13, v1, s13
	s_delay_alu instid0(VALU_DEP_1) | instskip(SKIP_1) | instid1(VALU_DEP_1)
	s_cmp_lg_u32 s13, 0
	s_addc_u32 s9, s9, s21
	v_readfirstlane_b32 s13, v1
	s_mul_i32 s21, s19, s9
	s_delay_alu instid0(VALU_DEP_1)
	s_mul_hi_u32 s22, s19, s13
	s_mul_i32 s20, s20, s13
	s_add_i32 s21, s22, s21
	s_mul_i32 s19, s19, s13
	s_add_i32 s21, s21, s20
	s_mul_hi_u32 s22, s9, s19
	s_mul_i32 s23, s9, s19
	s_mul_hi_u32 s19, s13, s19
	s_mul_hi_u32 s24, s13, s21
	s_mul_i32 s13, s13, s21
	s_mul_hi_u32 s20, s9, s21
	s_add_u32 s13, s19, s13
	s_addc_u32 s19, 0, s24
	s_add_u32 s13, s13, s23
	s_mul_i32 s21, s9, s21
	s_addc_u32 s13, s19, s22
	s_addc_u32 s19, s20, 0
	s_add_u32 s13, s13, s21
	s_addc_u32 s19, 0, s19
	v_add_co_u32 v1, s13, v1, s13
	s_delay_alu instid0(VALU_DEP_1) | instskip(SKIP_2) | instid1(VALU_DEP_1)
	s_cmp_lg_u32 s13, 0
	s_addc_u32 s9, s9, s19
	s_ashr_i32 s20, s3, 31
	v_readfirstlane_b32 s13, v1
	s_add_u32 s22, s2, s20
	s_mov_b32 s21, s20
	s_addc_u32 s23, s3, s20
	s_delay_alu instid0(SALU_CYCLE_1) | instskip(NEXT) | instid1(SALU_CYCLE_1)
	s_xor_b64 s[22:23], s[22:23], s[20:21]
	s_mul_i32 s21, s22, s9
	s_mul_hi_u32 s24, s22, s13
	s_mul_hi_u32 s19, s22, s9
	;; [unrolled: 1-line block ×3, first 2 shown]
	s_mul_i32 s13, s23, s13
	s_add_u32 s21, s24, s21
	s_addc_u32 s19, 0, s19
	s_mul_hi_u32 s25, s23, s9
	s_add_u32 s13, s21, s13
	s_mul_i32 s9, s23, s9
	s_addc_u32 s13, s19, s29
	s_addc_u32 s19, s25, 0
	s_add_u32 s9, s13, s9
	s_addc_u32 s13, 0, s19
	s_mul_hi_u32 s19, s0, s9
	s_mul_i32 s13, s0, s13
	s_mul_i32 s21, s1, s9
	s_mul_i32 s9, s0, s9
	s_add_i32 s13, s19, s13
	v_sub_co_u32 v1, s9, s22, s9
	s_add_i32 s13, s13, s21
	s_delay_alu instid0(SALU_CYCLE_1) | instskip(SKIP_1) | instid1(VALU_DEP_1)
	s_sub_i32 s19, s23, s13
	s_cmp_lg_u32 s9, 0
	v_sub_co_u32 v2, s21, v1, s0
	s_subb_u32 s19, s19, s1
	s_cmp_lg_u32 s21, 0
	s_subb_u32 s22, s19, 0
	s_delay_alu instid0(VALU_DEP_1)
	v_cmp_le_u32_e32 vcc_lo, s0, v2
	s_cmp_ge_u32 s22, s1
	s_cselect_b32 s24, -1, 0
	s_cmp_eq_u32 s22, s1
	v_cndmask_b32_e64 v3, 0, -1, vcc_lo
	s_cselect_b32 vcc_lo, -1, 0
	s_cmp_lg_u32 s21, 0
	v_sub_co_u32 v4, s21, v2, s0
	s_subb_u32 s19, s19, s1
	s_cmp_lg_u32 s21, 0
	v_cndmask_b32_e32 v3, s24, v3, vcc_lo
	s_subb_u32 s19, s19, 0
	s_cmp_lg_u32 s9, 0
	v_cmp_le_u32_e32 vcc_lo, s0, v1
	s_subb_u32 s9, s23, s13
	s_delay_alu instid0(SALU_CYCLE_1)
	s_cmp_ge_u32 s9, s1
	v_cndmask_b32_e64 v5, 0, -1, vcc_lo
	s_cselect_b32 s13, -1, 0
	s_cmp_eq_u32 s9, s1
	v_cmp_ne_u32_e32 vcc_lo, 0, v3
	v_mov_b32_e32 v3, s19
	s_cselect_b32 s0, -1, 0
	s_delay_alu instid0(SALU_CYCLE_1) | instskip(SKIP_1) | instid1(VALU_DEP_3)
	v_cndmask_b32_e64 v5, s13, v5, s0
	v_cndmask_b32_e32 v2, v2, v4, vcc_lo
	v_cndmask_b32_e32 v3, s22, v3, vcc_lo
	s_delay_alu instid0(VALU_DEP_3) | instskip(NEXT) | instid1(VALU_DEP_3)
	v_cmp_ne_u32_e32 vcc_lo, 0, v5
	v_cndmask_b32_e32 v1, v1, v2, vcc_lo
	s_delay_alu instid0(VALU_DEP_3) | instskip(NEXT) | instid1(VALU_DEP_2)
	v_cndmask_b32_e32 v3, s9, v3, vcc_lo
	v_xor_b32_e32 v1, s20, v1
	s_delay_alu instid0(VALU_DEP_2) | instskip(NEXT) | instid1(VALU_DEP_2)
	v_xor_b32_e32 v2, s20, v3
	v_sub_co_u32 v1, vcc_lo, v1, s20
	s_delay_alu instid0(VALU_DEP_2)
	v_subrev_co_ci_u32_e32 v2, vcc_lo, s20, v2, vcc_lo
	s_and_not1_b32 vcc_lo, exec_lo, s18
	s_cbranch_vccnz .LBB25_57
.LBB25_56:
	v_cvt_f32_u32_e32 v1, s12
	s_sub_i32 s0, 0, s12
	s_delay_alu instid0(VALU_DEP_1) | instskip(SKIP_2) | instid1(VALU_DEP_1)
	v_rcp_iflag_f32_e32 v1, v1
	s_waitcnt_depctr 0xfff
	v_mul_f32_e32 v1, 0x4f7ffffe, v1
	v_cvt_u32_f32_e32 v1, v1
	s_delay_alu instid0(VALU_DEP_1) | instskip(NEXT) | instid1(VALU_DEP_1)
	v_mul_lo_u32 v2, s0, v1
	v_mul_hi_u32 v2, v1, v2
	s_delay_alu instid0(VALU_DEP_1) | instskip(NEXT) | instid1(VALU_DEP_1)
	v_add_nc_u32_e32 v1, v1, v2
	v_mul_hi_u32 v1, s2, v1
	s_delay_alu instid0(VALU_DEP_1) | instskip(NEXT) | instid1(VALU_DEP_1)
	v_mul_lo_u32 v1, v1, s12
	v_sub_nc_u32_e32 v1, s2, v1
	s_delay_alu instid0(VALU_DEP_1) | instskip(SKIP_1) | instid1(VALU_DEP_2)
	v_subrev_nc_u32_e32 v2, s12, v1
	v_cmp_le_u32_e32 vcc_lo, s12, v1
	v_cndmask_b32_e32 v1, v1, v2, vcc_lo
	s_delay_alu instid0(VALU_DEP_1) | instskip(SKIP_1) | instid1(VALU_DEP_2)
	v_subrev_nc_u32_e32 v2, s12, v1
	v_cmp_le_u32_e32 vcc_lo, s12, v1
	v_dual_cndmask_b32 v1, v1, v2 :: v_dual_mov_b32 v2, 0
.LBB25_57:
	s_mul_i32 s0, s15, s16
	s_mul_hi_u32 s1, s14, s16
	s_mul_i32 s9, s14, s16
	s_add_i32 s1, s1, s0
	v_sub_co_u32 v13, vcc_lo, s2, v1
	s_add_u32 s0, s4, s9
	s_addc_u32 s1, s5, s1
	s_lshl_b64 s[4:5], s[16:17], 2
	v_sub_co_ci_u32_e32 v14, vcc_lo, s3, v2, vcc_lo
	v_mov_b32_e32 v1, 0
	s_add_u32 s4, s6, s4
	s_addc_u32 s5, s7, s5
	s_mul_i32 s2, s28, 3
	s_lshl_b32 s3, s28, 1
	s_mov_b32 s6, 0
	s_mov_b32 s7, 0x43600000
	s_branch .LBB25_63
.LBB25_58:                              ;   in Loop: Header=BB25_63 Depth=1
	s_or_b32 exec_lo, exec_lo, s16
.LBB25_59:                              ;   in Loop: Header=BB25_63 Depth=1
	s_delay_alu instid0(SALU_CYCLE_1)
	s_or_b32 exec_lo, exec_lo, s14
	v_lshlrev_b32_e32 v7, 16, v4
	v_lshlrev_b64 v[4:5], 2, v[0:1]
	v_lshlrev_b32_e32 v6, 8, v6
	s_add_i32 s14, s28, s28
	v_and_b32_e32 v8, 0xff, v2
	v_add3_u32 v0, s14, s28, v10
	v_perm_b32 v7, v3, v7, 0x4020c0c
	v_and_b32_e32 v6, 0xff00, v6
	v_add_co_u32 v2, vcc_lo, s0, v4
	v_add_co_ci_u32_e32 v3, vcc_lo, s1, v5, vcc_lo
	v_cmp_le_u32_e32 vcc_lo, s8, v0
	s_delay_alu instid0(VALU_DEP_4)
	v_or3_b32 v4, v7, v6, v8
	s_or_not1_b32 s14, vcc_lo, exec_lo
	global_store_b32 v[2:3], v4, off
.LBB25_60:                              ;   in Loop: Header=BB25_63 Depth=1
	s_or_b32 exec_lo, exec_lo, s13
	s_delay_alu instid0(SALU_CYCLE_1)
	s_or_not1_b32 s13, s14, exec_lo
.LBB25_61:                              ;   in Loop: Header=BB25_63 Depth=1
	s_or_b32 exec_lo, exec_lo, s12
	s_delay_alu instid0(SALU_CYCLE_1)
	s_or_not1_b32 s12, s13, exec_lo
.LBB25_62:                              ;   in Loop: Header=BB25_63 Depth=1
	s_or_b32 exec_lo, exec_lo, s9
	s_delay_alu instid0(SALU_CYCLE_1) | instskip(NEXT) | instid1(SALU_CYCLE_1)
	s_and_b32 s9, exec_lo, s12
	s_or_b32 s6, s9, s6
	s_delay_alu instid0(SALU_CYCLE_1)
	s_and_not1_b32 exec_lo, exec_lo, s6
	s_cbranch_execz .LBB25_193
.LBB25_63:                              ; =>This Inner Loop Header: Depth=1
	v_bfe_u32 v8, v0, 5, 25
	v_lshlrev_b64 v[4:5], 4, v[0:1]
	s_mov_b32 s9, exec_lo
	s_delay_alu instid0(VALU_DEP_2) | instskip(NEXT) | instid1(VALU_DEP_1)
	v_mad_u64_u32 v[2:3], null, v13, v8, 0
	v_mad_u64_u32 v[6:7], null, v14, v8, v[3:4]
	v_add_co_u32 v7, vcc_lo, s26, v4
	s_delay_alu instid0(VALU_DEP_4) | instskip(SKIP_1) | instid1(VALU_DEP_4)
	v_add_co_ci_u32_e32 v8, vcc_lo, s27, v5, vcc_lo
	v_add_co_u32 v9, vcc_lo, s10, v4
	v_mov_b32_e32 v3, v6
	v_add_co_ci_u32_e32 v10, vcc_lo, s11, v5, vcc_lo
	s_delay_alu instid0(VALU_DEP_2)
	v_lshlrev_b64 v[11:12], 2, v[2:3]
	global_load_b128 v[2:5], v[7:8], off
	global_load_b128 v[6:9], v[9:10], off
	v_add_co_u32 v10, vcc_lo, s4, v11
	v_add_co_ci_u32_e32 v11, vcc_lo, s5, v12, vcc_lo
	global_load_b32 v10, v[10:11], off
	s_waitcnt vmcnt(2)
	v_mul_f32_e32 v2, v28, v2
	s_waitcnt vmcnt(1)
	s_delay_alu instid0(VALU_DEP_1) | instskip(SKIP_1) | instid1(VALU_DEP_1)
	v_mul_f32_e32 v2, v2, v6
	s_waitcnt vmcnt(0)
	v_div_scale_f32 v6, null, v10, v10, v2
	s_delay_alu instid0(VALU_DEP_1) | instskip(SKIP_2) | instid1(VALU_DEP_1)
	v_rcp_f32_e32 v11, v6
	s_waitcnt_depctr 0xfff
	v_fma_f32 v12, -v6, v11, 1.0
	v_fmac_f32_e32 v11, v12, v11
	v_div_scale_f32 v15, vcc_lo, v2, v10, v2
	s_delay_alu instid0(VALU_DEP_1) | instskip(NEXT) | instid1(VALU_DEP_1)
	v_mul_f32_e32 v12, v15, v11
	v_fma_f32 v16, -v6, v12, v15
	s_delay_alu instid0(VALU_DEP_1) | instskip(NEXT) | instid1(VALU_DEP_1)
	v_fmac_f32_e32 v12, v16, v11
	v_fma_f32 v6, -v6, v12, v15
	s_delay_alu instid0(VALU_DEP_1) | instskip(NEXT) | instid1(VALU_DEP_1)
	v_div_fmas_f32 v6, v6, v11, v12
	v_div_fixup_f32 v2, v6, v10, v2
	v_mov_b32_e32 v6, 0x80
	s_delay_alu instid0(VALU_DEP_2) | instskip(SKIP_1) | instid1(VALU_DEP_2)
	v_minmax_f32 v11, v2, s7, 0xc3600000
	v_mov_b32_e32 v2, 0x80
	v_and_b32_e32 v12, 0x7fffffff, v11
	s_delay_alu instid0(VALU_DEP_1)
	v_cmpx_gt_u32_e32 0x43800000, v12
	s_cbranch_execz .LBB25_69
; %bb.64:                               ;   in Loop: Header=BB25_63 Depth=1
	v_cmp_lt_u32_e32 vcc_lo, 0x3bffffff, v12
	s_mov_b32 s12, 0
                                        ; implicit-def: $vgpr12
	s_and_saveexec_b32 s13, vcc_lo
	s_delay_alu instid0(SALU_CYCLE_1)
	s_xor_b32 s13, exec_lo, s13
	s_cbranch_execnz .LBB25_160
; %bb.65:                               ;   in Loop: Header=BB25_63 Depth=1
	s_or_saveexec_b32 s13, s13
                                        ; implicit-def: $sgpr14
	s_delay_alu instid0(SALU_CYCLE_1)
	s_xor_b32 exec_lo, exec_lo, s13
	s_cbranch_execnz .LBB25_161
.LBB25_66:                              ;   in Loop: Header=BB25_63 Depth=1
	s_or_b32 exec_lo, exec_lo, s13
	v_mov_b32_e32 v6, s14
	s_and_saveexec_b32 s13, s12
.LBB25_67:                              ;   in Loop: Header=BB25_63 Depth=1
	v_lshrrev_b32_e32 v6, 24, v11
	s_delay_alu instid0(VALU_DEP_1)
	v_and_or_b32 v6, 0x80, v6, v12
.LBB25_68:                              ;   in Loop: Header=BB25_63 Depth=1
	s_or_b32 exec_lo, exec_lo, s13
.LBB25_69:                              ;   in Loop: Header=BB25_63 Depth=1
	s_delay_alu instid0(SALU_CYCLE_1) | instskip(SKIP_2) | instid1(VALU_DEP_1)
	s_or_b32 exec_lo, exec_lo, s9
	v_mul_f32_e32 v3, v28, v3
	s_mov_b32 s9, exec_lo
	v_mul_f32_e32 v3, v3, v7
	s_delay_alu instid0(VALU_DEP_1) | instskip(NEXT) | instid1(VALU_DEP_1)
	v_div_scale_f32 v7, null, v10, v10, v3
	v_rcp_f32_e32 v11, v7
	s_waitcnt_depctr 0xfff
	v_fma_f32 v12, -v7, v11, 1.0
	s_delay_alu instid0(VALU_DEP_1) | instskip(SKIP_1) | instid1(VALU_DEP_1)
	v_fmac_f32_e32 v11, v12, v11
	v_div_scale_f32 v12, vcc_lo, v3, v10, v3
	v_mul_f32_e32 v15, v12, v11
	s_delay_alu instid0(VALU_DEP_1) | instskip(NEXT) | instid1(VALU_DEP_1)
	v_fma_f32 v16, -v7, v15, v12
	v_fmac_f32_e32 v15, v16, v11
	s_delay_alu instid0(VALU_DEP_1) | instskip(NEXT) | instid1(VALU_DEP_1)
	v_fma_f32 v7, -v7, v15, v12
	v_div_fmas_f32 v7, v7, v11, v15
	s_delay_alu instid0(VALU_DEP_1) | instskip(NEXT) | instid1(VALU_DEP_1)
	v_div_fixup_f32 v3, v7, v10, v3
	v_minmax_f32 v3, v3, s7, 0xc3600000
	s_delay_alu instid0(VALU_DEP_1) | instskip(NEXT) | instid1(VALU_DEP_1)
	v_and_b32_e32 v7, 0x7fffffff, v3
	v_cmpx_gt_u32_e32 0x43800000, v7
	s_cbranch_execz .LBB25_75
; %bb.70:                               ;   in Loop: Header=BB25_63 Depth=1
	v_cmp_lt_u32_e32 vcc_lo, 0x3bffffff, v7
	s_mov_b32 s12, 0
                                        ; implicit-def: $vgpr7
	s_and_saveexec_b32 s13, vcc_lo
	s_delay_alu instid0(SALU_CYCLE_1)
	s_xor_b32 s13, exec_lo, s13
	s_cbranch_execnz .LBB25_162
; %bb.71:                               ;   in Loop: Header=BB25_63 Depth=1
	s_or_saveexec_b32 s13, s13
                                        ; implicit-def: $sgpr14
	s_delay_alu instid0(SALU_CYCLE_1)
	s_xor_b32 exec_lo, exec_lo, s13
	s_cbranch_execnz .LBB25_163
.LBB25_72:                              ;   in Loop: Header=BB25_63 Depth=1
	s_or_b32 exec_lo, exec_lo, s13
	v_mov_b32_e32 v2, s14
	s_and_saveexec_b32 s13, s12
.LBB25_73:                              ;   in Loop: Header=BB25_63 Depth=1
	v_lshrrev_b32_e32 v2, 24, v3
	s_delay_alu instid0(VALU_DEP_1)
	v_and_or_b32 v2, 0x80, v2, v7
.LBB25_74:                              ;   in Loop: Header=BB25_63 Depth=1
	s_or_b32 exec_lo, exec_lo, s13
.LBB25_75:                              ;   in Loop: Header=BB25_63 Depth=1
	s_delay_alu instid0(SALU_CYCLE_1) | instskip(SKIP_2) | instid1(VALU_DEP_1)
	s_or_b32 exec_lo, exec_lo, s9
	v_mul_f32_e32 v3, v28, v4
	s_mov_b32 s9, exec_lo
	v_mul_f32_e32 v3, v3, v8
	s_delay_alu instid0(VALU_DEP_1) | instskip(SKIP_1) | instid1(VALU_DEP_2)
	v_div_scale_f32 v4, null, v10, v10, v3
	v_div_scale_f32 v11, vcc_lo, v3, v10, v3
	v_rcp_f32_e32 v7, v4
	s_waitcnt_depctr 0xfff
	v_fma_f32 v8, -v4, v7, 1.0
	s_delay_alu instid0(VALU_DEP_1) | instskip(NEXT) | instid1(VALU_DEP_1)
	v_fmac_f32_e32 v7, v8, v7
	v_mul_f32_e32 v8, v11, v7
	s_delay_alu instid0(VALU_DEP_1) | instskip(NEXT) | instid1(VALU_DEP_1)
	v_fma_f32 v12, -v4, v8, v11
	v_fmac_f32_e32 v8, v12, v7
	s_delay_alu instid0(VALU_DEP_1) | instskip(NEXT) | instid1(VALU_DEP_1)
	v_fma_f32 v4, -v4, v8, v11
	v_div_fmas_f32 v4, v4, v7, v8
	s_delay_alu instid0(VALU_DEP_1) | instskip(SKIP_1) | instid1(VALU_DEP_2)
	v_div_fixup_f32 v3, v4, v10, v3
	v_mov_b32_e32 v4, 0x80
	v_minmax_f32 v7, v3, s7, 0xc3600000
	v_mov_b32_e32 v3, 0x80
	s_delay_alu instid0(VALU_DEP_2) | instskip(NEXT) | instid1(VALU_DEP_1)
	v_and_b32_e32 v8, 0x7fffffff, v7
	v_cmpx_gt_u32_e32 0x43800000, v8
	s_cbranch_execz .LBB25_81
; %bb.76:                               ;   in Loop: Header=BB25_63 Depth=1
	v_cmp_lt_u32_e32 vcc_lo, 0x3bffffff, v8
	s_mov_b32 s12, 0
                                        ; implicit-def: $vgpr8
	s_and_saveexec_b32 s13, vcc_lo
	s_delay_alu instid0(SALU_CYCLE_1)
	s_xor_b32 s13, exec_lo, s13
	s_cbranch_execnz .LBB25_164
; %bb.77:                               ;   in Loop: Header=BB25_63 Depth=1
	s_or_saveexec_b32 s13, s13
                                        ; implicit-def: $sgpr14
	s_delay_alu instid0(SALU_CYCLE_1)
	s_xor_b32 exec_lo, exec_lo, s13
	s_cbranch_execnz .LBB25_165
.LBB25_78:                              ;   in Loop: Header=BB25_63 Depth=1
	s_or_b32 exec_lo, exec_lo, s13
	v_mov_b32_e32 v4, s14
	s_and_saveexec_b32 s13, s12
.LBB25_79:                              ;   in Loop: Header=BB25_63 Depth=1
	v_lshrrev_b32_e32 v4, 24, v7
	s_delay_alu instid0(VALU_DEP_1)
	v_and_or_b32 v4, 0x80, v4, v8
.LBB25_80:                              ;   in Loop: Header=BB25_63 Depth=1
	s_or_b32 exec_lo, exec_lo, s13
.LBB25_81:                              ;   in Loop: Header=BB25_63 Depth=1
	s_delay_alu instid0(SALU_CYCLE_1) | instskip(SKIP_2) | instid1(VALU_DEP_1)
	s_or_b32 exec_lo, exec_lo, s9
	v_mul_f32_e32 v5, v28, v5
	s_mov_b32 s9, exec_lo
	v_mul_f32_e32 v5, v5, v9
	s_delay_alu instid0(VALU_DEP_1) | instskip(NEXT) | instid1(VALU_DEP_1)
	v_div_scale_f32 v7, null, v10, v10, v5
	v_rcp_f32_e32 v8, v7
	s_waitcnt_depctr 0xfff
	v_fma_f32 v9, -v7, v8, 1.0
	s_delay_alu instid0(VALU_DEP_1) | instskip(SKIP_1) | instid1(VALU_DEP_1)
	v_fmac_f32_e32 v8, v9, v8
	v_div_scale_f32 v9, vcc_lo, v5, v10, v5
	v_mul_f32_e32 v11, v9, v8
	s_delay_alu instid0(VALU_DEP_1) | instskip(NEXT) | instid1(VALU_DEP_1)
	v_fma_f32 v12, -v7, v11, v9
	v_fmac_f32_e32 v11, v12, v8
	s_delay_alu instid0(VALU_DEP_1) | instskip(NEXT) | instid1(VALU_DEP_1)
	v_fma_f32 v7, -v7, v11, v9
	v_div_fmas_f32 v7, v7, v8, v11
	s_delay_alu instid0(VALU_DEP_1) | instskip(NEXT) | instid1(VALU_DEP_1)
	v_div_fixup_f32 v5, v7, v10, v5
	v_minmax_f32 v5, v5, s7, 0xc3600000
	s_delay_alu instid0(VALU_DEP_1) | instskip(NEXT) | instid1(VALU_DEP_1)
	v_and_b32_e32 v7, 0x7fffffff, v5
	v_cmpx_gt_u32_e32 0x43800000, v7
	s_cbranch_execz .LBB25_87
; %bb.82:                               ;   in Loop: Header=BB25_63 Depth=1
	v_cmp_lt_u32_e32 vcc_lo, 0x3bffffff, v7
	s_mov_b32 s12, 0
                                        ; implicit-def: $vgpr7
	s_and_saveexec_b32 s13, vcc_lo
	s_delay_alu instid0(SALU_CYCLE_1)
	s_xor_b32 s13, exec_lo, s13
	s_cbranch_execnz .LBB25_166
; %bb.83:                               ;   in Loop: Header=BB25_63 Depth=1
	s_or_saveexec_b32 s13, s13
                                        ; implicit-def: $sgpr14
	s_delay_alu instid0(SALU_CYCLE_1)
	s_xor_b32 exec_lo, exec_lo, s13
	s_cbranch_execnz .LBB25_167
.LBB25_84:                              ;   in Loop: Header=BB25_63 Depth=1
	s_or_b32 exec_lo, exec_lo, s13
	v_mov_b32_e32 v3, s14
	s_and_saveexec_b32 s13, s12
.LBB25_85:                              ;   in Loop: Header=BB25_63 Depth=1
	v_lshrrev_b32_e32 v3, 24, v5
	s_delay_alu instid0(VALU_DEP_1)
	v_and_or_b32 v3, 0x80, v3, v7
.LBB25_86:                              ;   in Loop: Header=BB25_63 Depth=1
	s_or_b32 exec_lo, exec_lo, s13
.LBB25_87:                              ;   in Loop: Header=BB25_63 Depth=1
	s_delay_alu instid0(SALU_CYCLE_1)
	s_or_b32 exec_lo, exec_lo, s9
	v_lshlrev_b32_e32 v7, 16, v4
	v_lshlrev_b32_e32 v2, 8, v2
	v_lshlrev_b64 v[4:5], 2, v[0:1]
	v_and_b32_e32 v6, 0xff, v6
	v_add_nc_u32_e32 v10, s28, v0
	v_perm_b32 v7, v3, v7, 0x4020c0c
	v_and_b32_e32 v8, 0xff00, v2
	s_mov_b32 s12, -1
	v_add_co_u32 v2, vcc_lo, s0, v4
	v_add_co_ci_u32_e32 v3, vcc_lo, s1, v5, vcc_lo
	s_delay_alu instid0(VALU_DEP_3)
	v_or3_b32 v4, v7, v8, v6
	s_mov_b32 s9, exec_lo
	global_store_b32 v[2:3], v4, off
	v_cmpx_gt_u32_e64 s8, v10
	s_cbranch_execz .LBB25_62
; %bb.88:                               ;   in Loop: Header=BB25_63 Depth=1
	v_bfe_u32 v8, v10, 5, 25
	v_mov_b32_e32 v11, v1
	s_mov_b32 s12, exec_lo
	s_delay_alu instid0(VALU_DEP_2) | instskip(NEXT) | instid1(VALU_DEP_2)
	v_mad_u64_u32 v[2:3], null, v13, v8, 0
	v_lshlrev_b64 v[4:5], 4, v[10:11]
	s_delay_alu instid0(VALU_DEP_1) | instskip(SKIP_1) | instid1(VALU_DEP_3)
	v_mad_u64_u32 v[6:7], null, v14, v8, v[3:4]
	v_add_co_u32 v7, vcc_lo, s26, v4
	v_add_co_ci_u32_e32 v8, vcc_lo, s27, v5, vcc_lo
	v_add_co_u32 v15, vcc_lo, s10, v4
	s_delay_alu instid0(VALU_DEP_4) | instskip(SKIP_1) | instid1(VALU_DEP_2)
	v_mov_b32_e32 v3, v6
	v_add_co_ci_u32_e32 v16, vcc_lo, s11, v5, vcc_lo
	v_lshlrev_b64 v[17:18], 2, v[2:3]
	global_load_b128 v[2:5], v[7:8], off
	global_load_b128 v[6:9], v[15:16], off
	v_add_co_u32 v15, vcc_lo, s4, v17
	v_add_co_ci_u32_e32 v16, vcc_lo, s5, v18, vcc_lo
	global_load_b32 v12, v[15:16], off
	s_waitcnt vmcnt(2)
	v_mul_f32_e32 v2, v28, v2
	s_waitcnt vmcnt(1)
	s_delay_alu instid0(VALU_DEP_1) | instskip(SKIP_1) | instid1(VALU_DEP_1)
	v_mul_f32_e32 v2, v2, v6
	s_waitcnt vmcnt(0)
	v_div_scale_f32 v6, null, v12, v12, v2
	s_delay_alu instid0(VALU_DEP_1) | instskip(SKIP_2) | instid1(VALU_DEP_1)
	v_rcp_f32_e32 v15, v6
	s_waitcnt_depctr 0xfff
	v_fma_f32 v16, -v6, v15, 1.0
	v_fmac_f32_e32 v15, v16, v15
	v_div_scale_f32 v17, vcc_lo, v2, v12, v2
	s_delay_alu instid0(VALU_DEP_1) | instskip(NEXT) | instid1(VALU_DEP_1)
	v_mul_f32_e32 v16, v17, v15
	v_fma_f32 v18, -v6, v16, v17
	s_delay_alu instid0(VALU_DEP_1) | instskip(NEXT) | instid1(VALU_DEP_1)
	v_fmac_f32_e32 v16, v18, v15
	v_fma_f32 v6, -v6, v16, v17
	s_delay_alu instid0(VALU_DEP_1) | instskip(NEXT) | instid1(VALU_DEP_1)
	v_div_fmas_f32 v6, v6, v15, v16
	v_div_fixup_f32 v2, v6, v12, v2
	v_mov_b32_e32 v6, 0x80
	s_delay_alu instid0(VALU_DEP_2) | instskip(SKIP_1) | instid1(VALU_DEP_2)
	v_minmax_f32 v15, v2, s7, 0xc3600000
	v_mov_b32_e32 v2, 0x80
	v_and_b32_e32 v16, 0x7fffffff, v15
	s_delay_alu instid0(VALU_DEP_1)
	v_cmpx_gt_u32_e32 0x43800000, v16
	s_cbranch_execz .LBB25_94
; %bb.89:                               ;   in Loop: Header=BB25_63 Depth=1
	v_cmp_lt_u32_e32 vcc_lo, 0x3bffffff, v16
	s_mov_b32 s13, 0
                                        ; implicit-def: $vgpr16
	s_and_saveexec_b32 s14, vcc_lo
	s_delay_alu instid0(SALU_CYCLE_1)
	s_xor_b32 s14, exec_lo, s14
	s_cbranch_execnz .LBB25_168
; %bb.90:                               ;   in Loop: Header=BB25_63 Depth=1
	s_or_saveexec_b32 s14, s14
                                        ; implicit-def: $sgpr15
	s_delay_alu instid0(SALU_CYCLE_1)
	s_xor_b32 exec_lo, exec_lo, s14
	s_cbranch_execnz .LBB25_169
.LBB25_91:                              ;   in Loop: Header=BB25_63 Depth=1
	s_or_b32 exec_lo, exec_lo, s14
	v_mov_b32_e32 v2, s15
	s_and_saveexec_b32 s14, s13
.LBB25_92:                              ;   in Loop: Header=BB25_63 Depth=1
	v_lshrrev_b32_e32 v2, 24, v15
	s_delay_alu instid0(VALU_DEP_1)
	v_and_or_b32 v2, 0x80, v2, v16
.LBB25_93:                              ;   in Loop: Header=BB25_63 Depth=1
	s_or_b32 exec_lo, exec_lo, s14
.LBB25_94:                              ;   in Loop: Header=BB25_63 Depth=1
	s_delay_alu instid0(SALU_CYCLE_1) | instskip(SKIP_2) | instid1(VALU_DEP_1)
	s_or_b32 exec_lo, exec_lo, s12
	v_mul_f32_e32 v3, v28, v3
	s_mov_b32 s12, exec_lo
	v_mul_f32_e32 v3, v3, v7
	s_delay_alu instid0(VALU_DEP_1) | instskip(NEXT) | instid1(VALU_DEP_1)
	v_div_scale_f32 v7, null, v12, v12, v3
	v_rcp_f32_e32 v15, v7
	s_waitcnt_depctr 0xfff
	v_fma_f32 v16, -v7, v15, 1.0
	s_delay_alu instid0(VALU_DEP_1) | instskip(SKIP_1) | instid1(VALU_DEP_1)
	v_fmac_f32_e32 v15, v16, v15
	v_div_scale_f32 v16, vcc_lo, v3, v12, v3
	v_mul_f32_e32 v17, v16, v15
	s_delay_alu instid0(VALU_DEP_1) | instskip(NEXT) | instid1(VALU_DEP_1)
	v_fma_f32 v18, -v7, v17, v16
	v_fmac_f32_e32 v17, v18, v15
	s_delay_alu instid0(VALU_DEP_1) | instskip(NEXT) | instid1(VALU_DEP_1)
	v_fma_f32 v7, -v7, v17, v16
	v_div_fmas_f32 v7, v7, v15, v17
	s_delay_alu instid0(VALU_DEP_1) | instskip(NEXT) | instid1(VALU_DEP_1)
	v_div_fixup_f32 v3, v7, v12, v3
	v_minmax_f32 v3, v3, s7, 0xc3600000
	s_delay_alu instid0(VALU_DEP_1) | instskip(NEXT) | instid1(VALU_DEP_1)
	v_and_b32_e32 v7, 0x7fffffff, v3
	v_cmpx_gt_u32_e32 0x43800000, v7
	s_cbranch_execz .LBB25_100
; %bb.95:                               ;   in Loop: Header=BB25_63 Depth=1
	v_cmp_lt_u32_e32 vcc_lo, 0x3bffffff, v7
	s_mov_b32 s13, 0
                                        ; implicit-def: $vgpr7
	s_and_saveexec_b32 s14, vcc_lo
	s_delay_alu instid0(SALU_CYCLE_1)
	s_xor_b32 s14, exec_lo, s14
	s_cbranch_execnz .LBB25_170
; %bb.96:                               ;   in Loop: Header=BB25_63 Depth=1
	s_or_saveexec_b32 s14, s14
                                        ; implicit-def: $sgpr15
	s_delay_alu instid0(SALU_CYCLE_1)
	s_xor_b32 exec_lo, exec_lo, s14
	s_cbranch_execnz .LBB25_171
.LBB25_97:                              ;   in Loop: Header=BB25_63 Depth=1
	s_or_b32 exec_lo, exec_lo, s14
	v_mov_b32_e32 v6, s15
	s_and_saveexec_b32 s14, s13
.LBB25_98:                              ;   in Loop: Header=BB25_63 Depth=1
	v_lshrrev_b32_e32 v3, 24, v3
	s_delay_alu instid0(VALU_DEP_1)
	v_and_or_b32 v6, 0x80, v3, v7
.LBB25_99:                              ;   in Loop: Header=BB25_63 Depth=1
	s_or_b32 exec_lo, exec_lo, s14
.LBB25_100:                             ;   in Loop: Header=BB25_63 Depth=1
	s_delay_alu instid0(SALU_CYCLE_1) | instskip(SKIP_2) | instid1(VALU_DEP_1)
	s_or_b32 exec_lo, exec_lo, s12
	v_mul_f32_e32 v3, v28, v4
	s_mov_b32 s12, exec_lo
	v_mul_f32_e32 v3, v3, v8
	s_delay_alu instid0(VALU_DEP_1) | instskip(SKIP_1) | instid1(VALU_DEP_2)
	v_div_scale_f32 v4, null, v12, v12, v3
	v_div_scale_f32 v15, vcc_lo, v3, v12, v3
	v_rcp_f32_e32 v7, v4
	s_waitcnt_depctr 0xfff
	v_fma_f32 v8, -v4, v7, 1.0
	s_delay_alu instid0(VALU_DEP_1) | instskip(NEXT) | instid1(VALU_DEP_1)
	v_fmac_f32_e32 v7, v8, v7
	v_mul_f32_e32 v8, v15, v7
	s_delay_alu instid0(VALU_DEP_1) | instskip(NEXT) | instid1(VALU_DEP_1)
	v_fma_f32 v16, -v4, v8, v15
	v_fmac_f32_e32 v8, v16, v7
	s_delay_alu instid0(VALU_DEP_1) | instskip(NEXT) | instid1(VALU_DEP_1)
	v_fma_f32 v4, -v4, v8, v15
	v_div_fmas_f32 v4, v4, v7, v8
	s_delay_alu instid0(VALU_DEP_1) | instskip(SKIP_1) | instid1(VALU_DEP_2)
	v_div_fixup_f32 v3, v4, v12, v3
	v_mov_b32_e32 v4, 0x80
	v_minmax_f32 v7, v3, s7, 0xc3600000
	v_mov_b32_e32 v3, 0x80
	s_delay_alu instid0(VALU_DEP_2) | instskip(NEXT) | instid1(VALU_DEP_1)
	v_and_b32_e32 v8, 0x7fffffff, v7
	v_cmpx_gt_u32_e32 0x43800000, v8
	s_cbranch_execz .LBB25_106
; %bb.101:                              ;   in Loop: Header=BB25_63 Depth=1
	v_cmp_lt_u32_e32 vcc_lo, 0x3bffffff, v8
	s_mov_b32 s13, 0
                                        ; implicit-def: $vgpr8
	s_and_saveexec_b32 s14, vcc_lo
	s_delay_alu instid0(SALU_CYCLE_1)
	s_xor_b32 s14, exec_lo, s14
	s_cbranch_execnz .LBB25_172
; %bb.102:                              ;   in Loop: Header=BB25_63 Depth=1
	s_or_saveexec_b32 s14, s14
                                        ; implicit-def: $sgpr15
	s_delay_alu instid0(SALU_CYCLE_1)
	s_xor_b32 exec_lo, exec_lo, s14
	s_cbranch_execnz .LBB25_173
.LBB25_103:                             ;   in Loop: Header=BB25_63 Depth=1
	s_or_b32 exec_lo, exec_lo, s14
	v_mov_b32_e32 v4, s15
	s_and_saveexec_b32 s14, s13
.LBB25_104:                             ;   in Loop: Header=BB25_63 Depth=1
	v_lshrrev_b32_e32 v4, 24, v7
	s_delay_alu instid0(VALU_DEP_1)
	v_and_or_b32 v4, 0x80, v4, v8
.LBB25_105:                             ;   in Loop: Header=BB25_63 Depth=1
	s_or_b32 exec_lo, exec_lo, s14
.LBB25_106:                             ;   in Loop: Header=BB25_63 Depth=1
	s_delay_alu instid0(SALU_CYCLE_1) | instskip(SKIP_2) | instid1(VALU_DEP_1)
	s_or_b32 exec_lo, exec_lo, s12
	v_mul_f32_e32 v5, v28, v5
	s_mov_b32 s12, exec_lo
	v_mul_f32_e32 v5, v5, v9
	s_delay_alu instid0(VALU_DEP_1) | instskip(NEXT) | instid1(VALU_DEP_1)
	v_div_scale_f32 v7, null, v12, v12, v5
	v_rcp_f32_e32 v8, v7
	s_waitcnt_depctr 0xfff
	v_fma_f32 v9, -v7, v8, 1.0
	s_delay_alu instid0(VALU_DEP_1) | instskip(SKIP_1) | instid1(VALU_DEP_1)
	v_fmac_f32_e32 v8, v9, v8
	v_div_scale_f32 v9, vcc_lo, v5, v12, v5
	v_mul_f32_e32 v15, v9, v8
	s_delay_alu instid0(VALU_DEP_1) | instskip(NEXT) | instid1(VALU_DEP_1)
	v_fma_f32 v16, -v7, v15, v9
	v_fmac_f32_e32 v15, v16, v8
	s_delay_alu instid0(VALU_DEP_1) | instskip(NEXT) | instid1(VALU_DEP_1)
	v_fma_f32 v7, -v7, v15, v9
	v_div_fmas_f32 v7, v7, v8, v15
	s_delay_alu instid0(VALU_DEP_1) | instskip(NEXT) | instid1(VALU_DEP_1)
	v_div_fixup_f32 v5, v7, v12, v5
	v_minmax_f32 v5, v5, s7, 0xc3600000
	s_delay_alu instid0(VALU_DEP_1) | instskip(NEXT) | instid1(VALU_DEP_1)
	v_and_b32_e32 v7, 0x7fffffff, v5
	v_cmpx_gt_u32_e32 0x43800000, v7
	s_cbranch_execz .LBB25_112
; %bb.107:                              ;   in Loop: Header=BB25_63 Depth=1
	v_cmp_lt_u32_e32 vcc_lo, 0x3bffffff, v7
	s_mov_b32 s13, 0
                                        ; implicit-def: $vgpr7
	s_and_saveexec_b32 s14, vcc_lo
	s_delay_alu instid0(SALU_CYCLE_1)
	s_xor_b32 s14, exec_lo, s14
	s_cbranch_execnz .LBB25_174
; %bb.108:                              ;   in Loop: Header=BB25_63 Depth=1
	s_or_saveexec_b32 s14, s14
                                        ; implicit-def: $sgpr15
	s_delay_alu instid0(SALU_CYCLE_1)
	s_xor_b32 exec_lo, exec_lo, s14
	s_cbranch_execnz .LBB25_175
.LBB25_109:                             ;   in Loop: Header=BB25_63 Depth=1
	s_or_b32 exec_lo, exec_lo, s14
	v_mov_b32_e32 v3, s15
	s_and_saveexec_b32 s14, s13
.LBB25_110:                             ;   in Loop: Header=BB25_63 Depth=1
	v_lshrrev_b32_e32 v3, 24, v5
	s_delay_alu instid0(VALU_DEP_1)
	v_and_or_b32 v3, 0x80, v3, v7
.LBB25_111:                             ;   in Loop: Header=BB25_63 Depth=1
	s_or_b32 exec_lo, exec_lo, s14
.LBB25_112:                             ;   in Loop: Header=BB25_63 Depth=1
	s_delay_alu instid0(SALU_CYCLE_1)
	s_or_b32 exec_lo, exec_lo, s12
	v_lshlrev_b32_e32 v7, 16, v4
	v_lshlrev_b32_e32 v6, 8, v6
	v_lshlrev_b64 v[4:5], 2, v[10:11]
	v_and_b32_e32 v8, 0xff, v2
	v_add_nc_u32_e32 v11, s3, v0
	v_perm_b32 v7, v3, v7, 0x4020c0c
	v_and_b32_e32 v6, 0xff00, v6
	s_mov_b32 s13, -1
	v_add_co_u32 v2, vcc_lo, s0, v4
	v_add_co_ci_u32_e32 v3, vcc_lo, s1, v5, vcc_lo
	s_delay_alu instid0(VALU_DEP_3)
	v_or3_b32 v4, v7, v6, v8
	s_mov_b32 s12, exec_lo
	global_store_b32 v[2:3], v4, off
	v_cmpx_gt_u32_e64 s8, v11
	s_cbranch_execz .LBB25_61
; %bb.113:                              ;   in Loop: Header=BB25_63 Depth=1
	v_bfe_u32 v8, v11, 5, 25
	v_mov_b32_e32 v12, v1
	s_mov_b32 s13, exec_lo
	s_delay_alu instid0(VALU_DEP_2) | instskip(NEXT) | instid1(VALU_DEP_2)
	v_mad_u64_u32 v[2:3], null, v13, v8, 0
	v_lshlrev_b64 v[4:5], 4, v[11:12]
	s_delay_alu instid0(VALU_DEP_1) | instskip(SKIP_1) | instid1(VALU_DEP_3)
	v_mad_u64_u32 v[6:7], null, v14, v8, v[3:4]
	v_add_co_u32 v7, vcc_lo, s26, v4
	v_add_co_ci_u32_e32 v8, vcc_lo, s27, v5, vcc_lo
	v_add_co_u32 v15, vcc_lo, s10, v4
	s_delay_alu instid0(VALU_DEP_4) | instskip(SKIP_1) | instid1(VALU_DEP_2)
	v_mov_b32_e32 v3, v6
	v_add_co_ci_u32_e32 v16, vcc_lo, s11, v5, vcc_lo
	v_lshlrev_b64 v[17:18], 2, v[2:3]
	global_load_b128 v[2:5], v[7:8], off
	global_load_b128 v[6:9], v[15:16], off
	v_add_co_u32 v15, vcc_lo, s4, v17
	v_add_co_ci_u32_e32 v16, vcc_lo, s5, v18, vcc_lo
	global_load_b32 v15, v[15:16], off
	s_waitcnt vmcnt(2)
	v_mul_f32_e32 v2, v28, v2
	s_waitcnt vmcnt(1)
	s_delay_alu instid0(VALU_DEP_1) | instskip(SKIP_1) | instid1(VALU_DEP_1)
	v_mul_f32_e32 v2, v2, v6
	s_waitcnt vmcnt(0)
	v_div_scale_f32 v6, null, v15, v15, v2
	v_div_scale_f32 v18, vcc_lo, v2, v15, v2
	s_delay_alu instid0(VALU_DEP_2) | instskip(SKIP_2) | instid1(VALU_DEP_1)
	v_rcp_f32_e32 v16, v6
	s_waitcnt_depctr 0xfff
	v_fma_f32 v17, -v6, v16, 1.0
	v_fmac_f32_e32 v16, v17, v16
	s_delay_alu instid0(VALU_DEP_1) | instskip(NEXT) | instid1(VALU_DEP_1)
	v_mul_f32_e32 v17, v18, v16
	v_fma_f32 v19, -v6, v17, v18
	s_delay_alu instid0(VALU_DEP_1) | instskip(NEXT) | instid1(VALU_DEP_1)
	v_fmac_f32_e32 v17, v19, v16
	v_fma_f32 v6, -v6, v17, v18
	s_delay_alu instid0(VALU_DEP_1) | instskip(NEXT) | instid1(VALU_DEP_1)
	v_div_fmas_f32 v6, v6, v16, v17
	v_div_fixup_f32 v2, v6, v15, v2
	v_mov_b32_e32 v6, 0x80
	s_delay_alu instid0(VALU_DEP_2) | instskip(SKIP_1) | instid1(VALU_DEP_2)
	v_minmax_f32 v16, v2, s7, 0xc3600000
	v_mov_b32_e32 v2, 0x80
	v_and_b32_e32 v17, 0x7fffffff, v16
	s_delay_alu instid0(VALU_DEP_1)
	v_cmpx_gt_u32_e32 0x43800000, v17
	s_cbranch_execz .LBB25_119
; %bb.114:                              ;   in Loop: Header=BB25_63 Depth=1
	v_cmp_lt_u32_e32 vcc_lo, 0x3bffffff, v17
	s_mov_b32 s14, 0
                                        ; implicit-def: $vgpr17
	s_and_saveexec_b32 s15, vcc_lo
	s_delay_alu instid0(SALU_CYCLE_1)
	s_xor_b32 s15, exec_lo, s15
	s_cbranch_execnz .LBB25_176
; %bb.115:                              ;   in Loop: Header=BB25_63 Depth=1
	s_or_saveexec_b32 s15, s15
                                        ; implicit-def: $sgpr16
	s_delay_alu instid0(SALU_CYCLE_1)
	s_xor_b32 exec_lo, exec_lo, s15
	s_cbranch_execnz .LBB25_177
.LBB25_116:                             ;   in Loop: Header=BB25_63 Depth=1
	s_or_b32 exec_lo, exec_lo, s15
	v_mov_b32_e32 v2, s16
	s_and_saveexec_b32 s15, s14
.LBB25_117:                             ;   in Loop: Header=BB25_63 Depth=1
	v_lshrrev_b32_e32 v2, 24, v16
	s_delay_alu instid0(VALU_DEP_1)
	v_and_or_b32 v2, 0x80, v2, v17
.LBB25_118:                             ;   in Loop: Header=BB25_63 Depth=1
	s_or_b32 exec_lo, exec_lo, s15
.LBB25_119:                             ;   in Loop: Header=BB25_63 Depth=1
	s_delay_alu instid0(SALU_CYCLE_1) | instskip(SKIP_2) | instid1(VALU_DEP_1)
	s_or_b32 exec_lo, exec_lo, s13
	v_mul_f32_e32 v3, v28, v3
	s_mov_b32 s13, exec_lo
	v_mul_f32_e32 v3, v3, v7
	s_delay_alu instid0(VALU_DEP_1) | instskip(NEXT) | instid1(VALU_DEP_1)
	v_div_scale_f32 v7, null, v15, v15, v3
	v_rcp_f32_e32 v16, v7
	s_waitcnt_depctr 0xfff
	v_fma_f32 v17, -v7, v16, 1.0
	s_delay_alu instid0(VALU_DEP_1) | instskip(SKIP_1) | instid1(VALU_DEP_1)
	v_fmac_f32_e32 v16, v17, v16
	v_div_scale_f32 v17, vcc_lo, v3, v15, v3
	v_mul_f32_e32 v18, v17, v16
	s_delay_alu instid0(VALU_DEP_1) | instskip(NEXT) | instid1(VALU_DEP_1)
	v_fma_f32 v19, -v7, v18, v17
	v_fmac_f32_e32 v18, v19, v16
	s_delay_alu instid0(VALU_DEP_1) | instskip(NEXT) | instid1(VALU_DEP_1)
	v_fma_f32 v7, -v7, v18, v17
	v_div_fmas_f32 v7, v7, v16, v18
	s_delay_alu instid0(VALU_DEP_1) | instskip(NEXT) | instid1(VALU_DEP_1)
	v_div_fixup_f32 v3, v7, v15, v3
	v_minmax_f32 v3, v3, s7, 0xc3600000
	s_delay_alu instid0(VALU_DEP_1) | instskip(NEXT) | instid1(VALU_DEP_1)
	v_and_b32_e32 v7, 0x7fffffff, v3
	v_cmpx_gt_u32_e32 0x43800000, v7
	s_cbranch_execz .LBB25_125
; %bb.120:                              ;   in Loop: Header=BB25_63 Depth=1
	v_cmp_lt_u32_e32 vcc_lo, 0x3bffffff, v7
	s_mov_b32 s14, 0
                                        ; implicit-def: $vgpr7
	s_and_saveexec_b32 s15, vcc_lo
	s_delay_alu instid0(SALU_CYCLE_1)
	s_xor_b32 s15, exec_lo, s15
	s_cbranch_execnz .LBB25_178
; %bb.121:                              ;   in Loop: Header=BB25_63 Depth=1
	s_or_saveexec_b32 s15, s15
                                        ; implicit-def: $sgpr16
	s_delay_alu instid0(SALU_CYCLE_1)
	s_xor_b32 exec_lo, exec_lo, s15
	s_cbranch_execnz .LBB25_179
.LBB25_122:                             ;   in Loop: Header=BB25_63 Depth=1
	s_or_b32 exec_lo, exec_lo, s15
	v_mov_b32_e32 v6, s16
	s_and_saveexec_b32 s15, s14
.LBB25_123:                             ;   in Loop: Header=BB25_63 Depth=1
	v_lshrrev_b32_e32 v3, 24, v3
	s_delay_alu instid0(VALU_DEP_1)
	v_and_or_b32 v6, 0x80, v3, v7
.LBB25_124:                             ;   in Loop: Header=BB25_63 Depth=1
	s_or_b32 exec_lo, exec_lo, s15
.LBB25_125:                             ;   in Loop: Header=BB25_63 Depth=1
	s_delay_alu instid0(SALU_CYCLE_1) | instskip(SKIP_2) | instid1(VALU_DEP_1)
	s_or_b32 exec_lo, exec_lo, s13
	v_mul_f32_e32 v3, v28, v4
	s_mov_b32 s13, exec_lo
	v_mul_f32_e32 v3, v3, v8
	s_delay_alu instid0(VALU_DEP_1) | instskip(SKIP_1) | instid1(VALU_DEP_2)
	v_div_scale_f32 v4, null, v15, v15, v3
	v_div_scale_f32 v16, vcc_lo, v3, v15, v3
	v_rcp_f32_e32 v7, v4
	s_waitcnt_depctr 0xfff
	v_fma_f32 v8, -v4, v7, 1.0
	s_delay_alu instid0(VALU_DEP_1) | instskip(NEXT) | instid1(VALU_DEP_1)
	v_fmac_f32_e32 v7, v8, v7
	v_mul_f32_e32 v8, v16, v7
	s_delay_alu instid0(VALU_DEP_1) | instskip(NEXT) | instid1(VALU_DEP_1)
	v_fma_f32 v17, -v4, v8, v16
	v_fmac_f32_e32 v8, v17, v7
	s_delay_alu instid0(VALU_DEP_1) | instskip(NEXT) | instid1(VALU_DEP_1)
	v_fma_f32 v4, -v4, v8, v16
	v_div_fmas_f32 v4, v4, v7, v8
	s_delay_alu instid0(VALU_DEP_1) | instskip(SKIP_1) | instid1(VALU_DEP_2)
	v_div_fixup_f32 v3, v4, v15, v3
	v_mov_b32_e32 v4, 0x80
	v_minmax_f32 v7, v3, s7, 0xc3600000
	v_mov_b32_e32 v3, 0x80
	s_delay_alu instid0(VALU_DEP_2) | instskip(NEXT) | instid1(VALU_DEP_1)
	v_and_b32_e32 v8, 0x7fffffff, v7
	v_cmpx_gt_u32_e32 0x43800000, v8
	s_cbranch_execz .LBB25_131
; %bb.126:                              ;   in Loop: Header=BB25_63 Depth=1
	v_cmp_lt_u32_e32 vcc_lo, 0x3bffffff, v8
	s_mov_b32 s14, 0
                                        ; implicit-def: $vgpr8
	s_and_saveexec_b32 s15, vcc_lo
	s_delay_alu instid0(SALU_CYCLE_1)
	s_xor_b32 s15, exec_lo, s15
	s_cbranch_execnz .LBB25_180
; %bb.127:                              ;   in Loop: Header=BB25_63 Depth=1
	s_or_saveexec_b32 s15, s15
                                        ; implicit-def: $sgpr16
	s_delay_alu instid0(SALU_CYCLE_1)
	s_xor_b32 exec_lo, exec_lo, s15
	s_cbranch_execnz .LBB25_181
.LBB25_128:                             ;   in Loop: Header=BB25_63 Depth=1
	s_or_b32 exec_lo, exec_lo, s15
	v_mov_b32_e32 v4, s16
	s_and_saveexec_b32 s15, s14
.LBB25_129:                             ;   in Loop: Header=BB25_63 Depth=1
	v_lshrrev_b32_e32 v4, 24, v7
	s_delay_alu instid0(VALU_DEP_1)
	v_and_or_b32 v4, 0x80, v4, v8
.LBB25_130:                             ;   in Loop: Header=BB25_63 Depth=1
	s_or_b32 exec_lo, exec_lo, s15
.LBB25_131:                             ;   in Loop: Header=BB25_63 Depth=1
	s_delay_alu instid0(SALU_CYCLE_1) | instskip(SKIP_2) | instid1(VALU_DEP_1)
	s_or_b32 exec_lo, exec_lo, s13
	v_mul_f32_e32 v5, v28, v5
	s_mov_b32 s13, exec_lo
	v_mul_f32_e32 v5, v5, v9
	s_delay_alu instid0(VALU_DEP_1) | instskip(NEXT) | instid1(VALU_DEP_1)
	v_div_scale_f32 v7, null, v15, v15, v5
	v_rcp_f32_e32 v8, v7
	s_waitcnt_depctr 0xfff
	v_fma_f32 v9, -v7, v8, 1.0
	s_delay_alu instid0(VALU_DEP_1) | instskip(SKIP_1) | instid1(VALU_DEP_1)
	v_fmac_f32_e32 v8, v9, v8
	v_div_scale_f32 v9, vcc_lo, v5, v15, v5
	v_mul_f32_e32 v16, v9, v8
	s_delay_alu instid0(VALU_DEP_1) | instskip(NEXT) | instid1(VALU_DEP_1)
	v_fma_f32 v17, -v7, v16, v9
	v_fmac_f32_e32 v16, v17, v8
	s_delay_alu instid0(VALU_DEP_1) | instskip(NEXT) | instid1(VALU_DEP_1)
	v_fma_f32 v7, -v7, v16, v9
	v_div_fmas_f32 v7, v7, v8, v16
	s_delay_alu instid0(VALU_DEP_1) | instskip(NEXT) | instid1(VALU_DEP_1)
	v_div_fixup_f32 v5, v7, v15, v5
	v_minmax_f32 v5, v5, s7, 0xc3600000
	s_delay_alu instid0(VALU_DEP_1) | instskip(NEXT) | instid1(VALU_DEP_1)
	v_and_b32_e32 v7, 0x7fffffff, v5
	v_cmpx_gt_u32_e32 0x43800000, v7
	s_cbranch_execz .LBB25_137
; %bb.132:                              ;   in Loop: Header=BB25_63 Depth=1
	v_cmp_lt_u32_e32 vcc_lo, 0x3bffffff, v7
	s_mov_b32 s14, 0
                                        ; implicit-def: $vgpr7
	s_and_saveexec_b32 s15, vcc_lo
	s_delay_alu instid0(SALU_CYCLE_1)
	s_xor_b32 s15, exec_lo, s15
	s_cbranch_execnz .LBB25_182
; %bb.133:                              ;   in Loop: Header=BB25_63 Depth=1
	s_or_saveexec_b32 s15, s15
                                        ; implicit-def: $sgpr16
	s_delay_alu instid0(SALU_CYCLE_1)
	s_xor_b32 exec_lo, exec_lo, s15
	s_cbranch_execnz .LBB25_183
.LBB25_134:                             ;   in Loop: Header=BB25_63 Depth=1
	s_or_b32 exec_lo, exec_lo, s15
	v_mov_b32_e32 v3, s16
	s_and_saveexec_b32 s15, s14
.LBB25_135:                             ;   in Loop: Header=BB25_63 Depth=1
	v_lshrrev_b32_e32 v3, 24, v5
	s_delay_alu instid0(VALU_DEP_1)
	v_and_or_b32 v3, 0x80, v3, v7
.LBB25_136:                             ;   in Loop: Header=BB25_63 Depth=1
	s_or_b32 exec_lo, exec_lo, s15
.LBB25_137:                             ;   in Loop: Header=BB25_63 Depth=1
	s_delay_alu instid0(SALU_CYCLE_1)
	s_or_b32 exec_lo, exec_lo, s13
	v_lshlrev_b32_e32 v7, 16, v4
	v_lshlrev_b32_e32 v6, 8, v6
	v_lshlrev_b64 v[4:5], 2, v[11:12]
	v_and_b32_e32 v8, 0xff, v2
	v_add_nc_u32_e32 v0, s2, v0
	v_perm_b32 v7, v3, v7, 0x4020c0c
	v_and_b32_e32 v6, 0xff00, v6
	s_mov_b32 s14, -1
	v_add_co_u32 v2, vcc_lo, s0, v4
	v_add_co_ci_u32_e32 v3, vcc_lo, s1, v5, vcc_lo
	s_delay_alu instid0(VALU_DEP_3)
	v_or3_b32 v4, v7, v6, v8
	s_mov_b32 s13, exec_lo
	global_store_b32 v[2:3], v4, off
	v_cmpx_gt_u32_e64 s8, v0
	s_cbranch_execz .LBB25_60
; %bb.138:                              ;   in Loop: Header=BB25_63 Depth=1
	v_bfe_u32 v8, v0, 5, 25
	v_lshlrev_b64 v[4:5], 4, v[0:1]
	s_mov_b32 s14, exec_lo
	s_delay_alu instid0(VALU_DEP_2) | instskip(NEXT) | instid1(VALU_DEP_1)
	v_mad_u64_u32 v[2:3], null, v13, v8, 0
	v_mad_u64_u32 v[6:7], null, v14, v8, v[3:4]
	v_add_co_u32 v7, vcc_lo, s26, v4
	s_delay_alu instid0(VALU_DEP_4) | instskip(SKIP_1) | instid1(VALU_DEP_4)
	v_add_co_ci_u32_e32 v8, vcc_lo, s27, v5, vcc_lo
	v_add_co_u32 v11, vcc_lo, s10, v4
	v_mov_b32_e32 v3, v6
	v_add_co_ci_u32_e32 v12, vcc_lo, s11, v5, vcc_lo
	s_delay_alu instid0(VALU_DEP_2)
	v_lshlrev_b64 v[15:16], 2, v[2:3]
	global_load_b128 v[2:5], v[7:8], off
	global_load_b128 v[6:9], v[11:12], off
	v_add_co_u32 v11, vcc_lo, s4, v15
	v_add_co_ci_u32_e32 v12, vcc_lo, s5, v16, vcc_lo
	global_load_b32 v11, v[11:12], off
	s_waitcnt vmcnt(2)
	v_mul_f32_e32 v2, v28, v2
	s_waitcnt vmcnt(1)
	s_delay_alu instid0(VALU_DEP_1) | instskip(SKIP_1) | instid1(VALU_DEP_1)
	v_mul_f32_e32 v2, v2, v6
	s_waitcnt vmcnt(0)
	v_div_scale_f32 v6, null, v11, v11, v2
	v_div_scale_f32 v16, vcc_lo, v2, v11, v2
	s_delay_alu instid0(VALU_DEP_2) | instskip(SKIP_2) | instid1(VALU_DEP_1)
	v_rcp_f32_e32 v12, v6
	s_waitcnt_depctr 0xfff
	v_fma_f32 v15, -v6, v12, 1.0
	v_fmac_f32_e32 v12, v15, v12
	s_delay_alu instid0(VALU_DEP_1) | instskip(NEXT) | instid1(VALU_DEP_1)
	v_mul_f32_e32 v15, v16, v12
	v_fma_f32 v17, -v6, v15, v16
	s_delay_alu instid0(VALU_DEP_1) | instskip(NEXT) | instid1(VALU_DEP_1)
	v_fmac_f32_e32 v15, v17, v12
	v_fma_f32 v6, -v6, v15, v16
	s_delay_alu instid0(VALU_DEP_1) | instskip(NEXT) | instid1(VALU_DEP_1)
	v_div_fmas_f32 v6, v6, v12, v15
	v_div_fixup_f32 v2, v6, v11, v2
	v_mov_b32_e32 v6, 0x80
	s_delay_alu instid0(VALU_DEP_2) | instskip(SKIP_1) | instid1(VALU_DEP_2)
	v_minmax_f32 v12, v2, s7, 0xc3600000
	v_mov_b32_e32 v2, 0x80
	v_and_b32_e32 v15, 0x7fffffff, v12
	s_delay_alu instid0(VALU_DEP_1)
	v_cmpx_gt_u32_e32 0x43800000, v15
	s_cbranch_execz .LBB25_144
; %bb.139:                              ;   in Loop: Header=BB25_63 Depth=1
	v_cmp_lt_u32_e32 vcc_lo, 0x3bffffff, v15
	s_mov_b32 s15, 0
                                        ; implicit-def: $vgpr15
	s_and_saveexec_b32 s16, vcc_lo
	s_delay_alu instid0(SALU_CYCLE_1)
	s_xor_b32 s16, exec_lo, s16
	s_cbranch_execnz .LBB25_184
; %bb.140:                              ;   in Loop: Header=BB25_63 Depth=1
	s_or_saveexec_b32 s16, s16
                                        ; implicit-def: $sgpr17
	s_delay_alu instid0(SALU_CYCLE_1)
	s_xor_b32 exec_lo, exec_lo, s16
	s_cbranch_execnz .LBB25_185
.LBB25_141:                             ;   in Loop: Header=BB25_63 Depth=1
	s_or_b32 exec_lo, exec_lo, s16
	v_mov_b32_e32 v2, s17
	s_and_saveexec_b32 s16, s15
.LBB25_142:                             ;   in Loop: Header=BB25_63 Depth=1
	v_lshrrev_b32_e32 v2, 24, v12
	s_delay_alu instid0(VALU_DEP_1)
	v_and_or_b32 v2, 0x80, v2, v15
.LBB25_143:                             ;   in Loop: Header=BB25_63 Depth=1
	s_or_b32 exec_lo, exec_lo, s16
.LBB25_144:                             ;   in Loop: Header=BB25_63 Depth=1
	s_delay_alu instid0(SALU_CYCLE_1) | instskip(SKIP_2) | instid1(VALU_DEP_1)
	s_or_b32 exec_lo, exec_lo, s14
	v_mul_f32_e32 v3, v28, v3
	s_mov_b32 s14, exec_lo
	v_mul_f32_e32 v3, v3, v7
	s_delay_alu instid0(VALU_DEP_1) | instskip(NEXT) | instid1(VALU_DEP_1)
	v_div_scale_f32 v7, null, v11, v11, v3
	v_rcp_f32_e32 v12, v7
	s_waitcnt_depctr 0xfff
	v_fma_f32 v15, -v7, v12, 1.0
	s_delay_alu instid0(VALU_DEP_1) | instskip(SKIP_1) | instid1(VALU_DEP_1)
	v_fmac_f32_e32 v12, v15, v12
	v_div_scale_f32 v15, vcc_lo, v3, v11, v3
	v_mul_f32_e32 v16, v15, v12
	s_delay_alu instid0(VALU_DEP_1) | instskip(NEXT) | instid1(VALU_DEP_1)
	v_fma_f32 v17, -v7, v16, v15
	v_fmac_f32_e32 v16, v17, v12
	s_delay_alu instid0(VALU_DEP_1) | instskip(NEXT) | instid1(VALU_DEP_1)
	v_fma_f32 v7, -v7, v16, v15
	v_div_fmas_f32 v7, v7, v12, v16
	s_delay_alu instid0(VALU_DEP_1) | instskip(NEXT) | instid1(VALU_DEP_1)
	v_div_fixup_f32 v3, v7, v11, v3
	v_minmax_f32 v3, v3, s7, 0xc3600000
	s_delay_alu instid0(VALU_DEP_1) | instskip(NEXT) | instid1(VALU_DEP_1)
	v_and_b32_e32 v7, 0x7fffffff, v3
	v_cmpx_gt_u32_e32 0x43800000, v7
	s_cbranch_execz .LBB25_150
; %bb.145:                              ;   in Loop: Header=BB25_63 Depth=1
	v_cmp_lt_u32_e32 vcc_lo, 0x3bffffff, v7
	s_mov_b32 s15, 0
                                        ; implicit-def: $vgpr7
	s_and_saveexec_b32 s16, vcc_lo
	s_delay_alu instid0(SALU_CYCLE_1)
	s_xor_b32 s16, exec_lo, s16
	s_cbranch_execnz .LBB25_186
; %bb.146:                              ;   in Loop: Header=BB25_63 Depth=1
	s_or_saveexec_b32 s16, s16
                                        ; implicit-def: $sgpr17
	s_delay_alu instid0(SALU_CYCLE_1)
	s_xor_b32 exec_lo, exec_lo, s16
	s_cbranch_execnz .LBB25_187
.LBB25_147:                             ;   in Loop: Header=BB25_63 Depth=1
	s_or_b32 exec_lo, exec_lo, s16
	v_mov_b32_e32 v6, s17
	s_and_saveexec_b32 s16, s15
.LBB25_148:                             ;   in Loop: Header=BB25_63 Depth=1
	v_lshrrev_b32_e32 v3, 24, v3
	s_delay_alu instid0(VALU_DEP_1)
	v_and_or_b32 v6, 0x80, v3, v7
.LBB25_149:                             ;   in Loop: Header=BB25_63 Depth=1
	s_or_b32 exec_lo, exec_lo, s16
.LBB25_150:                             ;   in Loop: Header=BB25_63 Depth=1
	s_delay_alu instid0(SALU_CYCLE_1) | instskip(SKIP_2) | instid1(VALU_DEP_1)
	s_or_b32 exec_lo, exec_lo, s14
	v_mul_f32_e32 v3, v28, v4
	s_mov_b32 s14, exec_lo
	v_mul_f32_e32 v3, v3, v8
	s_delay_alu instid0(VALU_DEP_1) | instskip(SKIP_1) | instid1(VALU_DEP_2)
	v_div_scale_f32 v4, null, v11, v11, v3
	v_div_scale_f32 v12, vcc_lo, v3, v11, v3
	v_rcp_f32_e32 v7, v4
	s_waitcnt_depctr 0xfff
	v_fma_f32 v8, -v4, v7, 1.0
	s_delay_alu instid0(VALU_DEP_1) | instskip(NEXT) | instid1(VALU_DEP_1)
	v_fmac_f32_e32 v7, v8, v7
	v_mul_f32_e32 v8, v12, v7
	s_delay_alu instid0(VALU_DEP_1) | instskip(NEXT) | instid1(VALU_DEP_1)
	v_fma_f32 v15, -v4, v8, v12
	v_fmac_f32_e32 v8, v15, v7
	s_delay_alu instid0(VALU_DEP_1) | instskip(NEXT) | instid1(VALU_DEP_1)
	v_fma_f32 v4, -v4, v8, v12
	v_div_fmas_f32 v4, v4, v7, v8
	s_delay_alu instid0(VALU_DEP_1) | instskip(SKIP_1) | instid1(VALU_DEP_2)
	v_div_fixup_f32 v3, v4, v11, v3
	v_mov_b32_e32 v4, 0x80
	v_minmax_f32 v7, v3, s7, 0xc3600000
	v_mov_b32_e32 v3, 0x80
	s_delay_alu instid0(VALU_DEP_2) | instskip(NEXT) | instid1(VALU_DEP_1)
	v_and_b32_e32 v8, 0x7fffffff, v7
	v_cmpx_gt_u32_e32 0x43800000, v8
	s_cbranch_execz .LBB25_156
; %bb.151:                              ;   in Loop: Header=BB25_63 Depth=1
	v_cmp_lt_u32_e32 vcc_lo, 0x3bffffff, v8
	s_mov_b32 s15, 0
                                        ; implicit-def: $vgpr8
	s_and_saveexec_b32 s16, vcc_lo
	s_delay_alu instid0(SALU_CYCLE_1)
	s_xor_b32 s16, exec_lo, s16
	s_cbranch_execnz .LBB25_188
; %bb.152:                              ;   in Loop: Header=BB25_63 Depth=1
	s_or_saveexec_b32 s16, s16
                                        ; implicit-def: $sgpr17
	s_delay_alu instid0(SALU_CYCLE_1)
	s_xor_b32 exec_lo, exec_lo, s16
	s_cbranch_execnz .LBB25_189
.LBB25_153:                             ;   in Loop: Header=BB25_63 Depth=1
	s_or_b32 exec_lo, exec_lo, s16
	v_mov_b32_e32 v4, s17
	s_and_saveexec_b32 s16, s15
.LBB25_154:                             ;   in Loop: Header=BB25_63 Depth=1
	v_lshrrev_b32_e32 v4, 24, v7
	s_delay_alu instid0(VALU_DEP_1)
	v_and_or_b32 v4, 0x80, v4, v8
.LBB25_155:                             ;   in Loop: Header=BB25_63 Depth=1
	s_or_b32 exec_lo, exec_lo, s16
.LBB25_156:                             ;   in Loop: Header=BB25_63 Depth=1
	s_delay_alu instid0(SALU_CYCLE_1) | instskip(SKIP_2) | instid1(VALU_DEP_1)
	s_or_b32 exec_lo, exec_lo, s14
	v_mul_f32_e32 v5, v28, v5
	s_mov_b32 s14, exec_lo
	v_mul_f32_e32 v5, v5, v9
	s_delay_alu instid0(VALU_DEP_1) | instskip(NEXT) | instid1(VALU_DEP_1)
	v_div_scale_f32 v7, null, v11, v11, v5
	v_rcp_f32_e32 v8, v7
	s_waitcnt_depctr 0xfff
	v_fma_f32 v9, -v7, v8, 1.0
	s_delay_alu instid0(VALU_DEP_1) | instskip(SKIP_1) | instid1(VALU_DEP_1)
	v_fmac_f32_e32 v8, v9, v8
	v_div_scale_f32 v9, vcc_lo, v5, v11, v5
	v_mul_f32_e32 v12, v9, v8
	s_delay_alu instid0(VALU_DEP_1) | instskip(NEXT) | instid1(VALU_DEP_1)
	v_fma_f32 v15, -v7, v12, v9
	v_fmac_f32_e32 v12, v15, v8
	s_delay_alu instid0(VALU_DEP_1) | instskip(NEXT) | instid1(VALU_DEP_1)
	v_fma_f32 v7, -v7, v12, v9
	v_div_fmas_f32 v7, v7, v8, v12
	s_delay_alu instid0(VALU_DEP_1) | instskip(NEXT) | instid1(VALU_DEP_1)
	v_div_fixup_f32 v5, v7, v11, v5
	v_minmax_f32 v5, v5, s7, 0xc3600000
	s_delay_alu instid0(VALU_DEP_1) | instskip(NEXT) | instid1(VALU_DEP_1)
	v_and_b32_e32 v7, 0x7fffffff, v5
	v_cmpx_gt_u32_e32 0x43800000, v7
	s_cbranch_execz .LBB25_59
; %bb.157:                              ;   in Loop: Header=BB25_63 Depth=1
	v_cmp_lt_u32_e32 vcc_lo, 0x3bffffff, v7
	s_mov_b32 s15, 0
                                        ; implicit-def: $vgpr7
	s_and_saveexec_b32 s16, vcc_lo
	s_delay_alu instid0(SALU_CYCLE_1)
	s_xor_b32 s16, exec_lo, s16
	s_cbranch_execnz .LBB25_190
; %bb.158:                              ;   in Loop: Header=BB25_63 Depth=1
	s_or_saveexec_b32 s16, s16
                                        ; implicit-def: $sgpr17
	s_delay_alu instid0(SALU_CYCLE_1)
	s_xor_b32 exec_lo, exec_lo, s16
	s_cbranch_execnz .LBB25_191
.LBB25_159:                             ;   in Loop: Header=BB25_63 Depth=1
	s_or_b32 exec_lo, exec_lo, s16
	v_mov_b32_e32 v3, s17
	s_and_saveexec_b32 s16, s15
	s_cbranch_execz .LBB25_58
	s_branch .LBB25_192
.LBB25_160:                             ;   in Loop: Header=BB25_63 Depth=1
	v_bfe_u32 v6, v11, 20, 1
	s_mov_b32 s12, exec_lo
	s_delay_alu instid0(VALU_DEP_1) | instskip(NEXT) | instid1(VALU_DEP_1)
	v_add3_u32 v6, v11, v6, 0x487ffff
	v_lshrrev_b32_e32 v12, 20, v6
	s_or_saveexec_b32 s13, s13
                                        ; implicit-def: $sgpr14
	s_delay_alu instid0(SALU_CYCLE_1)
	s_xor_b32 exec_lo, exec_lo, s13
	s_cbranch_execz .LBB25_66
.LBB25_161:                             ;   in Loop: Header=BB25_63 Depth=1
	v_add_f32_e64 v6, 0x46000000, |v11|
	s_and_not1_b32 s12, s12, exec_lo
	s_mov_b32 s14, 0
	s_delay_alu instid0(VALU_DEP_1) | instskip(NEXT) | instid1(VALU_DEP_1)
	v_and_b32_e32 v12, 0xff, v6
	v_cmp_ne_u32_e32 vcc_lo, 0, v12
	s_and_b32 s15, vcc_lo, exec_lo
	s_delay_alu instid0(SALU_CYCLE_1)
	s_or_b32 s12, s12, s15
	s_or_b32 exec_lo, exec_lo, s13
	v_mov_b32_e32 v6, s14
	s_and_saveexec_b32 s13, s12
	s_cbranch_execnz .LBB25_67
	s_branch .LBB25_68
.LBB25_162:                             ;   in Loop: Header=BB25_63 Depth=1
	v_bfe_u32 v2, v3, 20, 1
	s_mov_b32 s12, exec_lo
	s_delay_alu instid0(VALU_DEP_1) | instskip(NEXT) | instid1(VALU_DEP_1)
	v_add3_u32 v2, v3, v2, 0x487ffff
	v_lshrrev_b32_e32 v7, 20, v2
	s_or_saveexec_b32 s13, s13
                                        ; implicit-def: $sgpr14
	s_delay_alu instid0(SALU_CYCLE_1)
	s_xor_b32 exec_lo, exec_lo, s13
	s_cbranch_execz .LBB25_72
.LBB25_163:                             ;   in Loop: Header=BB25_63 Depth=1
	v_add_f32_e64 v2, 0x46000000, |v3|
	s_and_not1_b32 s12, s12, exec_lo
	s_mov_b32 s14, 0
	s_delay_alu instid0(VALU_DEP_1) | instskip(NEXT) | instid1(VALU_DEP_1)
	v_and_b32_e32 v7, 0xff, v2
	v_cmp_ne_u32_e32 vcc_lo, 0, v7
	s_and_b32 s15, vcc_lo, exec_lo
	s_delay_alu instid0(SALU_CYCLE_1)
	s_or_b32 s12, s12, s15
	s_or_b32 exec_lo, exec_lo, s13
	v_mov_b32_e32 v2, s14
	s_and_saveexec_b32 s13, s12
	s_cbranch_execnz .LBB25_73
	s_branch .LBB25_74
.LBB25_164:                             ;   in Loop: Header=BB25_63 Depth=1
	v_bfe_u32 v4, v7, 20, 1
	s_mov_b32 s12, exec_lo
	s_delay_alu instid0(VALU_DEP_1) | instskip(NEXT) | instid1(VALU_DEP_1)
	v_add3_u32 v4, v7, v4, 0x487ffff
	v_lshrrev_b32_e32 v8, 20, v4
	s_or_saveexec_b32 s13, s13
                                        ; implicit-def: $sgpr14
	s_delay_alu instid0(SALU_CYCLE_1)
	s_xor_b32 exec_lo, exec_lo, s13
	s_cbranch_execz .LBB25_78
.LBB25_165:                             ;   in Loop: Header=BB25_63 Depth=1
	v_add_f32_e64 v4, 0x46000000, |v7|
	s_and_not1_b32 s12, s12, exec_lo
	s_mov_b32 s14, 0
	s_delay_alu instid0(VALU_DEP_1) | instskip(NEXT) | instid1(VALU_DEP_1)
	v_and_b32_e32 v8, 0xff, v4
	v_cmp_ne_u32_e32 vcc_lo, 0, v8
	s_and_b32 s15, vcc_lo, exec_lo
	s_delay_alu instid0(SALU_CYCLE_1)
	s_or_b32 s12, s12, s15
	s_or_b32 exec_lo, exec_lo, s13
	v_mov_b32_e32 v4, s14
	s_and_saveexec_b32 s13, s12
	s_cbranch_execnz .LBB25_79
	s_branch .LBB25_80
.LBB25_166:                             ;   in Loop: Header=BB25_63 Depth=1
	v_bfe_u32 v3, v5, 20, 1
	s_mov_b32 s12, exec_lo
	s_delay_alu instid0(VALU_DEP_1) | instskip(NEXT) | instid1(VALU_DEP_1)
	v_add3_u32 v3, v5, v3, 0x487ffff
	v_lshrrev_b32_e32 v7, 20, v3
	s_or_saveexec_b32 s13, s13
                                        ; implicit-def: $sgpr14
	s_delay_alu instid0(SALU_CYCLE_1)
	s_xor_b32 exec_lo, exec_lo, s13
	s_cbranch_execz .LBB25_84
.LBB25_167:                             ;   in Loop: Header=BB25_63 Depth=1
	v_add_f32_e64 v3, 0x46000000, |v5|
	s_and_not1_b32 s12, s12, exec_lo
	s_mov_b32 s14, 0
	s_delay_alu instid0(VALU_DEP_1) | instskip(NEXT) | instid1(VALU_DEP_1)
	v_and_b32_e32 v7, 0xff, v3
	v_cmp_ne_u32_e32 vcc_lo, 0, v7
	s_and_b32 s15, vcc_lo, exec_lo
	s_delay_alu instid0(SALU_CYCLE_1)
	s_or_b32 s12, s12, s15
	s_or_b32 exec_lo, exec_lo, s13
	v_mov_b32_e32 v3, s14
	s_and_saveexec_b32 s13, s12
	s_cbranch_execnz .LBB25_85
	s_branch .LBB25_86
.LBB25_168:                             ;   in Loop: Header=BB25_63 Depth=1
	v_bfe_u32 v2, v15, 20, 1
	s_mov_b32 s13, exec_lo
	s_delay_alu instid0(VALU_DEP_1) | instskip(NEXT) | instid1(VALU_DEP_1)
	v_add3_u32 v2, v15, v2, 0x487ffff
	v_lshrrev_b32_e32 v16, 20, v2
	s_or_saveexec_b32 s14, s14
                                        ; implicit-def: $sgpr15
	s_delay_alu instid0(SALU_CYCLE_1)
	s_xor_b32 exec_lo, exec_lo, s14
	s_cbranch_execz .LBB25_91
.LBB25_169:                             ;   in Loop: Header=BB25_63 Depth=1
	v_add_f32_e64 v2, 0x46000000, |v15|
	s_and_not1_b32 s13, s13, exec_lo
	s_mov_b32 s15, 0
	s_delay_alu instid0(VALU_DEP_1) | instskip(NEXT) | instid1(VALU_DEP_1)
	v_and_b32_e32 v16, 0xff, v2
	v_cmp_ne_u32_e32 vcc_lo, 0, v16
	s_and_b32 s16, vcc_lo, exec_lo
	s_delay_alu instid0(SALU_CYCLE_1)
	s_or_b32 s13, s13, s16
	s_or_b32 exec_lo, exec_lo, s14
	v_mov_b32_e32 v2, s15
	s_and_saveexec_b32 s14, s13
	s_cbranch_execnz .LBB25_92
	s_branch .LBB25_93
.LBB25_170:                             ;   in Loop: Header=BB25_63 Depth=1
	v_bfe_u32 v6, v3, 20, 1
	s_mov_b32 s13, exec_lo
	s_delay_alu instid0(VALU_DEP_1) | instskip(NEXT) | instid1(VALU_DEP_1)
	v_add3_u32 v6, v3, v6, 0x487ffff
	v_lshrrev_b32_e32 v7, 20, v6
	s_or_saveexec_b32 s14, s14
                                        ; implicit-def: $sgpr15
	s_delay_alu instid0(SALU_CYCLE_1)
	s_xor_b32 exec_lo, exec_lo, s14
	s_cbranch_execz .LBB25_97
.LBB25_171:                             ;   in Loop: Header=BB25_63 Depth=1
	v_add_f32_e64 v6, 0x46000000, |v3|
	s_and_not1_b32 s13, s13, exec_lo
	s_mov_b32 s15, 0
	s_delay_alu instid0(VALU_DEP_1) | instskip(NEXT) | instid1(VALU_DEP_1)
	v_and_b32_e32 v7, 0xff, v6
	v_cmp_ne_u32_e32 vcc_lo, 0, v7
	s_and_b32 s16, vcc_lo, exec_lo
	s_delay_alu instid0(SALU_CYCLE_1)
	s_or_b32 s13, s13, s16
	s_or_b32 exec_lo, exec_lo, s14
	v_mov_b32_e32 v6, s15
	s_and_saveexec_b32 s14, s13
	s_cbranch_execnz .LBB25_98
	s_branch .LBB25_99
.LBB25_172:                             ;   in Loop: Header=BB25_63 Depth=1
	v_bfe_u32 v4, v7, 20, 1
	s_mov_b32 s13, exec_lo
	s_delay_alu instid0(VALU_DEP_1) | instskip(NEXT) | instid1(VALU_DEP_1)
	v_add3_u32 v4, v7, v4, 0x487ffff
	v_lshrrev_b32_e32 v8, 20, v4
	s_or_saveexec_b32 s14, s14
                                        ; implicit-def: $sgpr15
	s_delay_alu instid0(SALU_CYCLE_1)
	s_xor_b32 exec_lo, exec_lo, s14
	s_cbranch_execz .LBB25_103
.LBB25_173:                             ;   in Loop: Header=BB25_63 Depth=1
	v_add_f32_e64 v4, 0x46000000, |v7|
	s_and_not1_b32 s13, s13, exec_lo
	s_mov_b32 s15, 0
	s_delay_alu instid0(VALU_DEP_1) | instskip(NEXT) | instid1(VALU_DEP_1)
	v_and_b32_e32 v8, 0xff, v4
	v_cmp_ne_u32_e32 vcc_lo, 0, v8
	s_and_b32 s16, vcc_lo, exec_lo
	s_delay_alu instid0(SALU_CYCLE_1)
	s_or_b32 s13, s13, s16
	s_or_b32 exec_lo, exec_lo, s14
	v_mov_b32_e32 v4, s15
	s_and_saveexec_b32 s14, s13
	s_cbranch_execnz .LBB25_104
	s_branch .LBB25_105
.LBB25_174:                             ;   in Loop: Header=BB25_63 Depth=1
	v_bfe_u32 v3, v5, 20, 1
	s_mov_b32 s13, exec_lo
	s_delay_alu instid0(VALU_DEP_1) | instskip(NEXT) | instid1(VALU_DEP_1)
	v_add3_u32 v3, v5, v3, 0x487ffff
	v_lshrrev_b32_e32 v7, 20, v3
	s_or_saveexec_b32 s14, s14
                                        ; implicit-def: $sgpr15
	s_delay_alu instid0(SALU_CYCLE_1)
	s_xor_b32 exec_lo, exec_lo, s14
	s_cbranch_execz .LBB25_109
.LBB25_175:                             ;   in Loop: Header=BB25_63 Depth=1
	v_add_f32_e64 v3, 0x46000000, |v5|
	s_and_not1_b32 s13, s13, exec_lo
	s_mov_b32 s15, 0
	s_delay_alu instid0(VALU_DEP_1) | instskip(NEXT) | instid1(VALU_DEP_1)
	v_and_b32_e32 v7, 0xff, v3
	v_cmp_ne_u32_e32 vcc_lo, 0, v7
	s_and_b32 s16, vcc_lo, exec_lo
	s_delay_alu instid0(SALU_CYCLE_1)
	s_or_b32 s13, s13, s16
	s_or_b32 exec_lo, exec_lo, s14
	v_mov_b32_e32 v3, s15
	s_and_saveexec_b32 s14, s13
	s_cbranch_execnz .LBB25_110
	s_branch .LBB25_111
.LBB25_176:                             ;   in Loop: Header=BB25_63 Depth=1
	v_bfe_u32 v2, v16, 20, 1
	s_mov_b32 s14, exec_lo
	s_delay_alu instid0(VALU_DEP_1) | instskip(NEXT) | instid1(VALU_DEP_1)
	v_add3_u32 v2, v16, v2, 0x487ffff
	v_lshrrev_b32_e32 v17, 20, v2
	s_or_saveexec_b32 s15, s15
                                        ; implicit-def: $sgpr16
	s_delay_alu instid0(SALU_CYCLE_1)
	s_xor_b32 exec_lo, exec_lo, s15
	s_cbranch_execz .LBB25_116
.LBB25_177:                             ;   in Loop: Header=BB25_63 Depth=1
	v_add_f32_e64 v2, 0x46000000, |v16|
	s_and_not1_b32 s14, s14, exec_lo
	s_mov_b32 s16, 0
	s_delay_alu instid0(VALU_DEP_1) | instskip(NEXT) | instid1(VALU_DEP_1)
	v_and_b32_e32 v17, 0xff, v2
	v_cmp_ne_u32_e32 vcc_lo, 0, v17
	s_and_b32 s17, vcc_lo, exec_lo
	s_delay_alu instid0(SALU_CYCLE_1)
	s_or_b32 s14, s14, s17
	s_or_b32 exec_lo, exec_lo, s15
	v_mov_b32_e32 v2, s16
	s_and_saveexec_b32 s15, s14
	s_cbranch_execnz .LBB25_117
	s_branch .LBB25_118
.LBB25_178:                             ;   in Loop: Header=BB25_63 Depth=1
	v_bfe_u32 v6, v3, 20, 1
	s_mov_b32 s14, exec_lo
	s_delay_alu instid0(VALU_DEP_1) | instskip(NEXT) | instid1(VALU_DEP_1)
	v_add3_u32 v6, v3, v6, 0x487ffff
	v_lshrrev_b32_e32 v7, 20, v6
	s_or_saveexec_b32 s15, s15
                                        ; implicit-def: $sgpr16
	s_delay_alu instid0(SALU_CYCLE_1)
	s_xor_b32 exec_lo, exec_lo, s15
	s_cbranch_execz .LBB25_122
.LBB25_179:                             ;   in Loop: Header=BB25_63 Depth=1
	v_add_f32_e64 v6, 0x46000000, |v3|
	s_and_not1_b32 s14, s14, exec_lo
	s_mov_b32 s16, 0
	s_delay_alu instid0(VALU_DEP_1) | instskip(NEXT) | instid1(VALU_DEP_1)
	v_and_b32_e32 v7, 0xff, v6
	v_cmp_ne_u32_e32 vcc_lo, 0, v7
	s_and_b32 s17, vcc_lo, exec_lo
	s_delay_alu instid0(SALU_CYCLE_1)
	s_or_b32 s14, s14, s17
	s_or_b32 exec_lo, exec_lo, s15
	v_mov_b32_e32 v6, s16
	s_and_saveexec_b32 s15, s14
	s_cbranch_execnz .LBB25_123
	s_branch .LBB25_124
.LBB25_180:                             ;   in Loop: Header=BB25_63 Depth=1
	v_bfe_u32 v4, v7, 20, 1
	s_mov_b32 s14, exec_lo
	s_delay_alu instid0(VALU_DEP_1) | instskip(NEXT) | instid1(VALU_DEP_1)
	v_add3_u32 v4, v7, v4, 0x487ffff
	v_lshrrev_b32_e32 v8, 20, v4
	s_or_saveexec_b32 s15, s15
                                        ; implicit-def: $sgpr16
	s_delay_alu instid0(SALU_CYCLE_1)
	s_xor_b32 exec_lo, exec_lo, s15
	s_cbranch_execz .LBB25_128
.LBB25_181:                             ;   in Loop: Header=BB25_63 Depth=1
	v_add_f32_e64 v4, 0x46000000, |v7|
	s_and_not1_b32 s14, s14, exec_lo
	s_mov_b32 s16, 0
	s_delay_alu instid0(VALU_DEP_1) | instskip(NEXT) | instid1(VALU_DEP_1)
	v_and_b32_e32 v8, 0xff, v4
	v_cmp_ne_u32_e32 vcc_lo, 0, v8
	s_and_b32 s17, vcc_lo, exec_lo
	s_delay_alu instid0(SALU_CYCLE_1)
	s_or_b32 s14, s14, s17
	s_or_b32 exec_lo, exec_lo, s15
	v_mov_b32_e32 v4, s16
	s_and_saveexec_b32 s15, s14
	s_cbranch_execnz .LBB25_129
	s_branch .LBB25_130
.LBB25_182:                             ;   in Loop: Header=BB25_63 Depth=1
	v_bfe_u32 v3, v5, 20, 1
	s_mov_b32 s14, exec_lo
	s_delay_alu instid0(VALU_DEP_1) | instskip(NEXT) | instid1(VALU_DEP_1)
	v_add3_u32 v3, v5, v3, 0x487ffff
	v_lshrrev_b32_e32 v7, 20, v3
	s_or_saveexec_b32 s15, s15
                                        ; implicit-def: $sgpr16
	s_delay_alu instid0(SALU_CYCLE_1)
	s_xor_b32 exec_lo, exec_lo, s15
	s_cbranch_execz .LBB25_134
.LBB25_183:                             ;   in Loop: Header=BB25_63 Depth=1
	v_add_f32_e64 v3, 0x46000000, |v5|
	s_and_not1_b32 s14, s14, exec_lo
	s_mov_b32 s16, 0
	s_delay_alu instid0(VALU_DEP_1) | instskip(NEXT) | instid1(VALU_DEP_1)
	v_and_b32_e32 v7, 0xff, v3
	v_cmp_ne_u32_e32 vcc_lo, 0, v7
	s_and_b32 s17, vcc_lo, exec_lo
	s_delay_alu instid0(SALU_CYCLE_1)
	s_or_b32 s14, s14, s17
	s_or_b32 exec_lo, exec_lo, s15
	v_mov_b32_e32 v3, s16
	s_and_saveexec_b32 s15, s14
	s_cbranch_execnz .LBB25_135
	s_branch .LBB25_136
.LBB25_184:                             ;   in Loop: Header=BB25_63 Depth=1
	v_bfe_u32 v2, v12, 20, 1
	s_mov_b32 s15, exec_lo
	s_delay_alu instid0(VALU_DEP_1) | instskip(NEXT) | instid1(VALU_DEP_1)
	v_add3_u32 v2, v12, v2, 0x487ffff
	v_lshrrev_b32_e32 v15, 20, v2
	s_or_saveexec_b32 s16, s16
                                        ; implicit-def: $sgpr17
	s_delay_alu instid0(SALU_CYCLE_1)
	s_xor_b32 exec_lo, exec_lo, s16
	s_cbranch_execz .LBB25_141
.LBB25_185:                             ;   in Loop: Header=BB25_63 Depth=1
	v_add_f32_e64 v2, 0x46000000, |v12|
	s_and_not1_b32 s15, s15, exec_lo
	s_mov_b32 s17, 0
	s_delay_alu instid0(VALU_DEP_1) | instskip(NEXT) | instid1(VALU_DEP_1)
	v_and_b32_e32 v15, 0xff, v2
	v_cmp_ne_u32_e32 vcc_lo, 0, v15
	s_and_b32 s18, vcc_lo, exec_lo
	s_delay_alu instid0(SALU_CYCLE_1)
	s_or_b32 s15, s15, s18
	s_or_b32 exec_lo, exec_lo, s16
	v_mov_b32_e32 v2, s17
	s_and_saveexec_b32 s16, s15
	s_cbranch_execnz .LBB25_142
	s_branch .LBB25_143
.LBB25_186:                             ;   in Loop: Header=BB25_63 Depth=1
	v_bfe_u32 v6, v3, 20, 1
	s_mov_b32 s15, exec_lo
	s_delay_alu instid0(VALU_DEP_1) | instskip(NEXT) | instid1(VALU_DEP_1)
	v_add3_u32 v6, v3, v6, 0x487ffff
	v_lshrrev_b32_e32 v7, 20, v6
	s_or_saveexec_b32 s16, s16
                                        ; implicit-def: $sgpr17
	s_delay_alu instid0(SALU_CYCLE_1)
	s_xor_b32 exec_lo, exec_lo, s16
	s_cbranch_execz .LBB25_147
.LBB25_187:                             ;   in Loop: Header=BB25_63 Depth=1
	v_add_f32_e64 v6, 0x46000000, |v3|
	s_and_not1_b32 s15, s15, exec_lo
	s_mov_b32 s17, 0
	s_delay_alu instid0(VALU_DEP_1) | instskip(NEXT) | instid1(VALU_DEP_1)
	v_and_b32_e32 v7, 0xff, v6
	v_cmp_ne_u32_e32 vcc_lo, 0, v7
	s_and_b32 s18, vcc_lo, exec_lo
	s_delay_alu instid0(SALU_CYCLE_1)
	s_or_b32 s15, s15, s18
	s_or_b32 exec_lo, exec_lo, s16
	v_mov_b32_e32 v6, s17
	s_and_saveexec_b32 s16, s15
	s_cbranch_execnz .LBB25_148
	s_branch .LBB25_149
.LBB25_188:                             ;   in Loop: Header=BB25_63 Depth=1
	v_bfe_u32 v4, v7, 20, 1
	s_mov_b32 s15, exec_lo
	s_delay_alu instid0(VALU_DEP_1) | instskip(NEXT) | instid1(VALU_DEP_1)
	v_add3_u32 v4, v7, v4, 0x487ffff
	v_lshrrev_b32_e32 v8, 20, v4
	s_or_saveexec_b32 s16, s16
                                        ; implicit-def: $sgpr17
	s_delay_alu instid0(SALU_CYCLE_1)
	s_xor_b32 exec_lo, exec_lo, s16
	s_cbranch_execz .LBB25_153
.LBB25_189:                             ;   in Loop: Header=BB25_63 Depth=1
	v_add_f32_e64 v4, 0x46000000, |v7|
	s_and_not1_b32 s15, s15, exec_lo
	s_mov_b32 s17, 0
	s_delay_alu instid0(VALU_DEP_1) | instskip(NEXT) | instid1(VALU_DEP_1)
	v_and_b32_e32 v8, 0xff, v4
	v_cmp_ne_u32_e32 vcc_lo, 0, v8
	s_and_b32 s18, vcc_lo, exec_lo
	s_delay_alu instid0(SALU_CYCLE_1)
	s_or_b32 s15, s15, s18
	s_or_b32 exec_lo, exec_lo, s16
	v_mov_b32_e32 v4, s17
	s_and_saveexec_b32 s16, s15
	s_cbranch_execnz .LBB25_154
	s_branch .LBB25_155
.LBB25_190:                             ;   in Loop: Header=BB25_63 Depth=1
	v_bfe_u32 v3, v5, 20, 1
	s_mov_b32 s15, exec_lo
	s_delay_alu instid0(VALU_DEP_1) | instskip(NEXT) | instid1(VALU_DEP_1)
	v_add3_u32 v3, v5, v3, 0x487ffff
	v_lshrrev_b32_e32 v7, 20, v3
	s_or_saveexec_b32 s16, s16
                                        ; implicit-def: $sgpr17
	s_delay_alu instid0(SALU_CYCLE_1)
	s_xor_b32 exec_lo, exec_lo, s16
	s_cbranch_execz .LBB25_159
.LBB25_191:                             ;   in Loop: Header=BB25_63 Depth=1
	v_add_f32_e64 v3, 0x46000000, |v5|
	s_and_not1_b32 s15, s15, exec_lo
	s_mov_b32 s17, 0
	s_delay_alu instid0(VALU_DEP_1) | instskip(NEXT) | instid1(VALU_DEP_1)
	v_and_b32_e32 v7, 0xff, v3
	v_cmp_ne_u32_e32 vcc_lo, 0, v7
	s_and_b32 s18, vcc_lo, exec_lo
	s_delay_alu instid0(SALU_CYCLE_1)
	s_or_b32 s15, s15, s18
	s_or_b32 exec_lo, exec_lo, s16
	v_mov_b32_e32 v3, s17
	s_and_saveexec_b32 s16, s15
	s_cbranch_execz .LBB25_58
.LBB25_192:                             ;   in Loop: Header=BB25_63 Depth=1
	v_lshrrev_b32_e32 v3, 24, v5
	s_delay_alu instid0(VALU_DEP_1)
	v_and_or_b32 v3, 0x80, v3, v7
	s_branch .LBB25_58
.LBB25_193:
	s_nop 0
	s_sendmsg sendmsg(MSG_DEALLOC_VGPRS)
	s_endpgm
.LBB25_194:
                                        ; implicit-def: $vgpr3_vgpr4
	s_branch .LBB25_51
.LBB25_195:
                                        ; implicit-def: $vgpr1_vgpr2
	s_branch .LBB25_56
	.section	.rodata,"a",@progbits
	.p2align	6, 0x0
	.amdhsa_kernel _ZN4vllm31rms_norm_per_block_quant_kernelIfN3c1015Float8_e4m3fnuzELb0ELb1ELi128EEEvPT0_PfPKT_S8_PKffiiPS6_l
		.amdhsa_group_segment_fixed_size 4228
		.amdhsa_private_segment_fixed_size 0
		.amdhsa_kernarg_size 328
		.amdhsa_user_sgpr_count 15
		.amdhsa_user_sgpr_dispatch_ptr 0
		.amdhsa_user_sgpr_queue_ptr 0
		.amdhsa_user_sgpr_kernarg_segment_ptr 1
		.amdhsa_user_sgpr_dispatch_id 0
		.amdhsa_user_sgpr_private_segment_size 0
		.amdhsa_wavefront_size32 1
		.amdhsa_uses_dynamic_stack 0
		.amdhsa_enable_private_segment 0
		.amdhsa_system_sgpr_workgroup_id_x 1
		.amdhsa_system_sgpr_workgroup_id_y 0
		.amdhsa_system_sgpr_workgroup_id_z 0
		.amdhsa_system_sgpr_workgroup_info 0
		.amdhsa_system_vgpr_workitem_id 0
		.amdhsa_next_free_vgpr 35
		.amdhsa_next_free_sgpr 38
		.amdhsa_reserve_vcc 1
		.amdhsa_float_round_mode_32 0
		.amdhsa_float_round_mode_16_64 0
		.amdhsa_float_denorm_mode_32 3
		.amdhsa_float_denorm_mode_16_64 3
		.amdhsa_dx10_clamp 1
		.amdhsa_ieee_mode 1
		.amdhsa_fp16_overflow 0
		.amdhsa_workgroup_processor_mode 1
		.amdhsa_memory_ordered 1
		.amdhsa_forward_progress 0
		.amdhsa_shared_vgpr_count 0
		.amdhsa_exception_fp_ieee_invalid_op 0
		.amdhsa_exception_fp_denorm_src 0
		.amdhsa_exception_fp_ieee_div_zero 0
		.amdhsa_exception_fp_ieee_overflow 0
		.amdhsa_exception_fp_ieee_underflow 0
		.amdhsa_exception_fp_ieee_inexact 0
		.amdhsa_exception_int_div_zero 0
	.end_amdhsa_kernel
	.section	.text._ZN4vllm31rms_norm_per_block_quant_kernelIfN3c1015Float8_e4m3fnuzELb0ELb1ELi128EEEvPT0_PfPKT_S8_PKffiiPS6_l,"axG",@progbits,_ZN4vllm31rms_norm_per_block_quant_kernelIfN3c1015Float8_e4m3fnuzELb0ELb1ELi128EEEvPT0_PfPKT_S8_PKffiiPS6_l,comdat
.Lfunc_end25:
	.size	_ZN4vllm31rms_norm_per_block_quant_kernelIfN3c1015Float8_e4m3fnuzELb0ELb1ELi128EEEvPT0_PfPKT_S8_PKffiiPS6_l, .Lfunc_end25-_ZN4vllm31rms_norm_per_block_quant_kernelIfN3c1015Float8_e4m3fnuzELb0ELb1ELi128EEEvPT0_PfPKT_S8_PKffiiPS6_l
                                        ; -- End function
	.section	.AMDGPU.csdata,"",@progbits
; Kernel info:
; codeLenInByte = 12436
; NumSgprs: 40
; NumVgprs: 35
; ScratchSize: 0
; MemoryBound: 0
; FloatMode: 240
; IeeeMode: 1
; LDSByteSize: 4228 bytes/workgroup (compile time only)
; SGPRBlocks: 4
; VGPRBlocks: 4
; NumSGPRsForWavesPerEU: 40
; NumVGPRsForWavesPerEU: 35
; Occupancy: 16
; WaveLimiterHint : 0
; COMPUTE_PGM_RSRC2:SCRATCH_EN: 0
; COMPUTE_PGM_RSRC2:USER_SGPR: 15
; COMPUTE_PGM_RSRC2:TRAP_HANDLER: 0
; COMPUTE_PGM_RSRC2:TGID_X_EN: 1
; COMPUTE_PGM_RSRC2:TGID_Y_EN: 0
; COMPUTE_PGM_RSRC2:TGID_Z_EN: 0
; COMPUTE_PGM_RSRC2:TIDIG_COMP_CNT: 0
	.section	.text._ZN4vllm31rms_norm_per_block_quant_kernelIfaLb0ELb1ELi128EEEvPT0_PfPKT_S6_PKffiiPS4_l,"axG",@progbits,_ZN4vllm31rms_norm_per_block_quant_kernelIfaLb0ELb1ELi128EEEvPT0_PfPKT_S6_PKffiiPS4_l,comdat
	.protected	_ZN4vllm31rms_norm_per_block_quant_kernelIfaLb0ELb1ELi128EEEvPT0_PfPKT_S6_PKffiiPS4_l ; -- Begin function _ZN4vllm31rms_norm_per_block_quant_kernelIfaLb0ELb1ELi128EEEvPT0_PfPKT_S6_PKffiiPS4_l
	.globl	_ZN4vllm31rms_norm_per_block_quant_kernelIfaLb0ELb1ELi128EEEvPT0_PfPKT_S6_PKffiiPS4_l
	.p2align	8
	.type	_ZN4vllm31rms_norm_per_block_quant_kernelIfaLb0ELb1ELi128EEEvPT0_PfPKT_S6_PKffiiPS4_l,@function
_ZN4vllm31rms_norm_per_block_quant_kernelIfaLb0ELb1ELi128EEEvPT0_PfPKT_S6_PKffiiPS4_l: ; @_ZN4vllm31rms_norm_per_block_quant_kernelIfaLb0ELb1ELi128EEEvPT0_PfPKT_S6_PKffiiPS4_l
; %bb.0:
	s_mov_b32 s16, s15
	s_clause 0x2
	s_load_b128 s[12:15], s[0:1], 0x28
	s_load_b256 s[4:11], s[0:1], 0x0
	s_load_b32 s29, s[0:1], 0x48
	v_mov_b32_e32 v6, 0
	s_mov_b32 s17, 0
	s_waitcnt lgkmcnt(0)
	s_ashr_i32 s2, s14, 31
	s_mul_hi_u32 s3, s14, s16
	s_mul_i32 s15, s2, s16
	s_mul_i32 s2, s14, s16
	s_add_i32 s3, s3, s15
	s_mov_b32 s14, s13
	s_lshl_b64 s[2:3], s[2:3], 2
	s_delay_alu instid0(SALU_CYCLE_1)
	s_add_u32 s26, s8, s2
	s_addc_u32 s27, s9, s3
	s_ashr_i32 s8, s13, 2
	s_add_u32 s18, s0, 0x48
	v_cmp_gt_u32_e64 s2, s8, v0
	s_addc_u32 s19, s1, 0
	s_delay_alu instid0(VALU_DEP_1)
	s_and_saveexec_b32 s3, s2
	s_cbranch_execz .LBB26_10
; %bb.1:
	s_cmp_lt_u32 s16, s29
	v_mov_b32_e32 v2, 0
	s_cselect_b32 s9, 12, 18
                                        ; implicit-def: $sgpr15
	v_mov_b32_e32 v1, v0
	s_add_u32 s20, s18, s9
	s_addc_u32 s21, s19, 0
	s_mov_b32 s9, s17
	global_load_u16 v7, v2, s[20:21]
	s_waitcnt vmcnt(0)
	v_lshlrev_b32_e32 v9, 1, v7
	v_mul_lo_u32 v8, v7, 3
	v_add_nc_u32_e32 v10, v7, v7
	v_mov_b32_e32 v6, v2
	s_branch .LBB26_5
.LBB26_2:                               ;   in Loop: Header=BB26_5 Depth=1
	s_or_b32 exec_lo, exec_lo, s22
	s_delay_alu instid0(SALU_CYCLE_1)
	s_or_not1_b32 s22, s23, exec_lo
.LBB26_3:                               ;   in Loop: Header=BB26_5 Depth=1
	s_or_b32 exec_lo, exec_lo, s21
	s_delay_alu instid0(SALU_CYCLE_1) | instskip(SKIP_1) | instid1(SALU_CYCLE_1)
	s_and_not1_b32 s15, s15, exec_lo
	s_and_b32 s21, s22, exec_lo
	s_or_b32 s15, s15, s21
.LBB26_4:                               ;   in Loop: Header=BB26_5 Depth=1
	s_or_b32 exec_lo, exec_lo, s20
	s_delay_alu instid0(SALU_CYCLE_1) | instskip(NEXT) | instid1(SALU_CYCLE_1)
	s_and_b32 s20, exec_lo, s15
	s_or_b32 s9, s20, s9
	s_delay_alu instid0(SALU_CYCLE_1)
	s_and_not1_b32 exec_lo, exec_lo, s9
	s_cbranch_execz .LBB26_9
.LBB26_5:                               ; =>This Inner Loop Header: Depth=1
	v_lshlrev_b64 v[3:4], 4, v[1:2]
	s_or_b32 s15, s15, exec_lo
	s_mov_b32 s20, exec_lo
	s_delay_alu instid0(VALU_DEP_1) | instskip(NEXT) | instid1(VALU_DEP_2)
	v_add_co_u32 v3, vcc_lo, s26, v3
	v_add_co_ci_u32_e32 v4, vcc_lo, s27, v4, vcc_lo
	global_load_b128 v[11:14], v[3:4], off
	v_add_nc_u32_e32 v3, v1, v7
	s_waitcnt vmcnt(0)
	v_fmac_f32_e32 v6, v11, v11
	s_delay_alu instid0(VALU_DEP_1) | instskip(NEXT) | instid1(VALU_DEP_1)
	v_fmac_f32_e32 v6, v12, v12
	v_fmac_f32_e32 v6, v13, v13
	s_delay_alu instid0(VALU_DEP_1)
	v_fmac_f32_e32 v6, v14, v14
	v_cmpx_gt_u32_e64 s8, v3
	s_cbranch_execz .LBB26_4
; %bb.6:                                ;   in Loop: Header=BB26_5 Depth=1
	v_mov_b32_e32 v4, v2
	s_mov_b32 s22, -1
	s_mov_b32 s21, exec_lo
	s_delay_alu instid0(VALU_DEP_1) | instskip(NEXT) | instid1(VALU_DEP_1)
	v_lshlrev_b64 v[4:5], 4, v[3:4]
	v_add_co_u32 v4, vcc_lo, s26, v4
	s_delay_alu instid0(VALU_DEP_2) | instskip(SKIP_4) | instid1(VALU_DEP_1)
	v_add_co_ci_u32_e32 v5, vcc_lo, s27, v5, vcc_lo
	global_load_b128 v[11:14], v[4:5], off
	v_add_nc_u32_e32 v4, v9, v1
	s_waitcnt vmcnt(0)
	v_fmac_f32_e32 v6, v11, v11
	v_fmac_f32_e32 v6, v12, v12
	s_delay_alu instid0(VALU_DEP_1) | instskip(NEXT) | instid1(VALU_DEP_1)
	v_fmac_f32_e32 v6, v13, v13
	v_fmac_f32_e32 v6, v14, v14
	v_cmpx_gt_u32_e64 s8, v4
	s_cbranch_execz .LBB26_3
; %bb.7:                                ;   in Loop: Header=BB26_5 Depth=1
	v_mov_b32_e32 v5, v2
	s_mov_b32 s23, -1
	s_mov_b32 s22, exec_lo
	s_delay_alu instid0(VALU_DEP_1) | instskip(NEXT) | instid1(VALU_DEP_1)
	v_lshlrev_b64 v[4:5], 4, v[4:5]
	v_add_co_u32 v4, vcc_lo, s26, v4
	s_delay_alu instid0(VALU_DEP_2) | instskip(SKIP_3) | instid1(VALU_DEP_1)
	v_add_co_ci_u32_e32 v5, vcc_lo, s27, v5, vcc_lo
	global_load_b128 v[11:14], v[4:5], off
	s_waitcnt vmcnt(0)
	v_fmac_f32_e32 v6, v11, v11
	v_fmac_f32_e32 v6, v12, v12
	s_delay_alu instid0(VALU_DEP_1) | instskip(NEXT) | instid1(VALU_DEP_1)
	v_fmac_f32_e32 v6, v13, v13
	v_dual_fmac_f32 v6, v14, v14 :: v_dual_add_nc_u32 v1, v8, v1
	s_delay_alu instid0(VALU_DEP_1)
	v_cmpx_gt_u32_e64 s8, v1
	s_xor_b32 s22, exec_lo, s22
	s_cbranch_execz .LBB26_2
; %bb.8:                                ;   in Loop: Header=BB26_5 Depth=1
	v_lshlrev_b64 v[4:5], 4, v[1:2]
	v_add3_u32 v1, v10, v7, v3
	s_delay_alu instid0(VALU_DEP_2) | instskip(NEXT) | instid1(VALU_DEP_3)
	v_add_co_u32 v4, vcc_lo, s26, v4
	v_add_co_ci_u32_e32 v5, vcc_lo, s27, v5, vcc_lo
	s_delay_alu instid0(VALU_DEP_3) | instskip(SKIP_4) | instid1(VALU_DEP_1)
	v_cmp_le_u32_e32 vcc_lo, s8, v1
	global_load_b128 v[11:14], v[4:5], off
	s_or_not1_b32 s23, vcc_lo, exec_lo
	s_waitcnt vmcnt(0)
	v_fmac_f32_e32 v6, v11, v11
	v_fmac_f32_e32 v6, v12, v12
	s_delay_alu instid0(VALU_DEP_1) | instskip(NEXT) | instid1(VALU_DEP_1)
	v_fmac_f32_e32 v6, v13, v13
	v_fmac_f32_e32 v6, v14, v14
	s_branch .LBB26_2
.LBB26_9:
	s_or_b32 exec_lo, exec_lo, s9
.LBB26_10:
	s_delay_alu instid0(SALU_CYCLE_1) | instskip(SKIP_4) | instid1(VALU_DEP_2)
	s_or_b32 exec_lo, exec_lo, s3
	v_mbcnt_lo_u32_b32 v1, -1, 0
	s_load_b32 s3, s[18:19], 0xc
	v_and_b32_e32 v7, 0x3e0, v0
	s_mov_b32 s9, exec_lo
	v_cmp_ne_u32_e32 vcc_lo, 31, v1
	v_add_nc_u32_e32 v3, 1, v1
	v_add_co_ci_u32_e32 v2, vcc_lo, 0, v1, vcc_lo
	v_cmp_gt_u32_e32 vcc_lo, 30, v1
	s_delay_alu instid0(VALU_DEP_2)
	v_lshlrev_b32_e32 v2, 2, v2
	v_cndmask_b32_e64 v5, 0, 1, vcc_lo
	ds_bpermute_b32 v4, v2, v6
	s_waitcnt lgkmcnt(0)
	s_and_b32 s3, s3, 0xffff
	v_lshlrev_b32_e32 v5, 1, v5
	v_sub_nc_u32_e64 v12, s3, v7 clamp
	s_delay_alu instid0(VALU_DEP_1) | instskip(SKIP_1) | instid1(VALU_DEP_4)
	v_cmp_lt_u32_e32 vcc_lo, v3, v12
	v_add_f32_e32 v7, v6, v4
	v_add_lshl_u32 v4, v5, v1, 2
	s_delay_alu instid0(VALU_DEP_2) | instskip(SKIP_2) | instid1(VALU_DEP_1)
	v_cndmask_b32_e32 v7, v6, v7, vcc_lo
	v_cmp_gt_u32_e32 vcc_lo, 28, v1
	v_cndmask_b32_e64 v5, 0, 1, vcc_lo
	v_lshlrev_b32_e32 v8, 2, v5
	ds_bpermute_b32 v6, v4, v7
	v_add_nc_u32_e32 v5, 2, v1
	s_delay_alu instid0(VALU_DEP_1) | instskip(SKIP_3) | instid1(VALU_DEP_2)
	v_cmp_lt_u32_e32 vcc_lo, v5, v12
	s_waitcnt lgkmcnt(0)
	v_add_f32_e32 v9, v7, v6
	v_add_lshl_u32 v6, v8, v1, 2
	v_cndmask_b32_e32 v9, v7, v9, vcc_lo
	v_cmp_gt_u32_e32 vcc_lo, 24, v1
	ds_bpermute_b32 v8, v6, v9
	v_cndmask_b32_e64 v7, 0, 1, vcc_lo
	s_delay_alu instid0(VALU_DEP_1) | instskip(SKIP_1) | instid1(VALU_DEP_1)
	v_lshlrev_b32_e32 v10, 3, v7
	v_add_nc_u32_e32 v7, 4, v1
	v_cmp_lt_u32_e32 vcc_lo, v7, v12
	s_waitcnt lgkmcnt(0)
	v_add_f32_e32 v11, v9, v8
	v_add_lshl_u32 v8, v10, v1, 2
	s_delay_alu instid0(VALU_DEP_2) | instskip(SKIP_3) | instid1(VALU_DEP_1)
	v_cndmask_b32_e32 v11, v9, v11, vcc_lo
	v_cmp_gt_u32_e32 vcc_lo, 16, v1
	ds_bpermute_b32 v10, v8, v11
	v_cndmask_b32_e64 v9, 0, 1, vcc_lo
	v_lshlrev_b32_e32 v13, 4, v9
	v_add_nc_u32_e32 v9, 8, v1
	s_delay_alu instid0(VALU_DEP_1) | instskip(SKIP_3) | instid1(VALU_DEP_2)
	v_cmp_lt_u32_e32 vcc_lo, v9, v12
	s_waitcnt lgkmcnt(0)
	v_add_f32_e32 v14, v11, v10
	v_add_lshl_u32 v10, v13, v1, 2
	v_cndmask_b32_e32 v13, v11, v14, vcc_lo
	v_add_nc_u32_e32 v11, 16, v1
	ds_bpermute_b32 v14, v10, v13
	v_cmp_lt_u32_e32 vcc_lo, v11, v12
	s_waitcnt lgkmcnt(0)
	v_add_f32_e32 v14, v13, v14
	s_delay_alu instid0(VALU_DEP_1)
	v_cndmask_b32_e32 v12, v13, v14, vcc_lo
	v_cmpx_eq_u32_e32 0, v1
	s_cbranch_execz .LBB26_12
; %bb.11:
	v_lshrrev_b32_e32 v13, 3, v0
	s_delay_alu instid0(VALU_DEP_1)
	v_and_b32_e32 v13, 0x7c, v13
	ds_store_b32 v13, v12 offset:4096
.LBB26_12:
	s_or_b32 exec_lo, exec_lo, s9
	s_delay_alu instid0(SALU_CYCLE_1)
	s_mov_b32 s9, exec_lo
	s_waitcnt lgkmcnt(0)
	s_barrier
	buffer_gl0_inv
	v_cmpx_gt_u32_e32 32, v0
	s_cbranch_execz .LBB26_14
; %bb.13:
	v_lshlrev_b32_e32 v1, 2, v1
	s_add_i32 s3, s3, 31
	s_delay_alu instid0(SALU_CYCLE_1) | instskip(NEXT) | instid1(SALU_CYCLE_1)
	s_lshr_b32 s3, s3, 5
	v_cmp_gt_u32_e32 vcc_lo, s3, v3
	ds_load_b32 v1, v1 offset:4096
	s_waitcnt lgkmcnt(0)
	ds_bpermute_b32 v2, v2, v1
	s_waitcnt lgkmcnt(0)
	v_add_f32_e32 v2, v1, v2
	s_delay_alu instid0(VALU_DEP_1) | instskip(SKIP_4) | instid1(VALU_DEP_1)
	v_cndmask_b32_e32 v1, v1, v2, vcc_lo
	v_cmp_gt_u32_e32 vcc_lo, s3, v5
	ds_bpermute_b32 v2, v4, v1
	s_waitcnt lgkmcnt(0)
	v_add_f32_e32 v2, v1, v2
	v_cndmask_b32_e32 v1, v1, v2, vcc_lo
	v_cmp_gt_u32_e32 vcc_lo, s3, v7
	ds_bpermute_b32 v2, v6, v1
	s_waitcnt lgkmcnt(0)
	v_add_f32_e32 v2, v1, v2
	s_delay_alu instid0(VALU_DEP_1) | instskip(SKIP_4) | instid1(VALU_DEP_1)
	v_cndmask_b32_e32 v1, v1, v2, vcc_lo
	v_cmp_gt_u32_e32 vcc_lo, s3, v9
	ds_bpermute_b32 v2, v8, v1
	s_waitcnt lgkmcnt(0)
	v_add_f32_e32 v2, v1, v2
	v_cndmask_b32_e32 v1, v1, v2, vcc_lo
	v_cmp_gt_u32_e32 vcc_lo, s3, v11
	ds_bpermute_b32 v2, v10, v1
	s_waitcnt lgkmcnt(0)
	v_add_f32_e32 v2, v1, v2
	s_delay_alu instid0(VALU_DEP_1)
	v_cndmask_b32_e32 v12, v1, v2, vcc_lo
.LBB26_14:
	s_or_b32 exec_lo, exec_lo, s9
	s_delay_alu instid0(SALU_CYCLE_1)
	s_mov_b32 s3, exec_lo
	v_cmpx_eq_u32_e32 0, v0
	s_cbranch_execz .LBB26_16
; %bb.15:
	v_cvt_f32_i32_e32 v1, s13
	s_delay_alu instid0(VALU_DEP_1) | instskip(SKIP_1) | instid1(VALU_DEP_2)
	v_div_scale_f32 v2, null, v1, v1, v12
	v_div_scale_f32 v5, vcc_lo, v12, v1, v12
	v_rcp_f32_e32 v3, v2
	s_waitcnt_depctr 0xfff
	v_fma_f32 v4, -v2, v3, 1.0
	s_delay_alu instid0(VALU_DEP_1) | instskip(NEXT) | instid1(VALU_DEP_1)
	v_fmac_f32_e32 v3, v4, v3
	v_mul_f32_e32 v4, v5, v3
	s_delay_alu instid0(VALU_DEP_1) | instskip(NEXT) | instid1(VALU_DEP_1)
	v_fma_f32 v6, -v2, v4, v5
	v_fmac_f32_e32 v4, v6, v3
	s_delay_alu instid0(VALU_DEP_1) | instskip(NEXT) | instid1(VALU_DEP_1)
	v_fma_f32 v2, -v2, v4, v5
	v_div_fmas_f32 v2, v2, v3, v4
	s_delay_alu instid0(VALU_DEP_1) | instskip(NEXT) | instid1(VALU_DEP_1)
	v_div_fixup_f32 v1, v2, v1, v12
	v_add_f32_e32 v1, s12, v1
	s_delay_alu instid0(VALU_DEP_1) | instskip(SKIP_1) | instid1(VALU_DEP_2)
	v_mul_f32_e32 v2, 0x4b800000, v1
	v_cmp_gt_f32_e32 vcc_lo, 0x800000, v1
	v_cndmask_b32_e32 v1, v1, v2, vcc_lo
	s_delay_alu instid0(VALU_DEP_1) | instskip(SKIP_2) | instid1(VALU_DEP_1)
	v_rsq_f32_e32 v1, v1
	s_waitcnt_depctr 0xfff
	v_mul_f32_e32 v2, 0x45800000, v1
	v_dual_cndmask_b32 v1, v1, v2 :: v_dual_mov_b32 v2, 0
	ds_store_b32 v2, v1 offset:4224
.LBB26_16:
	s_or_b32 exec_lo, exec_lo, s3
	s_ashr_i32 s15, s13, 31
	v_mov_b32_e32 v4, 0
	s_lshr_b32 s3, s15, 25
	s_waitcnt lgkmcnt(0)
	s_add_i32 s3, s13, s3
	s_barrier
	s_ashr_i32 s12, s3, 7
	s_cmp_lt_u32 s16, s29
	buffer_gl0_inv
	s_cselect_b32 s9, 12, 18
	ds_load_b32 v28, v4 offset:4224
	s_add_u32 s18, s18, s9
	s_addc_u32 s19, s19, 0
	s_abs_i32 s9, s12
	global_load_u16 v1, v4, s[18:19]
	v_cvt_f32_u32_e32 v2, s9
	s_sub_i32 s18, 0, s9
	s_ashr_i32 s3, s3, 31
	s_delay_alu instid0(VALU_DEP_1) | instskip(SKIP_2) | instid1(VALU_DEP_1)
	v_rcp_iflag_f32_e32 v2, v2
	s_waitcnt_depctr 0xfff
	v_mul_f32_e32 v2, 0x4f7ffffe, v2
	v_cvt_u32_f32_e32 v2, v2
	s_delay_alu instid0(VALU_DEP_1) | instskip(NEXT) | instid1(VALU_DEP_1)
	v_readfirstlane_b32 s13, v2
	s_mul_i32 s18, s18, s13
	s_delay_alu instid0(SALU_CYCLE_1) | instskip(NEXT) | instid1(SALU_CYCLE_1)
	s_mul_hi_u32 s18, s13, s18
	s_add_i32 s13, s13, s18
	s_waitcnt vmcnt(0)
	v_readfirstlane_b32 s28, v1
	s_delay_alu instid0(VALU_DEP_1) | instskip(NEXT) | instid1(SALU_CYCLE_1)
	s_mul_hi_u32 s13, s28, s13
	s_mul_i32 s18, s13, s9
	s_add_i32 s19, s13, 1
	s_sub_i32 s18, s28, s18
	s_delay_alu instid0(SALU_CYCLE_1)
	s_sub_i32 s20, s18, s9
	s_cmp_ge_u32 s18, s9
	s_cselect_b32 s13, s19, s13
	s_cselect_b32 s18, s20, s18
	s_add_i32 s19, s13, 1
	s_cmp_ge_u32 s18, s9
	s_cselect_b32 s9, s19, s13
	s_delay_alu instid0(SALU_CYCLE_1) | instskip(NEXT) | instid1(SALU_CYCLE_1)
	s_xor_b32 s9, s9, s3
	s_sub_i32 s18, s9, s3
	s_delay_alu instid0(SALU_CYCLE_1) | instskip(SKIP_3) | instid1(VALU_DEP_1)
	s_abs_i32 s3, s18
	s_ashr_i32 s19, s18, 31
	v_cvt_f32_u32_e32 v1, s3
	s_sub_i32 s9, 0, s3
	v_rcp_iflag_f32_e32 v1, v1
	s_waitcnt_depctr 0xfff
	v_mul_f32_e32 v1, 0x4f7ffffe, v1
	s_delay_alu instid0(VALU_DEP_1) | instskip(NEXT) | instid1(VALU_DEP_1)
	v_cvt_u32_f32_e32 v1, v1
	v_mul_lo_u32 v2, s9, v1
	s_ashr_i32 s9, s8, 31
	s_delay_alu instid0(VALU_DEP_1) | instskip(NEXT) | instid1(VALU_DEP_1)
	v_mul_hi_u32 v2, v1, v2
	v_add_nc_u32_e32 v1, v1, v2
	s_delay_alu instid0(VALU_DEP_1) | instskip(NEXT) | instid1(VALU_DEP_1)
	v_mul_hi_u32 v1, v0, v1
	v_mul_lo_u32 v2, v1, s3
	v_add_nc_u32_e32 v3, 1, v1
	s_delay_alu instid0(VALU_DEP_2) | instskip(NEXT) | instid1(VALU_DEP_1)
	v_sub_nc_u32_e32 v2, v0, v2
	v_subrev_nc_u32_e32 v5, s3, v2
	v_cmp_le_u32_e32 vcc_lo, s3, v2
	s_delay_alu instid0(VALU_DEP_2) | instskip(NEXT) | instid1(VALU_DEP_1)
	v_dual_cndmask_b32 v2, v2, v5 :: v_dual_cndmask_b32 v1, v1, v3
	v_cmp_le_u32_e32 vcc_lo, s3, v2
	s_delay_alu instid0(VALU_DEP_2) | instskip(NEXT) | instid1(VALU_DEP_1)
	v_add_nc_u32_e32 v3, 1, v1
	v_cndmask_b32_e32 v1, v1, v3, vcc_lo
	s_delay_alu instid0(VALU_DEP_1) | instskip(NEXT) | instid1(VALU_DEP_1)
	v_xor_b32_e32 v1, s19, v1
	v_subrev_nc_u32_e32 v1, s19, v1
	s_delay_alu instid0(VALU_DEP_1) | instskip(SKIP_1) | instid1(VALU_DEP_2)
	v_ashrrev_i32_e32 v2, 31, v1
	v_mul_lo_u32 v3, v1, s18
	v_lshlrev_b64 v[7:8], 5, v[1:2]
	s_delay_alu instid0(VALU_DEP_2) | instskip(NEXT) | instid1(VALU_DEP_2)
	v_sub_nc_u32_e32 v3, v0, v3
	v_add_co_u32 v5, vcc_lo, v7, 32
	s_delay_alu instid0(VALU_DEP_3) | instskip(NEXT) | instid1(VALU_DEP_1)
	v_add_co_ci_u32_e32 v6, vcc_lo, 0, v8, vcc_lo
	v_cmp_gt_i64_e32 vcc_lo, s[8:9], v[5:6]
	v_cndmask_b32_e32 v6, s9, v6, vcc_lo
	v_cndmask_b32_e32 v5, s8, v5, vcc_lo
	v_add_co_u32 v7, vcc_lo, v7, v3
	v_add_co_ci_u32_e32 v8, vcc_lo, 0, v8, vcc_lo
	s_delay_alu instid0(VALU_DEP_3) | instskip(SKIP_2) | instid1(VALU_DEP_1)
	v_ashrrev_i32_e32 v10, 31, v5
	v_mov_b32_e32 v9, v5
	s_mov_b32 s9, exec_lo
	v_cmpx_lt_i64_e64 v[7:8], v[9:10]
	s_cbranch_execz .LBB26_26
; %bb.17:
	v_lshlrev_b64 v[11:12], 9, v[1:2]
	v_lshlrev_b64 v[13:14], 4, v[3:4]
	v_mov_b32_e32 v4, 0
	s_lshl_b64 s[20:21], s[18:19], 6
	s_mul_hi_i32 s13, s18, 3
	s_mul_i32 s30, s18, 3
	s_lshl_b64 s[22:23], s[18:19], 1
	v_add_co_u32 v19, vcc_lo, v11, v13
	v_add_co_ci_u32_e32 v20, vcc_lo, v12, v14, vcc_lo
	v_dual_mov_b32 v12, v8 :: v_dual_mov_b32 v11, v7
	s_lshl_b64 s[24:25], s[18:19], 4
	s_mov_b32 s31, 0
                                        ; implicit-def: $sgpr33
	s_branch .LBB26_21
.LBB26_18:                              ;   in Loop: Header=BB26_21 Depth=1
	s_or_b32 exec_lo, exec_lo, s36
	s_delay_alu instid0(SALU_CYCLE_1)
	s_or_not1_b32 s3, s3, exec_lo
.LBB26_19:                              ;   in Loop: Header=BB26_21 Depth=1
	s_or_b32 exec_lo, exec_lo, s35
	s_delay_alu instid0(SALU_CYCLE_1) | instskip(SKIP_1) | instid1(SALU_CYCLE_1)
	s_and_not1_b32 s33, s33, exec_lo
	s_and_b32 s3, s3, exec_lo
	s_or_b32 s33, s33, s3
.LBB26_20:                              ;   in Loop: Header=BB26_21 Depth=1
	s_or_b32 exec_lo, exec_lo, s34
	s_delay_alu instid0(SALU_CYCLE_1) | instskip(NEXT) | instid1(SALU_CYCLE_1)
	s_and_b32 s3, exec_lo, s33
	s_or_b32 s31, s3, s31
	s_delay_alu instid0(SALU_CYCLE_1)
	s_and_not1_b32 exec_lo, exec_lo, s31
	s_cbranch_execz .LBB26_25
.LBB26_21:                              ; =>This Inner Loop Header: Depth=1
	v_add_co_u32 v15, vcc_lo, s26, v19
	v_add_co_ci_u32_e32 v16, vcc_lo, s27, v20, vcc_lo
	v_add_co_u32 v17, vcc_lo, s10, v19
	v_add_co_ci_u32_e32 v18, vcc_lo, s11, v20, vcc_lo
	s_or_b32 s33, s33, exec_lo
	global_load_b128 v[21:24], v[15:16], off
	global_load_b128 v[29:32], v[17:18], off
	s_mov_b32 s34, exec_lo
	s_waitcnt vmcnt(1) lgkmcnt(0)
	v_mul_f32_e32 v14, v28, v22
	v_mul_f32_e32 v13, v28, v21
	;; [unrolled: 1-line block ×3, first 2 shown]
	s_waitcnt vmcnt(0)
	s_delay_alu instid0(VALU_DEP_3) | instskip(NEXT) | instid1(VALU_DEP_2)
	v_dual_mul_f32 v21, v28, v23 :: v_dual_mul_f32 v24, v14, v30
	v_dual_mul_f32 v23, v13, v29 :: v_dual_mul_f32 v22, v22, v32
	s_delay_alu instid0(VALU_DEP_2) | instskip(SKIP_1) | instid1(VALU_DEP_3)
	v_mul_f32_e32 v21, v21, v31
	v_add_co_u32 v13, vcc_lo, v11, s18
	v_max3_f32 v4, v4, |v23|, |v24|
	v_add_co_ci_u32_e32 v14, vcc_lo, s19, v12, vcc_lo
	s_delay_alu instid0(VALU_DEP_2) | instskip(NEXT) | instid1(VALU_DEP_2)
	v_max3_f32 v4, v4, |v21|, |v22|
	v_cmpx_lt_i64_e64 v[13:14], v[9:10]
	s_cbranch_execz .LBB26_20
; %bb.22:                               ;   in Loop: Header=BB26_21 Depth=1
	v_add_co_u32 v15, vcc_lo, v15, s24
	v_add_co_ci_u32_e32 v16, vcc_lo, s25, v16, vcc_lo
	v_add_co_u32 v17, vcc_lo, v17, s24
	v_add_co_ci_u32_e32 v18, vcc_lo, s25, v18, vcc_lo
	s_mov_b32 s3, -1
	global_load_b128 v[21:24], v[15:16], off
	global_load_b128 v[29:32], v[17:18], off
	s_mov_b32 s35, exec_lo
	s_waitcnt vmcnt(1)
	v_mul_f32_e32 v22, v28, v22
	v_mul_f32_e32 v21, v28, v21
	;; [unrolled: 1-line block ×4, first 2 shown]
	s_waitcnt vmcnt(0)
	s_delay_alu instid0(VALU_DEP_3) | instskip(NEXT) | instid1(VALU_DEP_2)
	v_dual_mul_f32 v26, v22, v30 :: v_dual_mul_f32 v25, v21, v29
	v_dual_mul_f32 v23, v23, v31 :: v_dual_mul_f32 v24, v24, v32
	v_add_co_u32 v21, vcc_lo, s22, v11
	s_delay_alu instid0(VALU_DEP_3) | instskip(SKIP_1) | instid1(VALU_DEP_2)
	v_max3_f32 v4, v4, |v25|, |v26|
	v_add_co_ci_u32_e32 v22, vcc_lo, s23, v12, vcc_lo
	v_max3_f32 v4, v4, |v23|, |v24|
	s_delay_alu instid0(VALU_DEP_2)
	v_cmpx_lt_i64_e64 v[21:22], v[9:10]
	s_cbranch_execz .LBB26_19
; %bb.23:                               ;   in Loop: Header=BB26_21 Depth=1
	v_add_co_u32 v15, vcc_lo, v15, s24
	v_add_co_ci_u32_e32 v16, vcc_lo, s25, v16, vcc_lo
	v_add_co_u32 v17, vcc_lo, v17, s24
	v_add_co_ci_u32_e32 v18, vcc_lo, s25, v18, vcc_lo
	v_add_co_u32 v11, vcc_lo, s30, v11
	global_load_b128 v[21:24], v[15:16], off
	global_load_b128 v[29:32], v[17:18], off
	v_add_co_ci_u32_e32 v12, vcc_lo, s13, v12, vcc_lo
	s_delay_alu instid0(VALU_DEP_1)
	v_cmp_lt_i64_e32 vcc_lo, v[11:12], v[9:10]
                                        ; implicit-def: $vgpr11_vgpr12
	s_waitcnt vmcnt(1)
	v_mul_f32_e32 v22, v28, v22
	v_mul_f32_e32 v21, v28, v21
	;; [unrolled: 1-line block ×4, first 2 shown]
	s_waitcnt vmcnt(0)
	s_delay_alu instid0(VALU_DEP_3) | instskip(NEXT) | instid1(VALU_DEP_3)
	v_dual_mul_f32 v22, v22, v30 :: v_dual_mul_f32 v21, v21, v29
	v_mul_f32_e32 v23, v23, v31
	s_delay_alu instid0(VALU_DEP_2) | instskip(SKIP_1) | instid1(VALU_DEP_1)
	v_max3_f32 v4, v4, |v21|, |v22|
	v_mul_f32_e32 v21, v24, v32
	v_max3_f32 v4, v4, |v23|, |v21|
	s_and_saveexec_b32 s36, vcc_lo
	s_delay_alu instid0(SALU_CYCLE_1)
	s_xor_b32 s36, exec_lo, s36
	s_cbranch_execz .LBB26_18
; %bb.24:                               ;   in Loop: Header=BB26_21 Depth=1
	v_add_co_u32 v11, vcc_lo, v15, s24
	v_add_co_ci_u32_e32 v12, vcc_lo, s25, v16, vcc_lo
	v_add_co_u32 v21, vcc_lo, v17, s24
	v_add_co_ci_u32_e32 v22, vcc_lo, s25, v18, vcc_lo
	s_add_u32 s3, s18, s18
	global_load_b128 v[15:18], v[11:12], off
	global_load_b128 v[21:24], v[21:22], off
	s_addc_u32 s37, s19, s19
	s_add_u32 s3, s3, s18
	s_addc_u32 s37, s37, s19
	s_waitcnt vmcnt(1)
	v_mul_f32_e32 v11, v28, v15
	v_mul_f32_e32 v12, v28, v16
	;; [unrolled: 1-line block ×3, first 2 shown]
	s_waitcnt vmcnt(0)
	s_delay_alu instid0(VALU_DEP_3) | instskip(NEXT) | instid1(VALU_DEP_3)
	v_dual_mul_f32 v16, v28, v18 :: v_dual_mul_f32 v17, v11, v21
	v_mul_f32_e32 v18, v12, v22
	v_add_co_u32 v11, vcc_lo, s3, v13
	v_mul_f32_e32 v13, v15, v23
	v_add_co_ci_u32_e32 v12, vcc_lo, s37, v14, vcc_lo
	v_mul_f32_e32 v14, v16, v24
	v_max3_f32 v4, v4, |v17|, |v18|
	v_add_co_u32 v19, s3, v19, s20
	s_delay_alu instid0(VALU_DEP_4) | instskip(SKIP_1) | instid1(VALU_DEP_4)
	v_cmp_ge_i64_e32 vcc_lo, v[11:12], v[9:10]
	v_add_co_ci_u32_e64 v20, s3, s21, v20, s3
	v_max3_f32 v4, v4, |v13|, |v14|
	s_or_not1_b32 s3, vcc_lo, exec_lo
	s_branch .LBB26_18
.LBB26_25:
	s_or_b32 exec_lo, exec_lo, s31
.LBB26_26:
	s_delay_alu instid0(SALU_CYCLE_1)
	s_or_b32 exec_lo, exec_lo, s9
	s_lshr_b32 s9, s28, 5
	v_lshlrev_b32_e32 v29, 2, v0
	v_cvt_f32_u32_e32 v9, s9
	s_sub_i32 s13, 0, s9
	s_add_i32 s20, s12, s9
	s_delay_alu instid0(SALU_CYCLE_1) | instskip(NEXT) | instid1(VALU_DEP_1)
	s_add_i32 s20, s20, -1
	v_rcp_iflag_f32_e32 v9, v9
	s_abs_i32 s21, s20
	s_ashr_i32 s20, s20, 31
	ds_store_b32 v29, v4
	s_waitcnt lgkmcnt(0)
	s_barrier
	buffer_gl0_inv
	v_mul_f32_e32 v9, 0x4f7ffffe, v9
	s_delay_alu instid0(VALU_DEP_1) | instskip(NEXT) | instid1(VALU_DEP_1)
	v_cvt_u32_f32_e32 v9, v9
	v_readfirstlane_b32 s3, v9
	s_delay_alu instid0(VALU_DEP_1) | instskip(NEXT) | instid1(SALU_CYCLE_1)
	s_mul_i32 s13, s13, s3
	s_mul_hi_u32 s13, s3, s13
	s_delay_alu instid0(SALU_CYCLE_1) | instskip(NEXT) | instid1(SALU_CYCLE_1)
	s_add_i32 s3, s3, s13
	s_mul_hi_u32 s3, s21, s3
	s_delay_alu instid0(SALU_CYCLE_1) | instskip(NEXT) | instid1(SALU_CYCLE_1)
	s_mul_i32 s13, s3, s9
	s_sub_i32 s13, s21, s13
	s_add_i32 s21, s3, 1
	s_sub_i32 s22, s13, s9
	s_cmp_ge_u32 s13, s9
	s_cselect_b32 s3, s21, s3
	s_cselect_b32 s13, s22, s13
	s_add_i32 s21, s3, 1
	s_cmp_ge_u32 s13, s9
	s_cselect_b32 s3, s21, s3
	s_delay_alu instid0(SALU_CYCLE_1) | instskip(NEXT) | instid1(SALU_CYCLE_1)
	s_xor_b32 s3, s3, s20
	s_sub_i32 s20, s3, s20
	s_delay_alu instid0(SALU_CYCLE_1) | instskip(NEXT) | instid1(SALU_CYCLE_1)
	s_ashr_i32 s21, s20, 31
	v_cmp_lt_i64_e64 s3, s[20:21], 1
	s_delay_alu instid0(VALU_DEP_1)
	s_and_b32 vcc_lo, exec_lo, s3
	s_cbranch_vccnz .LBB26_46
; %bb.27:
	v_lshrrev_b32_e32 v9, 5, v0
	v_and_b32_e32 v4, 31, v0
	s_ashr_i32 s13, s12, 31
	s_mov_b64 s[22:23], 0
	s_mov_b64 s[24:25], src_shared_base
	v_mul_lo_u32 v19, s18, v9
	v_add_co_u32 v11, s3, v4, 16
	s_delay_alu instid0(VALU_DEP_1) | instskip(SKIP_1) | instid1(VALU_DEP_1)
	v_add_co_ci_u32_e64 v12, null, 0, 0, s3
	v_add_co_u32 v13, s3, v4, 8
	v_add_co_ci_u32_e64 v14, null, 0, 0, s3
	v_add_co_u32 v15, s3, v4, 4
	v_dual_mov_b32 v10, 0 :: v_dual_lshlrev_b32 v21, 2, v19
	v_lshlrev_b32_e32 v22, 2, v4
	v_add_co_ci_u32_e64 v16, null, 0, 0, s3
	v_add_co_u32 v17, s3, v4, 2
	s_delay_alu instid0(VALU_DEP_1) | instskip(SKIP_1) | instid1(VALU_DEP_1)
	v_add_co_ci_u32_e64 v18, null, 0, 0, s3
	v_add_co_u32 v19, s3, v4, 1
	v_add_co_ci_u32_e64 v20, null, 0, 0, s3
	v_add3_u32 v30, v21, v22, 0x80
	s_mul_i32 s3, s18, s9
	s_delay_alu instid0(SALU_CYCLE_1)
	s_lshl_b32 s30, s3, 2
	s_branch .LBB26_30
.LBB26_28:                              ;   in Loop: Header=BB26_30 Depth=1
	s_or_b32 exec_lo, exec_lo, s3
	v_mov_b32_e32 v22, s25
	flat_load_b32 v21, v[21:22] glc dlc
	s_waitcnt vmcnt(0)
.LBB26_29:                              ;   in Loop: Header=BB26_30 Depth=1
	s_or_b32 exec_lo, exec_lo, s24
	s_add_u32 s22, s22, 1
	v_add_nc_u32_e32 v30, s30, v30
	s_addc_u32 s23, s23, 0
	s_delay_alu instid0(SALU_CYCLE_1)
	s_cmp_eq_u64 s[22:23], s[20:21]
	s_cbranch_scc1 .LBB26_46
.LBB26_30:                              ; =>This Loop Header: Depth=1
                                        ;     Child Loop BB26_33 Depth 2
	s_waitcnt lgkmcnt(0)
	v_mad_u64_u32 v[21:22], null, s22, s9, v[9:10]
	s_mov_b32 s24, exec_lo
	s_delay_alu instid0(VALU_DEP_1) | instskip(NEXT) | instid1(VALU_DEP_1)
	v_mad_u64_u32 v[23:24], null, s23, s9, v[22:23]
	v_mov_b32_e32 v22, v23
	s_delay_alu instid0(VALU_DEP_1)
	v_cmpx_gt_i64_e64 s[12:13], v[21:22]
	s_cbranch_execz .LBB26_29
; %bb.31:                               ;   in Loop: Header=BB26_30 Depth=1
	v_mul_lo_u32 v24, v22, s18
	v_mul_lo_u32 v25, v21, s19
	v_mad_u64_u32 v[22:23], null, v21, s18, 0
	s_delay_alu instid0(VALU_DEP_1) | instskip(NEXT) | instid1(VALU_DEP_2)
	v_add3_u32 v23, v23, v25, v24
	v_add_co_u32 v24, vcc_lo, v22, s18
	v_add_co_u32 v31, s3, v22, v4
	s_delay_alu instid0(VALU_DEP_3) | instskip(SKIP_2) | instid1(VALU_DEP_2)
	v_add_co_ci_u32_e32 v25, vcc_lo, s19, v23, vcc_lo
	v_add_co_ci_u32_e64 v21, s3, 0, v23, s3
	s_mov_b32 s3, exec_lo
	v_cmp_gt_i64_e32 vcc_lo, s[14:15], v[24:25]
	v_cndmask_b32_e32 v25, s15, v25, vcc_lo
	v_cndmask_b32_e32 v24, s14, v24, vcc_lo
	v_add_co_u32 v26, vcc_lo, v31, 32
	v_add_co_ci_u32_e32 v27, vcc_lo, 0, v21, vcc_lo
	v_lshlrev_b32_e32 v21, 2, v31
	s_delay_alu instid0(VALU_DEP_2)
	v_cmpx_lt_i64_e64 v[26:27], v[24:25]
	s_cbranch_execz .LBB26_34
; %bb.32:                               ;   in Loop: Header=BB26_30 Depth=1
	ds_load_b32 v33, v21
	v_mov_b32_e32 v32, v30
	s_mov_b32 s31, 0
.LBB26_33:                              ;   Parent Loop BB26_30 Depth=1
                                        ; =>  This Inner Loop Header: Depth=2
	ds_load_b32 v34, v32
	v_add_co_u32 v26, vcc_lo, v26, 32
	v_add_co_ci_u32_e32 v27, vcc_lo, 0, v27, vcc_lo
	s_waitcnt lgkmcnt(1)
	v_dual_max_f32 v33, v33, v33 :: v_dual_add_nc_u32 v32, 0x80, v32
	s_delay_alu instid0(VALU_DEP_2) | instskip(SKIP_3) | instid1(VALU_DEP_1)
	v_cmp_ge_i64_e32 vcc_lo, v[26:27], v[24:25]
	s_or_b32 s31, vcc_lo, s31
	s_waitcnt lgkmcnt(0)
	v_max_f32_e32 v34, v34, v34
	v_max_f32_e32 v33, v33, v34
	ds_store_b32 v21, v33
	s_and_not1_b32 exec_lo, exec_lo, s31
	s_cbranch_execnz .LBB26_33
.LBB26_34:                              ;   in Loop: Header=BB26_30 Depth=1
	s_or_b32 exec_lo, exec_lo, s3
	v_sub_co_u32 v22, vcc_lo, v24, v22
	v_sub_co_ci_u32_e32 v23, vcc_lo, v25, v23, vcc_lo
	s_mov_b32 s3, exec_lo
	s_delay_alu instid0(VALU_DEP_1) | instskip(SKIP_1) | instid1(VALU_DEP_1)
	v_cmp_gt_i64_e32 vcc_lo, 32, v[22:23]
	v_dual_cndmask_b32 v24, 0, v23 :: v_dual_cndmask_b32 v23, 32, v22
	v_cmpx_lt_i64_e64 v[11:12], v[23:24]
	s_cbranch_execz .LBB26_36
; %bb.35:                               ;   in Loop: Header=BB26_30 Depth=1
	v_dual_mov_b32 v22, s25 :: v_dual_add_nc_u32 v25, 64, v21
	v_mov_b32_e32 v26, s25
	flat_load_b32 v27, v[21:22] glc dlc
	s_waitcnt vmcnt(0)
	flat_load_b32 v25, v[25:26] glc dlc
	s_waitcnt vmcnt(0) lgkmcnt(0)
	v_dual_max_f32 v26, v27, v27 :: v_dual_max_f32 v25, v25, v25
	s_delay_alu instid0(VALU_DEP_1)
	v_max_f32_e32 v25, v26, v25
	flat_store_b32 v[21:22], v25 dlc
	s_waitcnt_vscnt null, 0x0
.LBB26_36:                              ;   in Loop: Header=BB26_30 Depth=1
	s_or_b32 exec_lo, exec_lo, s3
	s_delay_alu instid0(SALU_CYCLE_1)
	s_mov_b32 s3, exec_lo
	v_cmpx_lt_i64_e64 v[13:14], v[23:24]
	s_cbranch_execz .LBB26_38
; %bb.37:                               ;   in Loop: Header=BB26_30 Depth=1
	v_dual_mov_b32 v22, s25 :: v_dual_add_nc_u32 v25, 32, v21
	v_mov_b32_e32 v26, s25
	flat_load_b32 v27, v[21:22] glc dlc
	s_waitcnt vmcnt(0)
	flat_load_b32 v25, v[25:26] glc dlc
	s_waitcnt vmcnt(0) lgkmcnt(0)
	v_dual_max_f32 v26, v27, v27 :: v_dual_max_f32 v25, v25, v25
	s_delay_alu instid0(VALU_DEP_1)
	v_max_f32_e32 v25, v26, v25
	flat_store_b32 v[21:22], v25 dlc
	s_waitcnt_vscnt null, 0x0
.LBB26_38:                              ;   in Loop: Header=BB26_30 Depth=1
	s_or_b32 exec_lo, exec_lo, s3
	s_delay_alu instid0(SALU_CYCLE_1)
	s_mov_b32 s3, exec_lo
	v_cmpx_ge_i64_e64 v[15:16], v[23:24]
	s_xor_b32 s3, exec_lo, s3
; %bb.39:                               ;   in Loop: Header=BB26_30 Depth=1
                                        ; implicit-def: $vgpr21
; %bb.40:                               ;   in Loop: Header=BB26_30 Depth=1
	s_delay_alu instid0(SALU_CYCLE_1)
	s_and_not1_saveexec_b32 s3, s3
	s_cbranch_execz .LBB26_42
; %bb.41:                               ;   in Loop: Header=BB26_30 Depth=1
	v_dual_mov_b32 v22, s25 :: v_dual_add_nc_u32 v25, 16, v21
	v_mov_b32_e32 v26, s25
	flat_load_b32 v27, v[21:22] glc dlc
	s_waitcnt vmcnt(0)
	flat_load_b32 v25, v[25:26] glc dlc
	s_waitcnt vmcnt(0) lgkmcnt(0)
	v_dual_max_f32 v26, v27, v27 :: v_dual_max_f32 v25, v25, v25
	s_delay_alu instid0(VALU_DEP_1)
	v_max_f32_e32 v25, v26, v25
	flat_store_b32 v[21:22], v25 dlc
	s_waitcnt_vscnt null, 0x0
.LBB26_42:                              ;   in Loop: Header=BB26_30 Depth=1
	s_or_b32 exec_lo, exec_lo, s3
	v_lshlrev_b32_e32 v21, 2, v31
	s_mov_b32 s3, exec_lo
	v_cmpx_lt_i64_e64 v[17:18], v[23:24]
	s_cbranch_execz .LBB26_44
; %bb.43:                               ;   in Loop: Header=BB26_30 Depth=1
	s_delay_alu instid0(VALU_DEP_2)
	v_dual_mov_b32 v22, s25 :: v_dual_add_nc_u32 v25, 8, v21
	v_mov_b32_e32 v26, s25
	flat_load_b32 v27, v[21:22] glc dlc
	s_waitcnt vmcnt(0)
	flat_load_b32 v25, v[25:26] glc dlc
	s_waitcnt vmcnt(0) lgkmcnt(0)
	v_dual_max_f32 v26, v27, v27 :: v_dual_max_f32 v25, v25, v25
	s_delay_alu instid0(VALU_DEP_1)
	v_max_f32_e32 v25, v26, v25
	flat_store_b32 v[21:22], v25 dlc
	s_waitcnt_vscnt null, 0x0
.LBB26_44:                              ;   in Loop: Header=BB26_30 Depth=1
	s_or_b32 exec_lo, exec_lo, s3
	s_delay_alu instid0(SALU_CYCLE_1)
	s_mov_b32 s3, exec_lo
	v_cmpx_lt_i64_e64 v[19:20], v[23:24]
	s_cbranch_execz .LBB26_28
; %bb.45:                               ;   in Loop: Header=BB26_30 Depth=1
	v_dual_mov_b32 v22, s25 :: v_dual_add_nc_u32 v23, 4, v21
	v_mov_b32_e32 v24, s25
	flat_load_b32 v25, v[21:22] glc dlc
	s_waitcnt vmcnt(0)
	flat_load_b32 v23, v[23:24] glc dlc
	s_waitcnt vmcnt(0) lgkmcnt(0)
	v_dual_max_f32 v24, v25, v25 :: v_dual_max_f32 v23, v23, v23
	s_delay_alu instid0(VALU_DEP_1)
	v_max_f32_e32 v23, v24, v23
	flat_store_b32 v[21:22], v23 dlc
	s_waitcnt_vscnt null, 0x0
	s_branch .LBB26_28
.LBB26_46:
	s_load_b64 s[12:13], s[0:1], 0x40
	v_cmp_lt_i64_e32 vcc_lo, v[7:8], v[5:6]
	v_cmp_eq_u32_e64 s3, 0, v3
	s_waitcnt lgkmcnt(0)
	s_barrier
	buffer_gl0_inv
	s_and_b32 s9, s3, vcc_lo
	s_delay_alu instid0(SALU_CYCLE_1)
	s_and_saveexec_b32 s3, s9
	s_cbranch_execz .LBB26_53
; %bb.47:
	s_load_b64 s[0:1], s[0:1], 0x20
	ds_load_b32 v5, v29
	s_waitcnt lgkmcnt(0)
	s_cmp_eq_u64 s[0:1], 0
	s_cbranch_scc1 .LBB26_49
; %bb.48:
	s_load_b32 s0, s[0:1], 0x0
	v_max_f32_e32 v3, v5, v5
	s_waitcnt lgkmcnt(0)
	v_max_f32_e64 v4, s0, s0
	s_delay_alu instid0(VALU_DEP_1)
	v_min_f32_e32 v5, v3, v4
.LBB26_49:
	s_add_u32 s0, s12, s29
	s_addc_u32 s1, s13, 0
	s_add_u32 s18, s0, -1
	s_addc_u32 s19, s1, -1
	s_delay_alu instid0(SALU_CYCLE_1) | instskip(SKIP_1) | instid1(SALU_CYCLE_1)
	s_or_b64 s[20:21], s[18:19], s[12:13]
	s_mov_b32 s20, 0
	s_cmp_lg_u64 s[20:21], 0
	s_cbranch_scc0 .LBB26_66
; %bb.50:
	s_ashr_i32 s0, s13, 31
	s_delay_alu instid0(SALU_CYCLE_1) | instskip(SKIP_2) | instid1(SALU_CYCLE_1)
	s_add_u32 s22, s12, s0
	s_mov_b32 s1, s0
	s_addc_u32 s23, s13, s0
	s_xor_b64 s[0:1], s[22:23], s[0:1]
	s_delay_alu instid0(SALU_CYCLE_1) | instskip(SKIP_3) | instid1(VALU_DEP_1)
	v_cvt_f32_u32_e32 v3, s0
	v_cvt_f32_u32_e32 v4, s1
	s_sub_u32 s22, 0, s0
	s_subb_u32 s23, 0, s1
	v_fmamk_f32 v3, v4, 0x4f800000, v3
	s_delay_alu instid0(VALU_DEP_1) | instskip(SKIP_2) | instid1(VALU_DEP_1)
	v_rcp_f32_e32 v3, v3
	s_waitcnt_depctr 0xfff
	v_mul_f32_e32 v3, 0x5f7ffffc, v3
	v_mul_f32_e32 v4, 0x2f800000, v3
	s_delay_alu instid0(VALU_DEP_1) | instskip(NEXT) | instid1(VALU_DEP_1)
	v_trunc_f32_e32 v4, v4
	v_fmamk_f32 v3, v4, 0xcf800000, v3
	v_cvt_u32_f32_e32 v4, v4
	s_delay_alu instid0(VALU_DEP_2) | instskip(NEXT) | instid1(VALU_DEP_2)
	v_cvt_u32_f32_e32 v3, v3
	v_readfirstlane_b32 s9, v4
	s_delay_alu instid0(VALU_DEP_2) | instskip(NEXT) | instid1(VALU_DEP_2)
	v_readfirstlane_b32 s21, v3
	s_mul_i32 s24, s22, s9
	s_delay_alu instid0(VALU_DEP_1)
	s_mul_hi_u32 s30, s22, s21
	s_mul_i32 s25, s23, s21
	s_add_i32 s24, s30, s24
	s_mul_i32 s31, s22, s21
	s_add_i32 s24, s24, s25
	s_mul_hi_u32 s30, s21, s31
	s_mul_hi_u32 s33, s9, s31
	s_mul_i32 s25, s9, s31
	s_mul_hi_u32 s31, s21, s24
	s_mul_i32 s21, s21, s24
	s_mul_hi_u32 s34, s9, s24
	s_add_u32 s21, s30, s21
	s_addc_u32 s30, 0, s31
	s_add_u32 s21, s21, s25
	s_mul_i32 s24, s9, s24
	s_addc_u32 s21, s30, s33
	s_addc_u32 s25, s34, 0
	s_add_u32 s21, s21, s24
	s_addc_u32 s24, 0, s25
	v_add_co_u32 v3, s21, v3, s21
	s_delay_alu instid0(VALU_DEP_1) | instskip(SKIP_1) | instid1(VALU_DEP_1)
	s_cmp_lg_u32 s21, 0
	s_addc_u32 s9, s9, s24
	v_readfirstlane_b32 s21, v3
	s_mul_i32 s24, s22, s9
	s_delay_alu instid0(VALU_DEP_1)
	s_mul_hi_u32 s25, s22, s21
	s_mul_i32 s23, s23, s21
	s_add_i32 s24, s25, s24
	s_mul_i32 s22, s22, s21
	s_add_i32 s24, s24, s23
	s_mul_hi_u32 s25, s9, s22
	s_mul_i32 s30, s9, s22
	s_mul_hi_u32 s22, s21, s22
	s_mul_hi_u32 s31, s21, s24
	s_mul_i32 s21, s21, s24
	s_mul_hi_u32 s23, s9, s24
	s_add_u32 s21, s22, s21
	s_addc_u32 s22, 0, s31
	s_add_u32 s21, s21, s30
	s_mul_i32 s24, s9, s24
	s_addc_u32 s21, s22, s25
	s_addc_u32 s22, s23, 0
	s_add_u32 s21, s21, s24
	s_addc_u32 s22, 0, s22
	v_add_co_u32 v3, s21, v3, s21
	s_delay_alu instid0(VALU_DEP_1) | instskip(SKIP_2) | instid1(VALU_DEP_1)
	s_cmp_lg_u32 s21, 0
	s_addc_u32 s9, s9, s22
	s_ashr_i32 s22, s19, 31
	v_readfirstlane_b32 s21, v3
	s_add_u32 s24, s18, s22
	s_mov_b32 s23, s22
	s_addc_u32 s25, s19, s22
	s_delay_alu instid0(SALU_CYCLE_1) | instskip(NEXT) | instid1(SALU_CYCLE_1)
	s_xor_b64 s[24:25], s[24:25], s[22:23]
	s_mul_i32 s30, s24, s9
	s_mul_hi_u32 s31, s24, s21
	s_mul_hi_u32 s23, s24, s9
	s_mul_hi_u32 s34, s25, s21
	s_mul_i32 s21, s25, s21
	s_add_u32 s30, s31, s30
	s_addc_u32 s23, 0, s23
	s_mul_hi_u32 s33, s25, s9
	s_add_u32 s21, s30, s21
	s_mul_i32 s9, s25, s9
	s_addc_u32 s21, s23, s34
	s_addc_u32 s23, s33, 0
	s_add_u32 s9, s21, s9
	s_addc_u32 s21, 0, s23
	s_mul_hi_u32 s23, s0, s9
	s_mul_i32 s21, s0, s21
	s_mul_i32 s30, s1, s9
	;; [unrolled: 1-line block ×3, first 2 shown]
	s_add_i32 s21, s23, s21
	v_sub_co_u32 v3, s9, s24, s9
	s_add_i32 s21, s21, s30
	s_delay_alu instid0(SALU_CYCLE_1) | instskip(SKIP_1) | instid1(VALU_DEP_1)
	s_sub_i32 s23, s25, s21
	s_cmp_lg_u32 s9, 0
	v_sub_co_u32 v4, s24, v3, s0
	s_subb_u32 s23, s23, s1
	s_cmp_lg_u32 s24, 0
	s_subb_u32 s30, s23, 0
	s_delay_alu instid0(VALU_DEP_1)
	v_cmp_le_u32_e32 vcc_lo, s0, v4
	s_cmp_ge_u32 s30, s1
	s_cselect_b32 s31, -1, 0
	s_cmp_eq_u32 s30, s1
	v_cndmask_b32_e64 v6, 0, -1, vcc_lo
	s_cselect_b32 vcc_lo, -1, 0
	s_cmp_lg_u32 s24, 0
	v_sub_co_u32 v7, s24, v4, s0
	s_subb_u32 s23, s23, s1
	s_cmp_lg_u32 s24, 0
	v_cndmask_b32_e32 v6, s31, v6, vcc_lo
	s_subb_u32 s23, s23, 0
	s_cmp_lg_u32 s9, 0
	v_cmp_le_u32_e32 vcc_lo, s0, v3
	s_subb_u32 s9, s25, s21
	s_delay_alu instid0(SALU_CYCLE_1)
	s_cmp_ge_u32 s9, s1
	v_cndmask_b32_e64 v8, 0, -1, vcc_lo
	s_cselect_b32 s21, -1, 0
	s_cmp_eq_u32 s9, s1
	v_cmp_ne_u32_e32 vcc_lo, 0, v6
	v_mov_b32_e32 v6, s23
	s_cselect_b32 s0, -1, 0
	s_delay_alu instid0(SALU_CYCLE_1) | instskip(SKIP_1) | instid1(VALU_DEP_3)
	v_cndmask_b32_e64 v8, s21, v8, s0
	v_cndmask_b32_e32 v4, v4, v7, vcc_lo
	v_cndmask_b32_e32 v6, s30, v6, vcc_lo
	s_delay_alu instid0(VALU_DEP_3) | instskip(NEXT) | instid1(VALU_DEP_3)
	v_cmp_ne_u32_e32 vcc_lo, 0, v8
	v_cndmask_b32_e32 v3, v3, v4, vcc_lo
	s_delay_alu instid0(VALU_DEP_3) | instskip(NEXT) | instid1(VALU_DEP_2)
	v_cndmask_b32_e32 v6, s9, v6, vcc_lo
	v_xor_b32_e32 v3, s22, v3
	s_delay_alu instid0(VALU_DEP_2) | instskip(NEXT) | instid1(VALU_DEP_2)
	v_xor_b32_e32 v4, s22, v6
	v_sub_co_u32 v3, vcc_lo, v3, s22
	s_delay_alu instid0(VALU_DEP_2)
	v_subrev_co_ci_u32_e32 v4, vcc_lo, s22, v4, vcc_lo
	s_and_not1_b32 vcc_lo, exec_lo, s20
	s_cbranch_vccnz .LBB26_52
.LBB26_51:
	v_cvt_f32_u32_e32 v3, s12
	s_sub_i32 s0, 0, s12
	s_delay_alu instid0(VALU_DEP_1) | instskip(SKIP_2) | instid1(VALU_DEP_1)
	v_rcp_iflag_f32_e32 v3, v3
	s_waitcnt_depctr 0xfff
	v_mul_f32_e32 v3, 0x4f7ffffe, v3
	v_cvt_u32_f32_e32 v3, v3
	s_delay_alu instid0(VALU_DEP_1) | instskip(NEXT) | instid1(VALU_DEP_1)
	v_mul_lo_u32 v4, s0, v3
	v_mul_hi_u32 v4, v3, v4
	s_delay_alu instid0(VALU_DEP_1) | instskip(NEXT) | instid1(VALU_DEP_1)
	v_add_nc_u32_e32 v3, v3, v4
	v_mul_hi_u32 v3, s18, v3
	s_delay_alu instid0(VALU_DEP_1) | instskip(NEXT) | instid1(VALU_DEP_1)
	v_mul_lo_u32 v3, v3, s12
	v_sub_nc_u32_e32 v3, s18, v3
	s_delay_alu instid0(VALU_DEP_1) | instskip(SKIP_1) | instid1(VALU_DEP_2)
	v_subrev_nc_u32_e32 v4, s12, v3
	v_cmp_le_u32_e32 vcc_lo, s12, v3
	v_cndmask_b32_e32 v3, v3, v4, vcc_lo
	s_delay_alu instid0(VALU_DEP_1) | instskip(SKIP_1) | instid1(VALU_DEP_2)
	v_subrev_nc_u32_e32 v4, s12, v3
	v_cmp_le_u32_e32 vcc_lo, s12, v3
	v_dual_cndmask_b32 v3, v3, v4 :: v_dual_mov_b32 v4, 0
.LBB26_52:
	v_div_scale_f32 v6, null, 0x42fe0000, 0x42fe0000, v5
	v_div_scale_f32 v9, vcc_lo, v5, 0x42fe0000, v5
	s_delay_alu instid0(VALU_DEP_3) | instskip(NEXT) | instid1(VALU_DEP_3)
	v_sub_co_u32 v10, s0, s18, v3
	v_rcp_f32_e32 v7, v6
	v_sub_co_ci_u32_e64 v3, s0, s19, v4, s0
	s_lshl_b64 s[0:1], s[16:17], 2
	s_delay_alu instid0(SALU_CYCLE_1) | instskip(NEXT) | instid1(VALU_DEP_1)
	s_add_u32 s0, s0, s6
	v_mul_lo_u32 v11, v3, v1
	s_addc_u32 s1, s1, s7
	s_waitcnt_depctr 0xfff
	v_fma_f32 v8, -v6, v7, 1.0
	s_delay_alu instid0(VALU_DEP_1) | instskip(NEXT) | instid1(VALU_DEP_1)
	v_fmac_f32_e32 v7, v8, v7
	v_mul_f32_e32 v8, v9, v7
	s_delay_alu instid0(VALU_DEP_1) | instskip(NEXT) | instid1(VALU_DEP_1)
	v_fma_f32 v4, -v6, v8, v9
	v_fmac_f32_e32 v8, v4, v7
	v_mul_lo_u32 v4, v10, v2
	v_mad_u64_u32 v[2:3], null, v10, v1, 0
	s_delay_alu instid0(VALU_DEP_3) | instskip(NEXT) | instid1(VALU_DEP_2)
	v_fma_f32 v1, -v6, v8, v9
	v_add3_u32 v3, v3, v4, v11
	s_delay_alu instid0(VALU_DEP_2) | instskip(NEXT) | instid1(VALU_DEP_1)
	v_div_fmas_f32 v1, v1, v7, v8
	v_div_fixup_f32 v4, v1, 0x42fe0000, v5
	s_delay_alu instid0(VALU_DEP_3) | instskip(NEXT) | instid1(VALU_DEP_2)
	v_lshlrev_b64 v[1:2], 2, v[2:3]
	v_max_f32_e32 v3, 0x34000000, v4
	s_delay_alu instid0(VALU_DEP_2) | instskip(NEXT) | instid1(VALU_DEP_3)
	v_add_co_u32 v1, vcc_lo, s0, v1
	v_add_co_ci_u32_e32 v2, vcc_lo, s1, v2, vcc_lo
	global_store_b32 v[1:2], v3, off
.LBB26_53:
	s_or_b32 exec_lo, exec_lo, s3
	s_waitcnt_vscnt null, 0x0
	s_barrier
	buffer_gl0_inv
	s_and_saveexec_b32 s0, s2
	s_cbranch_execz .LBB26_65
; %bb.54:
	s_add_u32 s0, s12, s29
	s_addc_u32 s1, s13, 0
	s_add_u32 s2, s0, -1
	s_addc_u32 s3, s1, -1
	s_delay_alu instid0(SALU_CYCLE_1) | instskip(SKIP_1) | instid1(SALU_CYCLE_1)
	s_or_b64 s[18:19], s[2:3], s[12:13]
	s_mov_b32 s18, 0
	s_cmp_lg_u64 s[18:19], 0
	s_cbranch_scc0 .LBB26_67
; %bb.55:
	s_ashr_i32 s0, s13, 31
	s_delay_alu instid0(SALU_CYCLE_1) | instskip(SKIP_2) | instid1(SALU_CYCLE_1)
	s_add_u32 s20, s12, s0
	s_mov_b32 s1, s0
	s_addc_u32 s21, s13, s0
	s_xor_b64 s[0:1], s[20:21], s[0:1]
	s_delay_alu instid0(SALU_CYCLE_1) | instskip(SKIP_3) | instid1(VALU_DEP_1)
	v_cvt_f32_u32_e32 v1, s0
	v_cvt_f32_u32_e32 v2, s1
	s_sub_u32 s19, 0, s0
	s_subb_u32 s20, 0, s1
	v_fmamk_f32 v1, v2, 0x4f800000, v1
	s_delay_alu instid0(VALU_DEP_1) | instskip(SKIP_2) | instid1(VALU_DEP_1)
	v_rcp_f32_e32 v1, v1
	s_waitcnt_depctr 0xfff
	v_mul_f32_e32 v1, 0x5f7ffffc, v1
	v_mul_f32_e32 v2, 0x2f800000, v1
	s_delay_alu instid0(VALU_DEP_1) | instskip(NEXT) | instid1(VALU_DEP_1)
	v_trunc_f32_e32 v2, v2
	v_fmamk_f32 v1, v2, 0xcf800000, v1
	v_cvt_u32_f32_e32 v2, v2
	s_delay_alu instid0(VALU_DEP_2) | instskip(NEXT) | instid1(VALU_DEP_2)
	v_cvt_u32_f32_e32 v1, v1
	v_readfirstlane_b32 s9, v2
	s_delay_alu instid0(VALU_DEP_2) | instskip(NEXT) | instid1(VALU_DEP_2)
	v_readfirstlane_b32 s13, v1
	s_mul_i32 s21, s19, s9
	s_delay_alu instid0(VALU_DEP_1)
	s_mul_hi_u32 s23, s19, s13
	s_mul_i32 s22, s20, s13
	s_add_i32 s21, s23, s21
	s_mul_i32 s24, s19, s13
	s_add_i32 s21, s21, s22
	s_mul_hi_u32 s23, s13, s24
	s_mul_hi_u32 s25, s9, s24
	s_mul_i32 s22, s9, s24
	s_mul_hi_u32 s24, s13, s21
	s_mul_i32 s13, s13, s21
	s_mul_hi_u32 s29, s9, s21
	s_add_u32 s13, s23, s13
	s_addc_u32 s23, 0, s24
	s_add_u32 s13, s13, s22
	s_mul_i32 s21, s9, s21
	s_addc_u32 s13, s23, s25
	s_addc_u32 s22, s29, 0
	s_add_u32 s13, s13, s21
	s_addc_u32 s21, 0, s22
	v_add_co_u32 v1, s13, v1, s13
	s_delay_alu instid0(VALU_DEP_1) | instskip(SKIP_1) | instid1(VALU_DEP_1)
	s_cmp_lg_u32 s13, 0
	s_addc_u32 s9, s9, s21
	v_readfirstlane_b32 s13, v1
	s_mul_i32 s21, s19, s9
	s_delay_alu instid0(VALU_DEP_1)
	s_mul_hi_u32 s22, s19, s13
	s_mul_i32 s20, s20, s13
	s_add_i32 s21, s22, s21
	s_mul_i32 s19, s19, s13
	s_add_i32 s21, s21, s20
	s_mul_hi_u32 s22, s9, s19
	s_mul_i32 s23, s9, s19
	s_mul_hi_u32 s19, s13, s19
	s_mul_hi_u32 s24, s13, s21
	s_mul_i32 s13, s13, s21
	s_mul_hi_u32 s20, s9, s21
	s_add_u32 s13, s19, s13
	s_addc_u32 s19, 0, s24
	s_add_u32 s13, s13, s23
	s_mul_i32 s21, s9, s21
	s_addc_u32 s13, s19, s22
	s_addc_u32 s19, s20, 0
	s_add_u32 s13, s13, s21
	s_addc_u32 s19, 0, s19
	v_add_co_u32 v1, s13, v1, s13
	s_delay_alu instid0(VALU_DEP_1) | instskip(SKIP_2) | instid1(VALU_DEP_1)
	s_cmp_lg_u32 s13, 0
	s_addc_u32 s9, s9, s19
	s_ashr_i32 s20, s3, 31
	v_readfirstlane_b32 s13, v1
	s_add_u32 s22, s2, s20
	s_mov_b32 s21, s20
	s_addc_u32 s23, s3, s20
	s_delay_alu instid0(SALU_CYCLE_1) | instskip(NEXT) | instid1(SALU_CYCLE_1)
	s_xor_b64 s[22:23], s[22:23], s[20:21]
	s_mul_i32 s21, s22, s9
	s_mul_hi_u32 s24, s22, s13
	s_mul_hi_u32 s19, s22, s9
	;; [unrolled: 1-line block ×3, first 2 shown]
	s_mul_i32 s13, s23, s13
	s_add_u32 s21, s24, s21
	s_addc_u32 s19, 0, s19
	s_mul_hi_u32 s25, s23, s9
	s_add_u32 s13, s21, s13
	s_mul_i32 s9, s23, s9
	s_addc_u32 s13, s19, s29
	s_addc_u32 s19, s25, 0
	s_add_u32 s9, s13, s9
	s_addc_u32 s13, 0, s19
	s_mul_hi_u32 s19, s0, s9
	s_mul_i32 s13, s0, s13
	s_mul_i32 s21, s1, s9
	;; [unrolled: 1-line block ×3, first 2 shown]
	s_add_i32 s13, s19, s13
	v_sub_co_u32 v1, s9, s22, s9
	s_add_i32 s13, s13, s21
	s_delay_alu instid0(SALU_CYCLE_1) | instskip(SKIP_1) | instid1(VALU_DEP_1)
	s_sub_i32 s19, s23, s13
	s_cmp_lg_u32 s9, 0
	v_sub_co_u32 v2, s21, v1, s0
	s_subb_u32 s19, s19, s1
	s_cmp_lg_u32 s21, 0
	s_subb_u32 s22, s19, 0
	s_delay_alu instid0(VALU_DEP_1)
	v_cmp_le_u32_e32 vcc_lo, s0, v2
	s_cmp_ge_u32 s22, s1
	s_cselect_b32 s24, -1, 0
	s_cmp_eq_u32 s22, s1
	v_cndmask_b32_e64 v3, 0, -1, vcc_lo
	s_cselect_b32 vcc_lo, -1, 0
	s_cmp_lg_u32 s21, 0
	v_sub_co_u32 v4, s21, v2, s0
	s_subb_u32 s19, s19, s1
	s_cmp_lg_u32 s21, 0
	v_cndmask_b32_e32 v3, s24, v3, vcc_lo
	s_subb_u32 s19, s19, 0
	s_cmp_lg_u32 s9, 0
	v_cmp_le_u32_e32 vcc_lo, s0, v1
	s_subb_u32 s9, s23, s13
	s_delay_alu instid0(SALU_CYCLE_1)
	s_cmp_ge_u32 s9, s1
	v_cndmask_b32_e64 v5, 0, -1, vcc_lo
	s_cselect_b32 s13, -1, 0
	s_cmp_eq_u32 s9, s1
	v_cmp_ne_u32_e32 vcc_lo, 0, v3
	v_mov_b32_e32 v3, s19
	s_cselect_b32 s0, -1, 0
	s_delay_alu instid0(SALU_CYCLE_1) | instskip(SKIP_1) | instid1(VALU_DEP_3)
	v_cndmask_b32_e64 v5, s13, v5, s0
	v_cndmask_b32_e32 v2, v2, v4, vcc_lo
	v_cndmask_b32_e32 v3, s22, v3, vcc_lo
	s_delay_alu instid0(VALU_DEP_3) | instskip(NEXT) | instid1(VALU_DEP_3)
	v_cmp_ne_u32_e32 vcc_lo, 0, v5
	v_cndmask_b32_e32 v1, v1, v2, vcc_lo
	s_delay_alu instid0(VALU_DEP_3) | instskip(NEXT) | instid1(VALU_DEP_2)
	v_cndmask_b32_e32 v3, s9, v3, vcc_lo
	v_xor_b32_e32 v1, s20, v1
	s_delay_alu instid0(VALU_DEP_2) | instskip(NEXT) | instid1(VALU_DEP_2)
	v_xor_b32_e32 v2, s20, v3
	v_sub_co_u32 v1, vcc_lo, v1, s20
	s_delay_alu instid0(VALU_DEP_2)
	v_subrev_co_ci_u32_e32 v2, vcc_lo, s20, v2, vcc_lo
	s_and_not1_b32 vcc_lo, exec_lo, s18
	s_cbranch_vccnz .LBB26_57
.LBB26_56:
	v_cvt_f32_u32_e32 v1, s12
	s_sub_i32 s0, 0, s12
	s_delay_alu instid0(VALU_DEP_1) | instskip(SKIP_2) | instid1(VALU_DEP_1)
	v_rcp_iflag_f32_e32 v1, v1
	s_waitcnt_depctr 0xfff
	v_mul_f32_e32 v1, 0x4f7ffffe, v1
	v_cvt_u32_f32_e32 v1, v1
	s_delay_alu instid0(VALU_DEP_1) | instskip(NEXT) | instid1(VALU_DEP_1)
	v_mul_lo_u32 v2, s0, v1
	v_mul_hi_u32 v2, v1, v2
	s_delay_alu instid0(VALU_DEP_1) | instskip(NEXT) | instid1(VALU_DEP_1)
	v_add_nc_u32_e32 v1, v1, v2
	v_mul_hi_u32 v1, s2, v1
	s_delay_alu instid0(VALU_DEP_1) | instskip(NEXT) | instid1(VALU_DEP_1)
	v_mul_lo_u32 v1, v1, s12
	v_sub_nc_u32_e32 v1, s2, v1
	s_delay_alu instid0(VALU_DEP_1) | instskip(SKIP_1) | instid1(VALU_DEP_2)
	v_subrev_nc_u32_e32 v2, s12, v1
	v_cmp_le_u32_e32 vcc_lo, s12, v1
	v_cndmask_b32_e32 v1, v1, v2, vcc_lo
	s_delay_alu instid0(VALU_DEP_1) | instskip(SKIP_1) | instid1(VALU_DEP_2)
	v_subrev_nc_u32_e32 v2, s12, v1
	v_cmp_le_u32_e32 vcc_lo, s12, v1
	v_dual_cndmask_b32 v1, v1, v2 :: v_dual_mov_b32 v2, 0
.LBB26_57:
	s_mul_i32 s0, s15, s16
	s_mul_hi_u32 s1, s14, s16
	s_mul_i32 s9, s14, s16
	s_add_i32 s1, s1, s0
	v_sub_co_u32 v5, vcc_lo, s2, v1
	s_add_u32 s0, s4, s9
	s_addc_u32 s1, s5, s1
	s_lshl_b64 s[4:5], s[16:17], 2
	v_sub_co_ci_u32_e32 v6, vcc_lo, s3, v2, vcc_lo
	v_mov_b32_e32 v1, 0
	s_add_u32 s4, s6, s4
	s_addc_u32 s5, s7, s5
	s_mul_i32 s2, s28, 3
	s_lshl_b32 s3, s28, 1
	s_mov_b32 s6, 0
	s_add_i32 s7, s28, s28
                                        ; implicit-def: $sgpr9
	s_branch .LBB26_61
.LBB26_58:                              ;   in Loop: Header=BB26_61 Depth=1
	s_or_b32 exec_lo, exec_lo, s14
	s_delay_alu instid0(SALU_CYCLE_1)
	s_or_not1_b32 s14, s15, exec_lo
.LBB26_59:                              ;   in Loop: Header=BB26_61 Depth=1
	s_or_b32 exec_lo, exec_lo, s13
	s_delay_alu instid0(SALU_CYCLE_1) | instskip(SKIP_1) | instid1(SALU_CYCLE_1)
	s_and_not1_b32 s9, s9, exec_lo
	s_and_b32 s13, s14, exec_lo
	s_or_b32 s9, s9, s13
.LBB26_60:                              ;   in Loop: Header=BB26_61 Depth=1
	s_or_b32 exec_lo, exec_lo, s12
	s_delay_alu instid0(SALU_CYCLE_1) | instskip(NEXT) | instid1(SALU_CYCLE_1)
	s_and_b32 s12, exec_lo, s9
	s_or_b32 s6, s12, s6
	s_delay_alu instid0(SALU_CYCLE_1)
	s_and_not1_b32 exec_lo, exec_lo, s6
	s_cbranch_execz .LBB26_65
.LBB26_61:                              ; =>This Inner Loop Header: Depth=1
	v_bfe_u32 v4, v0, 5, 25
	s_or_b32 s9, s9, exec_lo
	s_mov_b32 s12, exec_lo
	s_delay_alu instid0(VALU_DEP_1) | instskip(NEXT) | instid1(VALU_DEP_1)
	v_mad_u64_u32 v[2:3], null, v5, v4, 0
	v_mad_u64_u32 v[7:8], null, v6, v4, v[3:4]
	s_delay_alu instid0(VALU_DEP_1) | instskip(NEXT) | instid1(VALU_DEP_1)
	v_mov_b32_e32 v3, v7
	v_lshlrev_b64 v[2:3], 2, v[2:3]
	s_delay_alu instid0(VALU_DEP_1) | instskip(NEXT) | instid1(VALU_DEP_2)
	v_add_co_u32 v2, vcc_lo, s4, v2
	v_add_co_ci_u32_e32 v3, vcc_lo, s5, v3, vcc_lo
	global_load_b32 v4, v[2:3], off
	v_lshlrev_b64 v[2:3], 4, v[0:1]
	s_delay_alu instid0(VALU_DEP_1) | instskip(NEXT) | instid1(VALU_DEP_2)
	v_add_co_u32 v7, vcc_lo, s26, v2
	v_add_co_ci_u32_e32 v8, vcc_lo, s27, v3, vcc_lo
	v_add_co_u32 v2, vcc_lo, s10, v2
	v_add_co_ci_u32_e32 v3, vcc_lo, s11, v3, vcc_lo
	global_load_b128 v[7:10], v[7:8], off
	global_load_b128 v[11:14], v[2:3], off
	s_waitcnt vmcnt(2)
	v_div_scale_f32 v2, null, v4, v4, 1.0
	v_div_scale_f32 v16, vcc_lo, 1.0, v4, 1.0
	s_delay_alu instid0(VALU_DEP_2)
	v_rcp_f32_e32 v3, v2
	s_waitcnt vmcnt(1)
	v_mul_f32_e32 v9, v28, v9
	s_waitcnt_depctr 0xfff
	v_fma_f32 v15, -v2, v3, 1.0
	s_waitcnt vmcnt(0)
	v_mul_f32_e32 v9, v9, v13
	s_delay_alu instid0(VALU_DEP_2) | instskip(NEXT) | instid1(VALU_DEP_1)
	v_fmac_f32_e32 v3, v15, v3
	v_mul_f32_e32 v15, v16, v3
	s_delay_alu instid0(VALU_DEP_1) | instskip(NEXT) | instid1(VALU_DEP_1)
	v_fma_f32 v17, -v2, v15, v16
	v_fmac_f32_e32 v15, v17, v3
	s_delay_alu instid0(VALU_DEP_1) | instskip(NEXT) | instid1(VALU_DEP_1)
	v_fma_f32 v2, -v2, v15, v16
	v_div_fmas_f32 v2, v2, v3, v15
	v_mul_f32_e32 v3, v28, v7
	v_mul_f32_e32 v7, v28, v8
	v_mul_f32_e32 v8, v28, v10
	s_delay_alu instid0(VALU_DEP_4) | instskip(NEXT) | instid1(VALU_DEP_4)
	v_div_fixup_f32 v2, v2, v4, 1.0
	v_mul_f32_e32 v3, v3, v11
	s_delay_alu instid0(VALU_DEP_3) | instskip(NEXT) | instid1(VALU_DEP_3)
	v_dual_mul_f32 v4, v7, v12 :: v_dual_mul_f32 v7, v8, v14
	v_mul_f32_e32 v8, v9, v2
	s_delay_alu instid0(VALU_DEP_3) | instskip(NEXT) | instid1(VALU_DEP_3)
	v_mul_f32_e32 v3, v3, v2
	v_mul_f32_e32 v4, v4, v2
	s_delay_alu instid0(VALU_DEP_4) | instskip(NEXT) | instid1(VALU_DEP_4)
	v_mul_f32_e32 v2, v7, v2
	v_rndne_f32_e32 v7, v8
	s_delay_alu instid0(VALU_DEP_4) | instskip(NEXT) | instid1(VALU_DEP_4)
	v_rndne_f32_e32 v3, v3
	v_rndne_f32_e32 v4, v4
	s_delay_alu instid0(VALU_DEP_4) | instskip(NEXT) | instid1(VALU_DEP_4)
	v_rndne_f32_e32 v2, v2
	v_cmp_nlt_f32_e32 vcc_lo, 0x42fe0000, v7
	v_cndmask_b32_e32 v8, 0x42fe0000, v7, vcc_lo
	v_cmp_nlt_f32_e32 vcc_lo, 0x42fe0000, v3
	v_cndmask_b32_e32 v9, 0x42fe0000, v3, vcc_lo
	;; [unrolled: 2-line block ×3, first 2 shown]
	v_cmp_ngt_f32_e32 vcc_lo, 0xc3000000, v7
	v_cndmask_b32_e32 v7, 0xc3000000, v8, vcc_lo
	v_cmp_nlt_f32_e32 vcc_lo, 0x42fe0000, v2
	s_delay_alu instid0(VALU_DEP_2) | instskip(SKIP_2) | instid1(VALU_DEP_3)
	v_cvt_i32_f32_e32 v7, v7
	v_cndmask_b32_e32 v8, 0x42fe0000, v2, vcc_lo
	v_cmp_ngt_f32_e32 vcc_lo, 0xc3000000, v4
	v_and_b32_e32 v7, 0xff, v7
	v_cndmask_b32_e32 v4, 0xc3000000, v10, vcc_lo
	v_cmp_ngt_f32_e32 vcc_lo, 0xc3000000, v3
	s_delay_alu instid0(VALU_DEP_3) | instskip(NEXT) | instid1(VALU_DEP_3)
	v_lshlrev_b32_e32 v7, 16, v7
	v_cvt_i32_f32_e32 v4, v4
	v_cndmask_b32_e32 v3, 0xc3000000, v9, vcc_lo
	v_cmp_ngt_f32_e32 vcc_lo, 0xc3000000, v2
	s_delay_alu instid0(VALU_DEP_3) | instskip(SKIP_1) | instid1(VALU_DEP_4)
	v_and_b32_e32 v9, 0xff, v4
	v_cndmask_b32_e32 v2, 0xc3000000, v8, vcc_lo
	v_cvt_i32_f32_e32 v8, v3
	v_lshlrev_b64 v[3:4], 2, v[0:1]
	s_delay_alu instid0(VALU_DEP_4) | instskip(NEXT) | instid1(VALU_DEP_4)
	v_lshlrev_b32_e32 v9, 8, v9
	v_cvt_i32_f32_e32 v2, v2
	s_delay_alu instid0(VALU_DEP_4) | instskip(NEXT) | instid1(VALU_DEP_4)
	v_and_b32_e32 v8, 0xff, v8
	v_add_co_u32 v3, vcc_lo, s0, v3
	s_delay_alu instid0(VALU_DEP_3) | instskip(SKIP_2) | instid1(VALU_DEP_3)
	v_lshl_or_b32 v7, v2, 24, v7
	v_add_nc_u32_e32 v2, s28, v0
	v_add_co_ci_u32_e32 v4, vcc_lo, s1, v4, vcc_lo
	v_or3_b32 v7, v7, v9, v8
	global_store_b32 v[3:4], v7, off
	v_cmpx_gt_u32_e64 s8, v2
	s_cbranch_execz .LBB26_60
; %bb.62:                               ;   in Loop: Header=BB26_61 Depth=1
	v_bfe_u32 v9, v2, 5, 25
	s_mov_b32 s14, -1
	s_mov_b32 s13, exec_lo
	s_delay_alu instid0(VALU_DEP_1) | instskip(NEXT) | instid1(VALU_DEP_1)
	v_mad_u64_u32 v[3:4], null, v5, v9, 0
	v_mad_u64_u32 v[7:8], null, v6, v9, v[4:5]
	s_delay_alu instid0(VALU_DEP_1) | instskip(NEXT) | instid1(VALU_DEP_1)
	v_mov_b32_e32 v4, v7
	v_lshlrev_b64 v[3:4], 2, v[3:4]
	s_delay_alu instid0(VALU_DEP_1) | instskip(NEXT) | instid1(VALU_DEP_2)
	v_add_co_u32 v3, vcc_lo, s4, v3
	v_add_co_ci_u32_e32 v4, vcc_lo, s5, v4, vcc_lo
	global_load_b32 v4, v[3:4], off
	v_mov_b32_e32 v3, v1
	s_delay_alu instid0(VALU_DEP_1) | instskip(NEXT) | instid1(VALU_DEP_1)
	v_lshlrev_b64 v[11:12], 4, v[2:3]
	v_add_co_u32 v7, vcc_lo, s26, v11
	s_delay_alu instid0(VALU_DEP_2)
	v_add_co_ci_u32_e32 v8, vcc_lo, s27, v12, vcc_lo
	v_add_co_u32 v11, vcc_lo, s10, v11
	v_add_co_ci_u32_e32 v12, vcc_lo, s11, v12, vcc_lo
	global_load_b128 v[7:10], v[7:8], off
	global_load_b128 v[11:14], v[11:12], off
	s_waitcnt vmcnt(2)
	v_div_scale_f32 v15, null, v4, v4, 1.0
	v_div_scale_f32 v18, vcc_lo, 1.0, v4, 1.0
	s_delay_alu instid0(VALU_DEP_2) | instskip(SKIP_3) | instid1(VALU_DEP_1)
	v_rcp_f32_e32 v16, v15
	s_waitcnt_depctr 0xfff
	v_fma_f32 v17, -v15, v16, 1.0
	s_waitcnt vmcnt(1)
	v_dual_fmac_f32 v16, v17, v16 :: v_dual_mul_f32 v9, v28, v9
	v_mul_f32_e32 v8, v28, v8
	s_delay_alu instid0(VALU_DEP_2) | instskip(SKIP_1) | instid1(VALU_DEP_2)
	v_dual_mul_f32 v10, v28, v10 :: v_dual_mul_f32 v17, v18, v16
	s_waitcnt vmcnt(0)
	v_dual_mul_f32 v9, v9, v13 :: v_dual_mul_f32 v8, v8, v12
	s_delay_alu instid0(VALU_DEP_2) | instskip(NEXT) | instid1(VALU_DEP_3)
	v_mul_f32_e32 v10, v10, v14
	v_fma_f32 v19, -v15, v17, v18
	s_delay_alu instid0(VALU_DEP_1) | instskip(NEXT) | instid1(VALU_DEP_1)
	v_fmac_f32_e32 v17, v19, v16
	v_fma_f32 v15, -v15, v17, v18
	s_delay_alu instid0(VALU_DEP_1) | instskip(NEXT) | instid1(VALU_DEP_1)
	v_div_fmas_f32 v15, v15, v16, v17
	v_div_fixup_f32 v4, v15, v4, 1.0
	v_mul_f32_e32 v7, v28, v7
	s_delay_alu instid0(VALU_DEP_2) | instskip(NEXT) | instid1(VALU_DEP_2)
	v_mul_f32_e32 v9, v9, v4
	v_dual_mul_f32 v7, v7, v11 :: v_dual_mul_f32 v8, v8, v4
	s_delay_alu instid0(VALU_DEP_2) | instskip(NEXT) | instid1(VALU_DEP_1)
	v_rndne_f32_e32 v9, v9
	v_cmp_nlt_f32_e32 vcc_lo, 0x42fe0000, v9
	s_delay_alu instid0(VALU_DEP_3) | instskip(SKIP_2) | instid1(VALU_DEP_3)
	v_mul_f32_e32 v7, v7, v4
	v_mul_f32_e32 v4, v10, v4
	v_cndmask_b32_e32 v10, 0x42fe0000, v9, vcc_lo
	v_rndne_f32_e32 v7, v7
	s_delay_alu instid0(VALU_DEP_3) | instskip(NEXT) | instid1(VALU_DEP_2)
	v_rndne_f32_e32 v4, v4
	v_cmp_nlt_f32_e32 vcc_lo, 0x42fe0000, v7
	v_cndmask_b32_e32 v11, 0x42fe0000, v7, vcc_lo
	v_rndne_f32_e32 v8, v8
	s_delay_alu instid0(VALU_DEP_1) | instskip(SKIP_4) | instid1(VALU_DEP_2)
	v_cmp_nlt_f32_e32 vcc_lo, 0x42fe0000, v8
	v_cndmask_b32_e32 v12, 0x42fe0000, v8, vcc_lo
	v_cmp_ngt_f32_e32 vcc_lo, 0xc3000000, v9
	v_cndmask_b32_e32 v9, 0xc3000000, v10, vcc_lo
	v_cmp_nlt_f32_e32 vcc_lo, 0x42fe0000, v4
	v_cvt_i32_f32_e32 v9, v9
	v_cndmask_b32_e32 v10, 0x42fe0000, v4, vcc_lo
	v_cmp_ngt_f32_e32 vcc_lo, 0xc3000000, v8
	s_delay_alu instid0(VALU_DEP_3) | instskip(NEXT) | instid1(VALU_DEP_1)
	v_and_b32_e32 v9, 0xff, v9
	v_dual_cndmask_b32 v8, 0xc3000000, v12 :: v_dual_lshlrev_b32 v9, 16, v9
	v_cmp_ngt_f32_e32 vcc_lo, 0xc3000000, v7
	s_delay_alu instid0(VALU_DEP_2) | instskip(SKIP_2) | instid1(VALU_DEP_3)
	v_cvt_i32_f32_e32 v8, v8
	v_cndmask_b32_e32 v7, 0xc3000000, v11, vcc_lo
	v_cmp_ngt_f32_e32 vcc_lo, 0xc3000000, v4
	v_and_b32_e32 v11, 0xff, v8
	s_delay_alu instid0(VALU_DEP_1) | instskip(NEXT) | instid1(VALU_DEP_4)
	v_dual_cndmask_b32 v4, 0xc3000000, v10 :: v_dual_lshlrev_b32 v11, 8, v11
	v_cvt_i32_f32_e32 v10, v7
	v_lshlrev_b64 v[7:8], 2, v[2:3]
	v_add_nc_u32_e32 v3, s3, v0
	s_delay_alu instid0(VALU_DEP_4) | instskip(NEXT) | instid1(VALU_DEP_4)
	v_cvt_i32_f32_e32 v4, v4
	v_and_b32_e32 v10, 0xff, v10
	s_delay_alu instid0(VALU_DEP_4) | instskip(NEXT) | instid1(VALU_DEP_3)
	v_add_co_u32 v7, vcc_lo, s0, v7
	v_lshl_or_b32 v4, v4, 24, v9
	v_add_co_ci_u32_e32 v8, vcc_lo, s1, v8, vcc_lo
	s_delay_alu instid0(VALU_DEP_2)
	v_or3_b32 v4, v4, v11, v10
	global_store_b32 v[7:8], v4, off
	v_cmpx_gt_u32_e64 s8, v3
	s_cbranch_execz .LBB26_59
; %bb.63:                               ;   in Loop: Header=BB26_61 Depth=1
	v_bfe_u32 v10, v3, 5, 25
	v_add_nc_u32_e32 v0, s2, v0
	s_mov_b32 s15, -1
	s_mov_b32 s14, exec_lo
	s_delay_alu instid0(VALU_DEP_2) | instskip(NEXT) | instid1(VALU_DEP_1)
	v_mad_u64_u32 v[7:8], null, v5, v10, 0
	v_mov_b32_e32 v4, v8
	s_delay_alu instid0(VALU_DEP_1) | instskip(SKIP_1) | instid1(VALU_DEP_1)
	v_mad_u64_u32 v[8:9], null, v6, v10, v[4:5]
	v_mov_b32_e32 v4, v1
	v_lshlrev_b64 v[11:12], 4, v[3:4]
	s_delay_alu instid0(VALU_DEP_3) | instskip(NEXT) | instid1(VALU_DEP_1)
	v_lshlrev_b64 v[7:8], 2, v[7:8]
	v_add_co_u32 v7, vcc_lo, s4, v7
	s_delay_alu instid0(VALU_DEP_2)
	v_add_co_ci_u32_e32 v8, vcc_lo, s5, v8, vcc_lo
	global_load_b32 v15, v[7:8], off
	v_add_co_u32 v7, vcc_lo, s26, v11
	v_add_co_ci_u32_e32 v8, vcc_lo, s27, v12, vcc_lo
	v_add_co_u32 v11, vcc_lo, s10, v11
	v_add_co_ci_u32_e32 v12, vcc_lo, s11, v12, vcc_lo
	global_load_b128 v[7:10], v[7:8], off
	global_load_b128 v[11:14], v[11:12], off
	s_waitcnt vmcnt(2)
	v_div_scale_f32 v16, null, v15, v15, 1.0
	v_div_scale_f32 v19, vcc_lo, 1.0, v15, 1.0
	s_delay_alu instid0(VALU_DEP_2)
	v_rcp_f32_e32 v17, v16
	s_waitcnt vmcnt(1)
	v_mul_f32_e32 v9, v28, v9
	v_mul_f32_e32 v8, v28, v8
	v_lshlrev_b64 v[3:4], 2, v[3:4]
	v_mul_f32_e32 v7, v28, v7
	s_waitcnt vmcnt(0)
	v_mul_f32_e32 v9, v9, v13
	s_waitcnt_depctr 0xfff
	v_fma_f32 v18, -v16, v17, 1.0
	v_mul_f32_e32 v7, v7, v11
	s_delay_alu instid0(VALU_DEP_2) | instskip(NEXT) | instid1(VALU_DEP_1)
	v_fmac_f32_e32 v17, v18, v17
	v_mul_f32_e32 v18, v19, v17
	s_delay_alu instid0(VALU_DEP_1) | instskip(NEXT) | instid1(VALU_DEP_1)
	v_fma_f32 v20, -v16, v18, v19
	v_fmac_f32_e32 v18, v20, v17
	s_delay_alu instid0(VALU_DEP_1) | instskip(NEXT) | instid1(VALU_DEP_1)
	v_fma_f32 v16, -v16, v18, v19
	v_div_fmas_f32 v16, v16, v17, v18
	s_delay_alu instid0(VALU_DEP_1) | instskip(SKIP_1) | instid1(VALU_DEP_2)
	v_div_fixup_f32 v13, v16, v15, 1.0
	v_mul_f32_e32 v10, v28, v10
	v_dual_mul_f32 v8, v8, v12 :: v_dual_mul_f32 v7, v7, v13
	v_mul_f32_e32 v9, v9, v13
	s_delay_alu instid0(VALU_DEP_2) | instskip(NEXT) | instid1(VALU_DEP_2)
	v_rndne_f32_e32 v7, v7
	v_rndne_f32_e32 v9, v9
	s_delay_alu instid0(VALU_DEP_1) | instskip(SKIP_3) | instid1(VALU_DEP_2)
	v_cmp_nlt_f32_e32 vcc_lo, 0x42fe0000, v9
	v_dual_mul_f32 v10, v10, v14 :: v_dual_cndmask_b32 v11, 0x42fe0000, v9
	v_mul_f32_e32 v8, v8, v13
	v_cmp_nlt_f32_e32 vcc_lo, 0x42fe0000, v7
	v_rndne_f32_e32 v8, v8
	v_cndmask_b32_e32 v12, 0x42fe0000, v7, vcc_lo
	s_delay_alu instid0(VALU_DEP_2) | instskip(SKIP_1) | instid1(VALU_DEP_1)
	v_cmp_nlt_f32_e32 vcc_lo, 0x42fe0000, v8
	v_dual_mul_f32 v10, v10, v13 :: v_dual_cndmask_b32 v13, 0x42fe0000, v8
	v_rndne_f32_e32 v10, v10
	v_cmp_ngt_f32_e32 vcc_lo, 0xc3000000, v9
	v_cndmask_b32_e32 v9, 0xc3000000, v11, vcc_lo
	s_delay_alu instid0(VALU_DEP_3) | instskip(NEXT) | instid1(VALU_DEP_2)
	v_cmp_nlt_f32_e32 vcc_lo, 0x42fe0000, v10
	v_cvt_i32_f32_e32 v9, v9
	v_cndmask_b32_e32 v11, 0x42fe0000, v10, vcc_lo
	v_cmp_ngt_f32_e32 vcc_lo, 0xc3000000, v8
	s_delay_alu instid0(VALU_DEP_3) | instskip(SKIP_2) | instid1(VALU_DEP_3)
	v_and_b32_e32 v9, 0xff, v9
	v_cndmask_b32_e32 v8, 0xc3000000, v13, vcc_lo
	v_cmp_ngt_f32_e32 vcc_lo, 0xc3000000, v7
	v_lshlrev_b32_e32 v9, 16, v9
	s_delay_alu instid0(VALU_DEP_3) | instskip(SKIP_2) | instid1(VALU_DEP_3)
	v_cvt_i32_f32_e32 v8, v8
	v_cndmask_b32_e32 v7, 0xc3000000, v12, vcc_lo
	v_cmp_ngt_f32_e32 vcc_lo, 0xc3000000, v10
	v_and_b32_e32 v8, 0xff, v8
	s_delay_alu instid0(VALU_DEP_3) | instskip(NEXT) | instid1(VALU_DEP_2)
	v_cvt_i32_f32_e32 v7, v7
	v_lshlrev_b32_e32 v8, 8, v8
	v_cndmask_b32_e32 v10, 0xc3000000, v11, vcc_lo
	s_delay_alu instid0(VALU_DEP_3) | instskip(SKIP_2) | instid1(VALU_DEP_4)
	v_and_b32_e32 v7, 0xff, v7
	v_add_co_u32 v3, vcc_lo, s0, v3
	v_add_co_ci_u32_e32 v4, vcc_lo, s1, v4, vcc_lo
	v_cvt_i32_f32_e32 v10, v10
	s_delay_alu instid0(VALU_DEP_1) | instskip(NEXT) | instid1(VALU_DEP_1)
	v_lshl_or_b32 v9, v10, 24, v9
	v_or3_b32 v7, v9, v8, v7
	global_store_b32 v[3:4], v7, off
	v_cmpx_gt_u32_e64 s8, v0
	s_cbranch_execz .LBB26_58
; %bb.64:                               ;   in Loop: Header=BB26_61 Depth=1
	v_bfe_u32 v9, v0, 5, 25
	s_delay_alu instid0(VALU_DEP_1) | instskip(NEXT) | instid1(VALU_DEP_1)
	v_mad_u64_u32 v[3:4], null, v5, v9, 0
	v_mad_u64_u32 v[7:8], null, v6, v9, v[4:5]
	s_delay_alu instid0(VALU_DEP_1) | instskip(NEXT) | instid1(VALU_DEP_1)
	v_mov_b32_e32 v4, v7
	v_lshlrev_b64 v[3:4], 2, v[3:4]
	s_delay_alu instid0(VALU_DEP_1) | instskip(NEXT) | instid1(VALU_DEP_2)
	v_add_co_u32 v3, vcc_lo, s4, v3
	v_add_co_ci_u32_e32 v4, vcc_lo, s5, v4, vcc_lo
	global_load_b32 v15, v[3:4], off
	v_lshlrev_b64 v[3:4], 4, v[0:1]
	s_delay_alu instid0(VALU_DEP_1) | instskip(NEXT) | instid1(VALU_DEP_2)
	v_add_co_u32 v7, vcc_lo, s26, v3
	v_add_co_ci_u32_e32 v8, vcc_lo, s27, v4, vcc_lo
	v_add_co_u32 v3, vcc_lo, s10, v3
	v_add_co_ci_u32_e32 v4, vcc_lo, s11, v4, vcc_lo
	global_load_b128 v[7:10], v[7:8], off
	global_load_b128 v[11:14], v[3:4], off
	s_waitcnt vmcnt(2)
	v_div_scale_f32 v3, null, v15, v15, 1.0
	v_div_scale_f32 v17, vcc_lo, 1.0, v15, 1.0
	s_delay_alu instid0(VALU_DEP_2)
	v_rcp_f32_e32 v4, v3
	s_waitcnt vmcnt(1)
	v_mul_f32_e32 v9, v28, v9
	s_waitcnt_depctr 0xfff
	v_fma_f32 v16, -v3, v4, 1.0
	s_waitcnt vmcnt(0)
	s_delay_alu instid0(VALU_DEP_1) | instskip(NEXT) | instid1(VALU_DEP_1)
	v_dual_mul_f32 v9, v9, v13 :: v_dual_fmac_f32 v4, v16, v4
	v_mul_f32_e32 v16, v17, v4
	s_delay_alu instid0(VALU_DEP_1) | instskip(NEXT) | instid1(VALU_DEP_1)
	v_fma_f32 v18, -v3, v16, v17
	v_fmac_f32_e32 v16, v18, v4
	s_delay_alu instid0(VALU_DEP_1) | instskip(NEXT) | instid1(VALU_DEP_1)
	v_fma_f32 v3, -v3, v16, v17
	v_div_fmas_f32 v3, v3, v4, v16
	v_mul_f32_e32 v4, v28, v7
	v_mul_f32_e32 v7, v28, v8
	s_delay_alu instid0(VALU_DEP_3) | instskip(NEXT) | instid1(VALU_DEP_2)
	v_div_fixup_f32 v3, v3, v15, 1.0
	v_dual_mul_f32 v7, v7, v12 :: v_dual_mul_f32 v4, v4, v11
	s_delay_alu instid0(VALU_DEP_2) | instskip(NEXT) | instid1(VALU_DEP_2)
	v_mul_f32_e32 v9, v9, v3
	v_mul_f32_e32 v7, v7, v3
	s_delay_alu instid0(VALU_DEP_3) | instskip(NEXT) | instid1(VALU_DEP_2)
	v_mul_f32_e32 v4, v4, v3
	v_rndne_f32_e32 v7, v7
	v_mul_f32_e32 v8, v28, v10
	s_delay_alu instid0(VALU_DEP_3) | instskip(NEXT) | instid1(VALU_DEP_2)
	v_rndne_f32_e32 v4, v4
	v_mul_f32_e32 v8, v8, v14
	s_delay_alu instid0(VALU_DEP_1) | instskip(SKIP_1) | instid1(VALU_DEP_1)
	v_mul_f32_e32 v3, v8, v3
	v_rndne_f32_e32 v8, v9
	v_cmp_nlt_f32_e32 vcc_lo, 0x42fe0000, v8
	v_cndmask_b32_e32 v9, 0x42fe0000, v8, vcc_lo
	v_cmp_nlt_f32_e32 vcc_lo, 0x42fe0000, v4
	v_cndmask_b32_e32 v10, 0x42fe0000, v4, vcc_lo
	v_cmp_nlt_f32_e32 vcc_lo, 0x42fe0000, v7
	v_rndne_f32_e32 v3, v3
	v_cndmask_b32_e32 v11, 0x42fe0000, v7, vcc_lo
	v_cmp_ngt_f32_e32 vcc_lo, 0xc3000000, v8
	v_cndmask_b32_e32 v8, 0xc3000000, v9, vcc_lo
	s_delay_alu instid0(VALU_DEP_4) | instskip(NEXT) | instid1(VALU_DEP_2)
	v_cmp_nlt_f32_e32 vcc_lo, 0x42fe0000, v3
	v_cvt_i32_f32_e32 v8, v8
	v_cndmask_b32_e32 v9, 0x42fe0000, v3, vcc_lo
	v_cmp_ngt_f32_e32 vcc_lo, 0xc3000000, v7
	s_delay_alu instid0(VALU_DEP_3) | instskip(SKIP_2) | instid1(VALU_DEP_3)
	v_and_b32_e32 v8, 0xff, v8
	v_cndmask_b32_e32 v7, 0xc3000000, v11, vcc_lo
	v_cmp_ngt_f32_e32 vcc_lo, 0xc3000000, v4
	v_lshlrev_b32_e32 v8, 16, v8
	s_delay_alu instid0(VALU_DEP_3) | instskip(NEXT) | instid1(VALU_DEP_1)
	v_cvt_i32_f32_e32 v7, v7
	v_and_b32_e32 v7, 0xff, v7
	v_cndmask_b32_e32 v4, 0xc3000000, v10, vcc_lo
	v_cmp_ngt_f32_e32 vcc_lo, 0xc3000000, v3
	s_delay_alu instid0(VALU_DEP_3) | instskip(SKIP_1) | instid1(VALU_DEP_4)
	v_lshlrev_b32_e32 v7, 8, v7
	v_cndmask_b32_e32 v3, 0xc3000000, v9, vcc_lo
	v_cvt_i32_f32_e32 v9, v4
	s_delay_alu instid0(VALU_DEP_2) | instskip(SKIP_2) | instid1(VALU_DEP_4)
	v_cvt_i32_f32_e32 v10, v3
	v_lshlrev_b64 v[3:4], 2, v[0:1]
	v_add3_u32 v0, s7, s28, v2
	v_and_b32_e32 v9, 0xff, v9
	s_delay_alu instid0(VALU_DEP_4) | instskip(NEXT) | instid1(VALU_DEP_4)
	v_lshl_or_b32 v8, v10, 24, v8
	v_add_co_u32 v2, vcc_lo, s0, v3
	v_add_co_ci_u32_e32 v3, vcc_lo, s1, v4, vcc_lo
	v_cmp_le_u32_e32 vcc_lo, s8, v0
	s_delay_alu instid0(VALU_DEP_4)
	v_or3_b32 v4, v8, v7, v9
	s_or_not1_b32 s15, vcc_lo, exec_lo
	global_store_b32 v[2:3], v4, off
	s_branch .LBB26_58
.LBB26_65:
	s_nop 0
	s_sendmsg sendmsg(MSG_DEALLOC_VGPRS)
	s_endpgm
.LBB26_66:
                                        ; implicit-def: $vgpr3_vgpr4
	s_branch .LBB26_51
.LBB26_67:
                                        ; implicit-def: $vgpr1_vgpr2
	s_branch .LBB26_56
	.section	.rodata,"a",@progbits
	.p2align	6, 0x0
	.amdhsa_kernel _ZN4vllm31rms_norm_per_block_quant_kernelIfaLb0ELb1ELi128EEEvPT0_PfPKT_S6_PKffiiPS4_l
		.amdhsa_group_segment_fixed_size 4228
		.amdhsa_private_segment_fixed_size 0
		.amdhsa_kernarg_size 328
		.amdhsa_user_sgpr_count 15
		.amdhsa_user_sgpr_dispatch_ptr 0
		.amdhsa_user_sgpr_queue_ptr 0
		.amdhsa_user_sgpr_kernarg_segment_ptr 1
		.amdhsa_user_sgpr_dispatch_id 0
		.amdhsa_user_sgpr_private_segment_size 0
		.amdhsa_wavefront_size32 1
		.amdhsa_uses_dynamic_stack 0
		.amdhsa_enable_private_segment 0
		.amdhsa_system_sgpr_workgroup_id_x 1
		.amdhsa_system_sgpr_workgroup_id_y 0
		.amdhsa_system_sgpr_workgroup_id_z 0
		.amdhsa_system_sgpr_workgroup_info 0
		.amdhsa_system_vgpr_workitem_id 0
		.amdhsa_next_free_vgpr 35
		.amdhsa_next_free_sgpr 38
		.amdhsa_reserve_vcc 1
		.amdhsa_float_round_mode_32 0
		.amdhsa_float_round_mode_16_64 0
		.amdhsa_float_denorm_mode_32 3
		.amdhsa_float_denorm_mode_16_64 3
		.amdhsa_dx10_clamp 1
		.amdhsa_ieee_mode 1
		.amdhsa_fp16_overflow 0
		.amdhsa_workgroup_processor_mode 1
		.amdhsa_memory_ordered 1
		.amdhsa_forward_progress 0
		.amdhsa_shared_vgpr_count 0
		.amdhsa_exception_fp_ieee_invalid_op 0
		.amdhsa_exception_fp_denorm_src 0
		.amdhsa_exception_fp_ieee_div_zero 0
		.amdhsa_exception_fp_ieee_overflow 0
		.amdhsa_exception_fp_ieee_underflow 0
		.amdhsa_exception_fp_ieee_inexact 0
		.amdhsa_exception_int_div_zero 0
	.end_amdhsa_kernel
	.section	.text._ZN4vllm31rms_norm_per_block_quant_kernelIfaLb0ELb1ELi128EEEvPT0_PfPKT_S6_PKffiiPS4_l,"axG",@progbits,_ZN4vllm31rms_norm_per_block_quant_kernelIfaLb0ELb1ELi128EEEvPT0_PfPKT_S6_PKffiiPS4_l,comdat
.Lfunc_end26:
	.size	_ZN4vllm31rms_norm_per_block_quant_kernelIfaLb0ELb1ELi128EEEvPT0_PfPKT_S6_PKffiiPS4_l, .Lfunc_end26-_ZN4vllm31rms_norm_per_block_quant_kernelIfaLb0ELb1ELi128EEEvPT0_PfPKT_S6_PKffiiPS4_l
                                        ; -- End function
	.section	.AMDGPU.csdata,"",@progbits
; Kernel info:
; codeLenInByte = 8124
; NumSgprs: 40
; NumVgprs: 35
; ScratchSize: 0
; MemoryBound: 0
; FloatMode: 240
; IeeeMode: 1
; LDSByteSize: 4228 bytes/workgroup (compile time only)
; SGPRBlocks: 4
; VGPRBlocks: 4
; NumSGPRsForWavesPerEU: 40
; NumVGPRsForWavesPerEU: 35
; Occupancy: 16
; WaveLimiterHint : 0
; COMPUTE_PGM_RSRC2:SCRATCH_EN: 0
; COMPUTE_PGM_RSRC2:USER_SGPR: 15
; COMPUTE_PGM_RSRC2:TRAP_HANDLER: 0
; COMPUTE_PGM_RSRC2:TGID_X_EN: 1
; COMPUTE_PGM_RSRC2:TGID_Y_EN: 0
; COMPUTE_PGM_RSRC2:TGID_Z_EN: 0
; COMPUTE_PGM_RSRC2:TIDIG_COMP_CNT: 0
	.section	.text._ZN4vllm31rms_norm_per_block_quant_kernelIfN3c1013Float8_e4m3fnELb0ELb0ELi128EEEvPT0_PfPKT_S8_PKffiiPS6_l,"axG",@progbits,_ZN4vllm31rms_norm_per_block_quant_kernelIfN3c1013Float8_e4m3fnELb0ELb0ELi128EEEvPT0_PfPKT_S8_PKffiiPS6_l,comdat
	.protected	_ZN4vllm31rms_norm_per_block_quant_kernelIfN3c1013Float8_e4m3fnELb0ELb0ELi128EEEvPT0_PfPKT_S8_PKffiiPS6_l ; -- Begin function _ZN4vllm31rms_norm_per_block_quant_kernelIfN3c1013Float8_e4m3fnELb0ELb0ELi128EEEvPT0_PfPKT_S8_PKffiiPS6_l
	.globl	_ZN4vllm31rms_norm_per_block_quant_kernelIfN3c1013Float8_e4m3fnELb0ELb0ELi128EEEvPT0_PfPKT_S8_PKffiiPS6_l
	.p2align	8
	.type	_ZN4vllm31rms_norm_per_block_quant_kernelIfN3c1013Float8_e4m3fnELb0ELb0ELi128EEEvPT0_PfPKT_S8_PKffiiPS6_l,@function
_ZN4vllm31rms_norm_per_block_quant_kernelIfN3c1013Float8_e4m3fnELb0ELb0ELi128EEEvPT0_PfPKT_S8_PKffiiPS6_l: ; @_ZN4vllm31rms_norm_per_block_quant_kernelIfN3c1013Float8_e4m3fnELb0ELb0ELi128EEEvPT0_PfPKT_S8_PKffiiPS6_l
; %bb.0:
	s_clause 0x1
	s_load_b128 s[16:19], s[0:1], 0x28
	s_load_b256 s[4:11], s[0:1], 0x0
	v_mov_b32_e32 v6, 0
	s_waitcnt lgkmcnt(0)
	s_ashr_i32 s2, s18, 31
	s_mul_hi_u32 s3, s18, s15
	s_mul_i32 s12, s2, s15
	s_mul_i32 s2, s18, s15
	s_add_i32 s3, s3, s12
	s_mov_b32 s12, s17
	s_lshl_b64 s[2:3], s[2:3], 2
	s_delay_alu instid0(SALU_CYCLE_1)
	s_add_u32 s14, s8, s2
	s_addc_u32 s26, s9, s3
	s_ashr_i32 s8, s17, 2
	s_add_u32 s18, s0, 0x48
	v_cmp_gt_u32_e64 s2, s8, v0
	s_mov_b32 s9, 0
	s_addc_u32 s19, s1, 0
	s_delay_alu instid0(VALU_DEP_1)
	s_and_saveexec_b32 s3, s2
	s_cbranch_execz .LBB27_10
; %bb.1:
	s_load_b32 s13, s[18:19], 0x0
	v_dual_mov_b32 v2, 0 :: v_dual_mov_b32 v1, v0
	s_waitcnt lgkmcnt(0)
	s_cmp_lt_u32 s15, s13
	s_cselect_b32 s13, 12, 18
	s_delay_alu instid0(SALU_CYCLE_1)
	s_add_u32 s20, s18, s13
	s_addc_u32 s21, s19, 0
                                        ; implicit-def: $sgpr13
	global_load_u16 v7, v2, s[20:21]
	s_waitcnt vmcnt(0)
	v_lshlrev_b32_e32 v9, 1, v7
	v_mul_lo_u32 v8, v7, 3
	v_add_nc_u32_e32 v10, v7, v7
	v_mov_b32_e32 v6, v2
	s_branch .LBB27_5
.LBB27_2:                               ;   in Loop: Header=BB27_5 Depth=1
	s_or_b32 exec_lo, exec_lo, s22
	s_delay_alu instid0(SALU_CYCLE_1)
	s_or_not1_b32 s22, s23, exec_lo
.LBB27_3:                               ;   in Loop: Header=BB27_5 Depth=1
	s_or_b32 exec_lo, exec_lo, s21
	s_delay_alu instid0(SALU_CYCLE_1) | instskip(SKIP_1) | instid1(SALU_CYCLE_1)
	s_and_not1_b32 s13, s13, exec_lo
	s_and_b32 s21, s22, exec_lo
	s_or_b32 s13, s13, s21
.LBB27_4:                               ;   in Loop: Header=BB27_5 Depth=1
	s_or_b32 exec_lo, exec_lo, s20
	s_delay_alu instid0(SALU_CYCLE_1) | instskip(NEXT) | instid1(SALU_CYCLE_1)
	s_and_b32 s20, exec_lo, s13
	s_or_b32 s9, s20, s9
	s_delay_alu instid0(SALU_CYCLE_1)
	s_and_not1_b32 exec_lo, exec_lo, s9
	s_cbranch_execz .LBB27_9
.LBB27_5:                               ; =>This Inner Loop Header: Depth=1
	v_lshlrev_b64 v[3:4], 4, v[1:2]
	s_or_b32 s13, s13, exec_lo
	s_mov_b32 s20, exec_lo
	s_delay_alu instid0(VALU_DEP_1) | instskip(NEXT) | instid1(VALU_DEP_2)
	v_add_co_u32 v3, vcc_lo, s14, v3
	v_add_co_ci_u32_e32 v4, vcc_lo, s26, v4, vcc_lo
	global_load_b128 v[11:14], v[3:4], off
	v_add_nc_u32_e32 v3, v1, v7
	s_waitcnt vmcnt(0)
	v_fmac_f32_e32 v6, v11, v11
	s_delay_alu instid0(VALU_DEP_1) | instskip(NEXT) | instid1(VALU_DEP_1)
	v_fmac_f32_e32 v6, v12, v12
	v_fmac_f32_e32 v6, v13, v13
	s_delay_alu instid0(VALU_DEP_1)
	v_fmac_f32_e32 v6, v14, v14
	v_cmpx_gt_u32_e64 s8, v3
	s_cbranch_execz .LBB27_4
; %bb.6:                                ;   in Loop: Header=BB27_5 Depth=1
	v_mov_b32_e32 v4, v2
	s_mov_b32 s22, -1
	s_mov_b32 s21, exec_lo
	s_delay_alu instid0(VALU_DEP_1) | instskip(NEXT) | instid1(VALU_DEP_1)
	v_lshlrev_b64 v[4:5], 4, v[3:4]
	v_add_co_u32 v4, vcc_lo, s14, v4
	s_delay_alu instid0(VALU_DEP_2) | instskip(SKIP_4) | instid1(VALU_DEP_1)
	v_add_co_ci_u32_e32 v5, vcc_lo, s26, v5, vcc_lo
	global_load_b128 v[11:14], v[4:5], off
	v_add_nc_u32_e32 v4, v9, v1
	s_waitcnt vmcnt(0)
	v_fmac_f32_e32 v6, v11, v11
	v_fmac_f32_e32 v6, v12, v12
	s_delay_alu instid0(VALU_DEP_1) | instskip(NEXT) | instid1(VALU_DEP_1)
	v_fmac_f32_e32 v6, v13, v13
	v_fmac_f32_e32 v6, v14, v14
	v_cmpx_gt_u32_e64 s8, v4
	s_cbranch_execz .LBB27_3
; %bb.7:                                ;   in Loop: Header=BB27_5 Depth=1
	v_mov_b32_e32 v5, v2
	s_mov_b32 s23, -1
	s_mov_b32 s22, exec_lo
	s_delay_alu instid0(VALU_DEP_1) | instskip(NEXT) | instid1(VALU_DEP_1)
	v_lshlrev_b64 v[4:5], 4, v[4:5]
	v_add_co_u32 v4, vcc_lo, s14, v4
	s_delay_alu instid0(VALU_DEP_2) | instskip(SKIP_3) | instid1(VALU_DEP_1)
	v_add_co_ci_u32_e32 v5, vcc_lo, s26, v5, vcc_lo
	global_load_b128 v[11:14], v[4:5], off
	s_waitcnt vmcnt(0)
	v_fmac_f32_e32 v6, v11, v11
	v_fmac_f32_e32 v6, v12, v12
	s_delay_alu instid0(VALU_DEP_1) | instskip(NEXT) | instid1(VALU_DEP_1)
	v_fmac_f32_e32 v6, v13, v13
	v_dual_fmac_f32 v6, v14, v14 :: v_dual_add_nc_u32 v1, v8, v1
	s_delay_alu instid0(VALU_DEP_1)
	v_cmpx_gt_u32_e64 s8, v1
	s_xor_b32 s22, exec_lo, s22
	s_cbranch_execz .LBB27_2
; %bb.8:                                ;   in Loop: Header=BB27_5 Depth=1
	v_lshlrev_b64 v[4:5], 4, v[1:2]
	v_add3_u32 v1, v10, v7, v3
	s_delay_alu instid0(VALU_DEP_2) | instskip(NEXT) | instid1(VALU_DEP_3)
	v_add_co_u32 v4, vcc_lo, s14, v4
	v_add_co_ci_u32_e32 v5, vcc_lo, s26, v5, vcc_lo
	s_delay_alu instid0(VALU_DEP_3) | instskip(SKIP_4) | instid1(VALU_DEP_1)
	v_cmp_le_u32_e32 vcc_lo, s8, v1
	global_load_b128 v[11:14], v[4:5], off
	s_or_not1_b32 s23, vcc_lo, exec_lo
	s_waitcnt vmcnt(0)
	v_fmac_f32_e32 v6, v11, v11
	v_fmac_f32_e32 v6, v12, v12
	s_delay_alu instid0(VALU_DEP_1) | instskip(NEXT) | instid1(VALU_DEP_1)
	v_fmac_f32_e32 v6, v13, v13
	v_fmac_f32_e32 v6, v14, v14
	s_branch .LBB27_2
.LBB27_9:
	s_or_b32 exec_lo, exec_lo, s9
.LBB27_10:
	s_delay_alu instid0(SALU_CYCLE_1) | instskip(SKIP_3) | instid1(VALU_DEP_2)
	s_or_b32 exec_lo, exec_lo, s3
	v_mbcnt_lo_u32_b32 v1, -1, 0
	s_load_b32 s3, s[18:19], 0xc
	v_and_b32_e32 v7, 0x3e0, v0
	v_cmp_ne_u32_e32 vcc_lo, 31, v1
	v_add_nc_u32_e32 v3, 1, v1
	v_add_co_ci_u32_e32 v2, vcc_lo, 0, v1, vcc_lo
	v_cmp_gt_u32_e32 vcc_lo, 30, v1
	s_delay_alu instid0(VALU_DEP_2)
	v_lshlrev_b32_e32 v2, 2, v2
	v_cndmask_b32_e64 v5, 0, 1, vcc_lo
	ds_bpermute_b32 v4, v2, v6
	s_waitcnt lgkmcnt(0)
	s_and_b32 s27, s3, 0xffff
	v_lshlrev_b32_e32 v5, 1, v5
	v_sub_nc_u32_e64 v12, s27, v7 clamp
	s_mov_b32 s3, exec_lo
	s_delay_alu instid0(VALU_DEP_1) | instskip(SKIP_2) | instid1(VALU_DEP_2)
	v_cmp_lt_u32_e32 vcc_lo, v3, v12
	v_add_f32_e32 v7, v6, v4
	v_add_lshl_u32 v4, v5, v1, 2
	v_cndmask_b32_e32 v7, v6, v7, vcc_lo
	v_cmp_gt_u32_e32 vcc_lo, 28, v1
	v_cndmask_b32_e64 v5, 0, 1, vcc_lo
	s_delay_alu instid0(VALU_DEP_1) | instskip(SKIP_2) | instid1(VALU_DEP_1)
	v_lshlrev_b32_e32 v8, 2, v5
	ds_bpermute_b32 v6, v4, v7
	v_add_nc_u32_e32 v5, 2, v1
	v_cmp_lt_u32_e32 vcc_lo, v5, v12
	s_waitcnt lgkmcnt(0)
	v_add_f32_e32 v9, v7, v6
	v_add_lshl_u32 v6, v8, v1, 2
	s_delay_alu instid0(VALU_DEP_2) | instskip(SKIP_3) | instid1(VALU_DEP_1)
	v_cndmask_b32_e32 v9, v7, v9, vcc_lo
	v_cmp_gt_u32_e32 vcc_lo, 24, v1
	ds_bpermute_b32 v8, v6, v9
	v_cndmask_b32_e64 v7, 0, 1, vcc_lo
	v_lshlrev_b32_e32 v10, 3, v7
	v_add_nc_u32_e32 v7, 4, v1
	s_delay_alu instid0(VALU_DEP_1) | instskip(SKIP_3) | instid1(VALU_DEP_2)
	v_cmp_lt_u32_e32 vcc_lo, v7, v12
	s_waitcnt lgkmcnt(0)
	v_add_f32_e32 v11, v9, v8
	v_add_lshl_u32 v8, v10, v1, 2
	v_cndmask_b32_e32 v11, v9, v11, vcc_lo
	v_cmp_gt_u32_e32 vcc_lo, 16, v1
	ds_bpermute_b32 v10, v8, v11
	v_cndmask_b32_e64 v9, 0, 1, vcc_lo
	s_delay_alu instid0(VALU_DEP_1) | instskip(SKIP_1) | instid1(VALU_DEP_1)
	v_lshlrev_b32_e32 v13, 4, v9
	v_add_nc_u32_e32 v9, 8, v1
	v_cmp_lt_u32_e32 vcc_lo, v9, v12
	s_waitcnt lgkmcnt(0)
	v_add_f32_e32 v14, v11, v10
	v_add_lshl_u32 v10, v13, v1, 2
	s_delay_alu instid0(VALU_DEP_2)
	v_cndmask_b32_e32 v13, v11, v14, vcc_lo
	v_add_nc_u32_e32 v11, 16, v1
	ds_bpermute_b32 v14, v10, v13
	v_cmp_lt_u32_e32 vcc_lo, v11, v12
	s_waitcnt lgkmcnt(0)
	v_add_f32_e32 v14, v13, v14
	s_delay_alu instid0(VALU_DEP_1)
	v_cndmask_b32_e32 v12, v13, v14, vcc_lo
	v_cmpx_eq_u32_e32 0, v1
	s_cbranch_execz .LBB27_12
; %bb.11:
	v_lshrrev_b32_e32 v13, 3, v0
	s_delay_alu instid0(VALU_DEP_1)
	v_and_b32_e32 v13, 0x7c, v13
	ds_store_b32 v13, v12 offset:4096
.LBB27_12:
	s_or_b32 exec_lo, exec_lo, s3
	s_delay_alu instid0(SALU_CYCLE_1)
	s_mov_b32 s3, exec_lo
	s_waitcnt lgkmcnt(0)
	s_barrier
	buffer_gl0_inv
	v_cmpx_gt_u32_e32 32, v0
	s_cbranch_execz .LBB27_14
; %bb.13:
	v_lshlrev_b32_e32 v1, 2, v1
	s_add_i32 s9, s27, 31
	s_delay_alu instid0(SALU_CYCLE_1) | instskip(NEXT) | instid1(SALU_CYCLE_1)
	s_lshr_b32 s9, s9, 5
	v_cmp_gt_u32_e32 vcc_lo, s9, v3
	ds_load_b32 v1, v1 offset:4096
	s_waitcnt lgkmcnt(0)
	ds_bpermute_b32 v2, v2, v1
	s_waitcnt lgkmcnt(0)
	v_add_f32_e32 v2, v1, v2
	s_delay_alu instid0(VALU_DEP_1) | instskip(SKIP_4) | instid1(VALU_DEP_1)
	v_cndmask_b32_e32 v1, v1, v2, vcc_lo
	v_cmp_gt_u32_e32 vcc_lo, s9, v5
	ds_bpermute_b32 v2, v4, v1
	s_waitcnt lgkmcnt(0)
	v_add_f32_e32 v2, v1, v2
	v_cndmask_b32_e32 v1, v1, v2, vcc_lo
	v_cmp_gt_u32_e32 vcc_lo, s9, v7
	ds_bpermute_b32 v2, v6, v1
	s_waitcnt lgkmcnt(0)
	v_add_f32_e32 v2, v1, v2
	s_delay_alu instid0(VALU_DEP_1) | instskip(SKIP_4) | instid1(VALU_DEP_1)
	v_cndmask_b32_e32 v1, v1, v2, vcc_lo
	v_cmp_gt_u32_e32 vcc_lo, s9, v9
	ds_bpermute_b32 v2, v8, v1
	s_waitcnt lgkmcnt(0)
	v_add_f32_e32 v2, v1, v2
	v_cndmask_b32_e32 v1, v1, v2, vcc_lo
	v_cmp_gt_u32_e32 vcc_lo, s9, v11
	ds_bpermute_b32 v2, v10, v1
	s_waitcnt lgkmcnt(0)
	v_add_f32_e32 v2, v1, v2
	s_delay_alu instid0(VALU_DEP_1)
	v_cndmask_b32_e32 v12, v1, v2, vcc_lo
.LBB27_14:
	s_or_b32 exec_lo, exec_lo, s3
	s_delay_alu instid0(SALU_CYCLE_1)
	s_mov_b32 s3, exec_lo
	v_cmpx_eq_u32_e32 0, v0
	s_cbranch_execz .LBB27_16
; %bb.15:
	v_cvt_f32_i32_e32 v1, s17
	s_delay_alu instid0(VALU_DEP_1) | instskip(SKIP_1) | instid1(VALU_DEP_2)
	v_div_scale_f32 v2, null, v1, v1, v12
	v_div_scale_f32 v5, vcc_lo, v12, v1, v12
	v_rcp_f32_e32 v3, v2
	s_waitcnt_depctr 0xfff
	v_fma_f32 v4, -v2, v3, 1.0
	s_delay_alu instid0(VALU_DEP_1) | instskip(NEXT) | instid1(VALU_DEP_1)
	v_fmac_f32_e32 v3, v4, v3
	v_mul_f32_e32 v4, v5, v3
	s_delay_alu instid0(VALU_DEP_1) | instskip(NEXT) | instid1(VALU_DEP_1)
	v_fma_f32 v6, -v2, v4, v5
	v_fmac_f32_e32 v4, v6, v3
	s_delay_alu instid0(VALU_DEP_1) | instskip(NEXT) | instid1(VALU_DEP_1)
	v_fma_f32 v2, -v2, v4, v5
	v_div_fmas_f32 v2, v2, v3, v4
	s_delay_alu instid0(VALU_DEP_1) | instskip(NEXT) | instid1(VALU_DEP_1)
	v_div_fixup_f32 v1, v2, v1, v12
	v_add_f32_e32 v1, s16, v1
	s_delay_alu instid0(VALU_DEP_1) | instskip(SKIP_1) | instid1(VALU_DEP_2)
	v_mul_f32_e32 v2, 0x4b800000, v1
	v_cmp_gt_f32_e32 vcc_lo, 0x800000, v1
	v_cndmask_b32_e32 v1, v1, v2, vcc_lo
	s_delay_alu instid0(VALU_DEP_1) | instskip(SKIP_2) | instid1(VALU_DEP_1)
	v_rsq_f32_e32 v1, v1
	s_waitcnt_depctr 0xfff
	v_mul_f32_e32 v2, 0x45800000, v1
	v_dual_cndmask_b32 v1, v1, v2 :: v_dual_mov_b32 v2, 0
	ds_store_b32 v2, v1 offset:4224
.LBB27_16:
	s_or_b32 exec_lo, exec_lo, s3
	s_ashr_i32 s13, s17, 31
	s_waitcnt lgkmcnt(0)
	s_lshr_b32 s3, s13, 25
	s_barrier
	s_add_i32 s3, s17, s3
	buffer_gl0_inv
	s_ashr_i32 s16, s3, 7
	s_ashr_i32 s3, s3, 31
	s_abs_i32 s9, s16
	s_delay_alu instid0(SALU_CYCLE_1) | instskip(SKIP_1) | instid1(VALU_DEP_1)
	v_cvt_f32_u32_e32 v1, s9
	s_sub_i32 s18, 0, s9
	v_rcp_iflag_f32_e32 v1, v1
	s_waitcnt_depctr 0xfff
	v_mul_f32_e32 v1, 0x4f7ffffe, v1
	s_delay_alu instid0(VALU_DEP_1) | instskip(NEXT) | instid1(VALU_DEP_1)
	v_cvt_u32_f32_e32 v1, v1
	v_readfirstlane_b32 s17, v1
	s_delay_alu instid0(VALU_DEP_1) | instskip(NEXT) | instid1(SALU_CYCLE_1)
	s_mul_i32 s18, s18, s17
	s_mul_hi_u32 s18, s17, s18
	s_delay_alu instid0(SALU_CYCLE_1) | instskip(NEXT) | instid1(SALU_CYCLE_1)
	s_add_i32 s17, s17, s18
	s_mul_hi_u32 s17, s27, s17
	s_delay_alu instid0(SALU_CYCLE_1) | instskip(SKIP_2) | instid1(SALU_CYCLE_1)
	s_mul_i32 s18, s17, s9
	s_add_i32 s19, s17, 1
	s_sub_i32 s18, s27, s18
	s_sub_i32 s20, s18, s9
	s_cmp_ge_u32 s18, s9
	s_cselect_b32 s17, s19, s17
	s_cselect_b32 s18, s20, s18
	s_add_i32 s19, s17, 1
	s_cmp_ge_u32 s18, s9
	s_cselect_b32 s9, s19, s17
	s_delay_alu instid0(SALU_CYCLE_1) | instskip(NEXT) | instid1(SALU_CYCLE_1)
	s_xor_b32 s9, s9, s3
	s_sub_i32 s18, s9, s3
	s_delay_alu instid0(SALU_CYCLE_1) | instskip(SKIP_3) | instid1(VALU_DEP_1)
	s_abs_i32 s3, s18
	s_ashr_i32 s19, s18, 31
	v_cvt_f32_u32_e32 v1, s3
	s_sub_i32 s9, 0, s3
	v_rcp_iflag_f32_e32 v1, v1
	s_waitcnt_depctr 0xfff
	v_mul_f32_e32 v1, 0x4f7ffffe, v1
	s_delay_alu instid0(VALU_DEP_1) | instskip(NEXT) | instid1(VALU_DEP_1)
	v_cvt_u32_f32_e32 v1, v1
	v_mul_lo_u32 v2, s9, v1
	s_ashr_i32 s9, s8, 31
	s_delay_alu instid0(VALU_DEP_1) | instskip(NEXT) | instid1(VALU_DEP_1)
	v_mul_hi_u32 v2, v1, v2
	v_add_nc_u32_e32 v1, v1, v2
	s_delay_alu instid0(VALU_DEP_1) | instskip(NEXT) | instid1(VALU_DEP_1)
	v_mul_hi_u32 v1, v0, v1
	v_mul_lo_u32 v2, v1, s3
	v_add_nc_u32_e32 v3, 1, v1
	s_delay_alu instid0(VALU_DEP_2) | instskip(NEXT) | instid1(VALU_DEP_1)
	v_sub_nc_u32_e32 v2, v0, v2
	v_subrev_nc_u32_e32 v4, s3, v2
	v_cmp_le_u32_e32 vcc_lo, s3, v2
	s_delay_alu instid0(VALU_DEP_2) | instskip(NEXT) | instid1(VALU_DEP_1)
	v_dual_cndmask_b32 v1, v1, v3 :: v_dual_cndmask_b32 v2, v2, v4
	v_dual_mov_b32 v4, 0 :: v_dual_add_nc_u32 v3, 1, v1
	s_delay_alu instid0(VALU_DEP_2) | instskip(SKIP_2) | instid1(VALU_DEP_1)
	v_cmp_le_u32_e32 vcc_lo, s3, v2
	ds_load_b32 v28, v4 offset:4224
	v_cndmask_b32_e32 v1, v1, v3, vcc_lo
	v_xor_b32_e32 v1, s19, v1
	s_delay_alu instid0(VALU_DEP_1) | instskip(NEXT) | instid1(VALU_DEP_1)
	v_subrev_nc_u32_e32 v1, s19, v1
	v_ashrrev_i32_e32 v2, 31, v1
	v_mul_lo_u32 v3, v1, s18
	s_delay_alu instid0(VALU_DEP_2) | instskip(NEXT) | instid1(VALU_DEP_2)
	v_lshlrev_b64 v[7:8], 5, v[1:2]
	v_sub_nc_u32_e32 v3, v0, v3
	s_delay_alu instid0(VALU_DEP_2) | instskip(NEXT) | instid1(VALU_DEP_3)
	v_add_co_u32 v5, vcc_lo, v7, 32
	v_add_co_ci_u32_e32 v6, vcc_lo, 0, v8, vcc_lo
	s_delay_alu instid0(VALU_DEP_1) | instskip(SKIP_4) | instid1(VALU_DEP_3)
	v_cmp_gt_i64_e32 vcc_lo, s[8:9], v[5:6]
	v_cndmask_b32_e32 v6, s9, v6, vcc_lo
	v_cndmask_b32_e32 v5, s8, v5, vcc_lo
	v_add_co_u32 v7, vcc_lo, v7, v3
	v_add_co_ci_u32_e32 v8, vcc_lo, 0, v8, vcc_lo
	v_ashrrev_i32_e32 v10, 31, v5
	v_mov_b32_e32 v9, v5
	s_mov_b32 s9, exec_lo
	s_delay_alu instid0(VALU_DEP_1)
	v_cmpx_lt_i64_e64 v[7:8], v[9:10]
	s_cbranch_execz .LBB27_26
; %bb.17:
	v_lshlrev_b64 v[11:12], 9, v[1:2]
	v_lshlrev_b64 v[13:14], 4, v[3:4]
	v_mov_b32_e32 v4, 0
	s_lshl_b64 s[20:21], s[18:19], 6
	s_mul_hi_i32 s17, s18, 3
	s_mul_i32 s28, s18, 3
	s_lshl_b64 s[22:23], s[18:19], 1
	v_add_co_u32 v19, vcc_lo, v11, v13
	v_add_co_ci_u32_e32 v20, vcc_lo, v12, v14, vcc_lo
	v_dual_mov_b32 v12, v8 :: v_dual_mov_b32 v11, v7
	s_lshl_b64 s[24:25], s[18:19], 4
	s_mov_b32 s29, 0
                                        ; implicit-def: $sgpr30
	s_branch .LBB27_21
.LBB27_18:                              ;   in Loop: Header=BB27_21 Depth=1
	s_or_b32 exec_lo, exec_lo, s34
	s_delay_alu instid0(SALU_CYCLE_1)
	s_or_not1_b32 s3, s3, exec_lo
.LBB27_19:                              ;   in Loop: Header=BB27_21 Depth=1
	s_or_b32 exec_lo, exec_lo, s33
	s_delay_alu instid0(SALU_CYCLE_1) | instskip(SKIP_1) | instid1(SALU_CYCLE_1)
	s_and_not1_b32 s30, s30, exec_lo
	s_and_b32 s3, s3, exec_lo
	s_or_b32 s30, s30, s3
.LBB27_20:                              ;   in Loop: Header=BB27_21 Depth=1
	s_or_b32 exec_lo, exec_lo, s31
	s_delay_alu instid0(SALU_CYCLE_1) | instskip(NEXT) | instid1(SALU_CYCLE_1)
	s_and_b32 s3, exec_lo, s30
	s_or_b32 s29, s3, s29
	s_delay_alu instid0(SALU_CYCLE_1)
	s_and_not1_b32 exec_lo, exec_lo, s29
	s_cbranch_execz .LBB27_25
.LBB27_21:                              ; =>This Inner Loop Header: Depth=1
	v_add_co_u32 v15, vcc_lo, s14, v19
	v_add_co_ci_u32_e32 v16, vcc_lo, s26, v20, vcc_lo
	v_add_co_u32 v17, vcc_lo, s10, v19
	v_add_co_ci_u32_e32 v18, vcc_lo, s11, v20, vcc_lo
	s_or_b32 s30, s30, exec_lo
	global_load_b128 v[21:24], v[15:16], off
	global_load_b128 v[29:32], v[17:18], off
	s_mov_b32 s31, exec_lo
	s_waitcnt vmcnt(1) lgkmcnt(0)
	v_mul_f32_e32 v14, v28, v22
	v_mul_f32_e32 v13, v28, v21
	;; [unrolled: 1-line block ×3, first 2 shown]
	s_waitcnt vmcnt(0)
	s_delay_alu instid0(VALU_DEP_3) | instskip(NEXT) | instid1(VALU_DEP_2)
	v_dual_mul_f32 v21, v28, v23 :: v_dual_mul_f32 v24, v14, v30
	v_dual_mul_f32 v23, v13, v29 :: v_dual_mul_f32 v22, v22, v32
	s_delay_alu instid0(VALU_DEP_2) | instskip(SKIP_1) | instid1(VALU_DEP_3)
	v_mul_f32_e32 v21, v21, v31
	v_add_co_u32 v13, vcc_lo, v11, s18
	v_max3_f32 v4, v4, |v23|, |v24|
	v_add_co_ci_u32_e32 v14, vcc_lo, s19, v12, vcc_lo
	s_delay_alu instid0(VALU_DEP_2) | instskip(NEXT) | instid1(VALU_DEP_2)
	v_max3_f32 v4, v4, |v21|, |v22|
	v_cmpx_lt_i64_e64 v[13:14], v[9:10]
	s_cbranch_execz .LBB27_20
; %bb.22:                               ;   in Loop: Header=BB27_21 Depth=1
	v_add_co_u32 v15, vcc_lo, v15, s24
	v_add_co_ci_u32_e32 v16, vcc_lo, s25, v16, vcc_lo
	v_add_co_u32 v17, vcc_lo, v17, s24
	v_add_co_ci_u32_e32 v18, vcc_lo, s25, v18, vcc_lo
	s_mov_b32 s3, -1
	global_load_b128 v[21:24], v[15:16], off
	global_load_b128 v[29:32], v[17:18], off
	s_mov_b32 s33, exec_lo
	s_waitcnt vmcnt(1)
	v_mul_f32_e32 v22, v28, v22
	v_mul_f32_e32 v21, v28, v21
	;; [unrolled: 1-line block ×4, first 2 shown]
	s_waitcnt vmcnt(0)
	s_delay_alu instid0(VALU_DEP_3) | instskip(NEXT) | instid1(VALU_DEP_2)
	v_dual_mul_f32 v26, v22, v30 :: v_dual_mul_f32 v25, v21, v29
	v_dual_mul_f32 v23, v23, v31 :: v_dual_mul_f32 v24, v24, v32
	v_add_co_u32 v21, vcc_lo, s22, v11
	s_delay_alu instid0(VALU_DEP_3) | instskip(SKIP_1) | instid1(VALU_DEP_2)
	v_max3_f32 v4, v4, |v25|, |v26|
	v_add_co_ci_u32_e32 v22, vcc_lo, s23, v12, vcc_lo
	v_max3_f32 v4, v4, |v23|, |v24|
	s_delay_alu instid0(VALU_DEP_2)
	v_cmpx_lt_i64_e64 v[21:22], v[9:10]
	s_cbranch_execz .LBB27_19
; %bb.23:                               ;   in Loop: Header=BB27_21 Depth=1
	v_add_co_u32 v15, vcc_lo, v15, s24
	v_add_co_ci_u32_e32 v16, vcc_lo, s25, v16, vcc_lo
	v_add_co_u32 v17, vcc_lo, v17, s24
	v_add_co_ci_u32_e32 v18, vcc_lo, s25, v18, vcc_lo
	v_add_co_u32 v11, vcc_lo, s28, v11
	global_load_b128 v[21:24], v[15:16], off
	global_load_b128 v[29:32], v[17:18], off
	v_add_co_ci_u32_e32 v12, vcc_lo, s17, v12, vcc_lo
	s_delay_alu instid0(VALU_DEP_1)
	v_cmp_lt_i64_e32 vcc_lo, v[11:12], v[9:10]
                                        ; implicit-def: $vgpr11_vgpr12
	s_waitcnt vmcnt(1)
	v_mul_f32_e32 v22, v28, v22
	v_mul_f32_e32 v21, v28, v21
	;; [unrolled: 1-line block ×4, first 2 shown]
	s_waitcnt vmcnt(0)
	s_delay_alu instid0(VALU_DEP_3) | instskip(NEXT) | instid1(VALU_DEP_3)
	v_dual_mul_f32 v22, v22, v30 :: v_dual_mul_f32 v21, v21, v29
	v_mul_f32_e32 v23, v23, v31
	s_delay_alu instid0(VALU_DEP_2) | instskip(SKIP_1) | instid1(VALU_DEP_1)
	v_max3_f32 v4, v4, |v21|, |v22|
	v_mul_f32_e32 v21, v24, v32
	v_max3_f32 v4, v4, |v23|, |v21|
	s_and_saveexec_b32 s34, vcc_lo
	s_delay_alu instid0(SALU_CYCLE_1)
	s_xor_b32 s34, exec_lo, s34
	s_cbranch_execz .LBB27_18
; %bb.24:                               ;   in Loop: Header=BB27_21 Depth=1
	v_add_co_u32 v11, vcc_lo, v15, s24
	v_add_co_ci_u32_e32 v12, vcc_lo, s25, v16, vcc_lo
	v_add_co_u32 v21, vcc_lo, v17, s24
	v_add_co_ci_u32_e32 v22, vcc_lo, s25, v18, vcc_lo
	s_add_u32 s3, s18, s18
	global_load_b128 v[15:18], v[11:12], off
	global_load_b128 v[21:24], v[21:22], off
	s_addc_u32 s35, s19, s19
	s_add_u32 s3, s3, s18
	s_addc_u32 s35, s35, s19
	s_waitcnt vmcnt(1)
	v_mul_f32_e32 v11, v28, v15
	v_mul_f32_e32 v12, v28, v16
	;; [unrolled: 1-line block ×3, first 2 shown]
	s_waitcnt vmcnt(0)
	s_delay_alu instid0(VALU_DEP_3) | instskip(NEXT) | instid1(VALU_DEP_3)
	v_dual_mul_f32 v16, v28, v18 :: v_dual_mul_f32 v17, v11, v21
	v_mul_f32_e32 v18, v12, v22
	v_add_co_u32 v11, vcc_lo, s3, v13
	v_mul_f32_e32 v13, v15, v23
	v_add_co_ci_u32_e32 v12, vcc_lo, s35, v14, vcc_lo
	v_mul_f32_e32 v14, v16, v24
	v_max3_f32 v4, v4, |v17|, |v18|
	v_add_co_u32 v19, s3, v19, s20
	s_delay_alu instid0(VALU_DEP_4) | instskip(SKIP_1) | instid1(VALU_DEP_4)
	v_cmp_ge_i64_e32 vcc_lo, v[11:12], v[9:10]
	v_add_co_ci_u32_e64 v20, s3, s21, v20, s3
	v_max3_f32 v4, v4, |v13|, |v14|
	s_or_not1_b32 s3, vcc_lo, exec_lo
	s_branch .LBB27_18
.LBB27_25:
	s_or_b32 exec_lo, exec_lo, s29
.LBB27_26:
	s_delay_alu instid0(SALU_CYCLE_1)
	s_or_b32 exec_lo, exec_lo, s9
	s_lshr_b32 s9, s27, 5
	v_lshlrev_b32_e32 v29, 2, v0
	v_cvt_f32_u32_e32 v9, s9
	s_sub_i32 s17, 0, s9
	s_add_i32 s20, s16, s9
	s_delay_alu instid0(SALU_CYCLE_1) | instskip(NEXT) | instid1(VALU_DEP_1)
	s_add_i32 s20, s20, -1
	v_rcp_iflag_f32_e32 v9, v9
	s_abs_i32 s21, s20
	s_ashr_i32 s20, s20, 31
	ds_store_b32 v29, v4
	s_waitcnt lgkmcnt(0)
	s_barrier
	buffer_gl0_inv
	v_mul_f32_e32 v9, 0x4f7ffffe, v9
	s_delay_alu instid0(VALU_DEP_1) | instskip(NEXT) | instid1(VALU_DEP_1)
	v_cvt_u32_f32_e32 v9, v9
	v_readfirstlane_b32 s3, v9
	s_delay_alu instid0(VALU_DEP_1) | instskip(NEXT) | instid1(SALU_CYCLE_1)
	s_mul_i32 s17, s17, s3
	s_mul_hi_u32 s17, s3, s17
	s_delay_alu instid0(SALU_CYCLE_1) | instskip(SKIP_2) | instid1(SALU_CYCLE_1)
	s_add_i32 s3, s3, s17
	s_ashr_i32 s17, s16, 31
	s_mul_hi_u32 s3, s21, s3
	s_mul_i32 s22, s3, s9
	s_delay_alu instid0(SALU_CYCLE_1)
	s_sub_i32 s21, s21, s22
	s_add_i32 s22, s3, 1
	s_sub_i32 s23, s21, s9
	s_cmp_ge_u32 s21, s9
	s_cselect_b32 s3, s22, s3
	s_cselect_b32 s21, s23, s21
	s_add_i32 s22, s3, 1
	s_cmp_ge_u32 s21, s9
	s_cselect_b32 s3, s22, s3
	s_delay_alu instid0(SALU_CYCLE_1) | instskip(NEXT) | instid1(SALU_CYCLE_1)
	s_xor_b32 s3, s3, s20
	s_sub_i32 s20, s3, s20
	s_delay_alu instid0(SALU_CYCLE_1) | instskip(NEXT) | instid1(SALU_CYCLE_1)
	s_ashr_i32 s21, s20, 31
	v_cmp_lt_i64_e64 s3, s[20:21], 1
	s_delay_alu instid0(VALU_DEP_1)
	s_and_b32 vcc_lo, exec_lo, s3
	s_cbranch_vccnz .LBB27_46
; %bb.27:
	v_lshrrev_b32_e32 v9, 5, v0
	v_and_b32_e32 v4, 31, v0
	s_mov_b64 s[22:23], 0
	s_mov_b64 s[24:25], src_shared_base
	s_delay_alu instid0(VALU_DEP_2) | instskip(NEXT) | instid1(VALU_DEP_2)
	v_mul_lo_u32 v19, s18, v9
	v_add_co_u32 v11, s3, v4, 16
	s_delay_alu instid0(VALU_DEP_1) | instskip(SKIP_1) | instid1(VALU_DEP_1)
	v_add_co_ci_u32_e64 v12, null, 0, 0, s3
	v_add_co_u32 v13, s3, v4, 8
	v_add_co_ci_u32_e64 v14, null, 0, 0, s3
	v_add_co_u32 v15, s3, v4, 4
	v_dual_mov_b32 v10, 0 :: v_dual_lshlrev_b32 v21, 2, v19
	v_lshlrev_b32_e32 v22, 2, v4
	v_add_co_ci_u32_e64 v16, null, 0, 0, s3
	v_add_co_u32 v17, s3, v4, 2
	s_delay_alu instid0(VALU_DEP_1) | instskip(SKIP_1) | instid1(VALU_DEP_1)
	v_add_co_ci_u32_e64 v18, null, 0, 0, s3
	v_add_co_u32 v19, s3, v4, 1
	v_add_co_ci_u32_e64 v20, null, 0, 0, s3
	v_add3_u32 v30, v21, v22, 0x80
	s_mul_i32 s3, s18, s9
	s_delay_alu instid0(SALU_CYCLE_1)
	s_lshl_b32 s28, s3, 2
	s_branch .LBB27_30
.LBB27_28:                              ;   in Loop: Header=BB27_30 Depth=1
	s_or_b32 exec_lo, exec_lo, s3
	v_mov_b32_e32 v22, s25
	flat_load_b32 v21, v[21:22] glc dlc
	s_waitcnt vmcnt(0)
.LBB27_29:                              ;   in Loop: Header=BB27_30 Depth=1
	s_or_b32 exec_lo, exec_lo, s24
	s_add_u32 s22, s22, 1
	v_add_nc_u32_e32 v30, s28, v30
	s_addc_u32 s23, s23, 0
	s_delay_alu instid0(SALU_CYCLE_1)
	s_cmp_eq_u64 s[22:23], s[20:21]
	s_cbranch_scc1 .LBB27_46
.LBB27_30:                              ; =>This Loop Header: Depth=1
                                        ;     Child Loop BB27_33 Depth 2
	s_waitcnt lgkmcnt(0)
	v_mad_u64_u32 v[21:22], null, s22, s9, v[9:10]
	s_mov_b32 s24, exec_lo
	s_delay_alu instid0(VALU_DEP_1) | instskip(NEXT) | instid1(VALU_DEP_1)
	v_mad_u64_u32 v[23:24], null, s23, s9, v[22:23]
	v_mov_b32_e32 v22, v23
	s_delay_alu instid0(VALU_DEP_1)
	v_cmpx_gt_i64_e64 s[16:17], v[21:22]
	s_cbranch_execz .LBB27_29
; %bb.31:                               ;   in Loop: Header=BB27_30 Depth=1
	v_mul_lo_u32 v24, v22, s18
	v_mul_lo_u32 v25, v21, s19
	v_mad_u64_u32 v[22:23], null, v21, s18, 0
	s_delay_alu instid0(VALU_DEP_1) | instskip(NEXT) | instid1(VALU_DEP_2)
	v_add3_u32 v23, v23, v25, v24
	v_add_co_u32 v24, vcc_lo, v22, s18
	v_add_co_u32 v31, s3, v22, v4
	s_delay_alu instid0(VALU_DEP_3) | instskip(SKIP_2) | instid1(VALU_DEP_2)
	v_add_co_ci_u32_e32 v25, vcc_lo, s19, v23, vcc_lo
	v_add_co_ci_u32_e64 v21, s3, 0, v23, s3
	s_mov_b32 s3, exec_lo
	v_cmp_gt_i64_e32 vcc_lo, s[12:13], v[24:25]
	v_cndmask_b32_e32 v25, s13, v25, vcc_lo
	v_cndmask_b32_e32 v24, s12, v24, vcc_lo
	v_add_co_u32 v26, vcc_lo, v31, 32
	v_add_co_ci_u32_e32 v27, vcc_lo, 0, v21, vcc_lo
	v_lshlrev_b32_e32 v21, 2, v31
	s_delay_alu instid0(VALU_DEP_2)
	v_cmpx_lt_i64_e64 v[26:27], v[24:25]
	s_cbranch_execz .LBB27_34
; %bb.32:                               ;   in Loop: Header=BB27_30 Depth=1
	ds_load_b32 v33, v21
	v_mov_b32_e32 v32, v30
	s_mov_b32 s29, 0
.LBB27_33:                              ;   Parent Loop BB27_30 Depth=1
                                        ; =>  This Inner Loop Header: Depth=2
	ds_load_b32 v34, v32
	v_add_co_u32 v26, vcc_lo, v26, 32
	v_add_co_ci_u32_e32 v27, vcc_lo, 0, v27, vcc_lo
	s_waitcnt lgkmcnt(1)
	v_dual_max_f32 v33, v33, v33 :: v_dual_add_nc_u32 v32, 0x80, v32
	s_delay_alu instid0(VALU_DEP_2) | instskip(SKIP_3) | instid1(VALU_DEP_1)
	v_cmp_ge_i64_e32 vcc_lo, v[26:27], v[24:25]
	s_or_b32 s29, vcc_lo, s29
	s_waitcnt lgkmcnt(0)
	v_max_f32_e32 v34, v34, v34
	v_max_f32_e32 v33, v33, v34
	ds_store_b32 v21, v33
	s_and_not1_b32 exec_lo, exec_lo, s29
	s_cbranch_execnz .LBB27_33
.LBB27_34:                              ;   in Loop: Header=BB27_30 Depth=1
	s_or_b32 exec_lo, exec_lo, s3
	v_sub_co_u32 v22, vcc_lo, v24, v22
	v_sub_co_ci_u32_e32 v23, vcc_lo, v25, v23, vcc_lo
	s_mov_b32 s3, exec_lo
	s_delay_alu instid0(VALU_DEP_1) | instskip(SKIP_1) | instid1(VALU_DEP_1)
	v_cmp_gt_i64_e32 vcc_lo, 32, v[22:23]
	v_dual_cndmask_b32 v24, 0, v23 :: v_dual_cndmask_b32 v23, 32, v22
	v_cmpx_lt_i64_e64 v[11:12], v[23:24]
	s_cbranch_execz .LBB27_36
; %bb.35:                               ;   in Loop: Header=BB27_30 Depth=1
	v_dual_mov_b32 v22, s25 :: v_dual_add_nc_u32 v25, 64, v21
	v_mov_b32_e32 v26, s25
	flat_load_b32 v27, v[21:22] glc dlc
	s_waitcnt vmcnt(0)
	flat_load_b32 v25, v[25:26] glc dlc
	s_waitcnt vmcnt(0) lgkmcnt(0)
	v_dual_max_f32 v26, v27, v27 :: v_dual_max_f32 v25, v25, v25
	s_delay_alu instid0(VALU_DEP_1)
	v_max_f32_e32 v25, v26, v25
	flat_store_b32 v[21:22], v25 dlc
	s_waitcnt_vscnt null, 0x0
.LBB27_36:                              ;   in Loop: Header=BB27_30 Depth=1
	s_or_b32 exec_lo, exec_lo, s3
	s_delay_alu instid0(SALU_CYCLE_1)
	s_mov_b32 s3, exec_lo
	v_cmpx_lt_i64_e64 v[13:14], v[23:24]
	s_cbranch_execz .LBB27_38
; %bb.37:                               ;   in Loop: Header=BB27_30 Depth=1
	v_dual_mov_b32 v22, s25 :: v_dual_add_nc_u32 v25, 32, v21
	v_mov_b32_e32 v26, s25
	flat_load_b32 v27, v[21:22] glc dlc
	s_waitcnt vmcnt(0)
	flat_load_b32 v25, v[25:26] glc dlc
	s_waitcnt vmcnt(0) lgkmcnt(0)
	v_dual_max_f32 v26, v27, v27 :: v_dual_max_f32 v25, v25, v25
	s_delay_alu instid0(VALU_DEP_1)
	v_max_f32_e32 v25, v26, v25
	flat_store_b32 v[21:22], v25 dlc
	s_waitcnt_vscnt null, 0x0
.LBB27_38:                              ;   in Loop: Header=BB27_30 Depth=1
	s_or_b32 exec_lo, exec_lo, s3
	s_delay_alu instid0(SALU_CYCLE_1)
	s_mov_b32 s3, exec_lo
	v_cmpx_ge_i64_e64 v[15:16], v[23:24]
	s_xor_b32 s3, exec_lo, s3
; %bb.39:                               ;   in Loop: Header=BB27_30 Depth=1
                                        ; implicit-def: $vgpr21
; %bb.40:                               ;   in Loop: Header=BB27_30 Depth=1
	s_delay_alu instid0(SALU_CYCLE_1)
	s_and_not1_saveexec_b32 s3, s3
	s_cbranch_execz .LBB27_42
; %bb.41:                               ;   in Loop: Header=BB27_30 Depth=1
	v_dual_mov_b32 v22, s25 :: v_dual_add_nc_u32 v25, 16, v21
	v_mov_b32_e32 v26, s25
	flat_load_b32 v27, v[21:22] glc dlc
	s_waitcnt vmcnt(0)
	flat_load_b32 v25, v[25:26] glc dlc
	s_waitcnt vmcnt(0) lgkmcnt(0)
	v_dual_max_f32 v26, v27, v27 :: v_dual_max_f32 v25, v25, v25
	s_delay_alu instid0(VALU_DEP_1)
	v_max_f32_e32 v25, v26, v25
	flat_store_b32 v[21:22], v25 dlc
	s_waitcnt_vscnt null, 0x0
.LBB27_42:                              ;   in Loop: Header=BB27_30 Depth=1
	s_or_b32 exec_lo, exec_lo, s3
	v_lshlrev_b32_e32 v21, 2, v31
	s_mov_b32 s3, exec_lo
	v_cmpx_lt_i64_e64 v[17:18], v[23:24]
	s_cbranch_execz .LBB27_44
; %bb.43:                               ;   in Loop: Header=BB27_30 Depth=1
	s_delay_alu instid0(VALU_DEP_2)
	v_dual_mov_b32 v22, s25 :: v_dual_add_nc_u32 v25, 8, v21
	v_mov_b32_e32 v26, s25
	flat_load_b32 v27, v[21:22] glc dlc
	s_waitcnt vmcnt(0)
	flat_load_b32 v25, v[25:26] glc dlc
	s_waitcnt vmcnt(0) lgkmcnt(0)
	v_dual_max_f32 v26, v27, v27 :: v_dual_max_f32 v25, v25, v25
	s_delay_alu instid0(VALU_DEP_1)
	v_max_f32_e32 v25, v26, v25
	flat_store_b32 v[21:22], v25 dlc
	s_waitcnt_vscnt null, 0x0
.LBB27_44:                              ;   in Loop: Header=BB27_30 Depth=1
	s_or_b32 exec_lo, exec_lo, s3
	s_delay_alu instid0(SALU_CYCLE_1)
	s_mov_b32 s3, exec_lo
	v_cmpx_lt_i64_e64 v[19:20], v[23:24]
	s_cbranch_execz .LBB27_28
; %bb.45:                               ;   in Loop: Header=BB27_30 Depth=1
	v_dual_mov_b32 v22, s25 :: v_dual_add_nc_u32 v23, 4, v21
	v_mov_b32_e32 v24, s25
	flat_load_b32 v25, v[21:22] glc dlc
	s_waitcnt vmcnt(0)
	flat_load_b32 v23, v[23:24] glc dlc
	s_waitcnt vmcnt(0) lgkmcnt(0)
	v_dual_max_f32 v24, v25, v25 :: v_dual_max_f32 v23, v23, v23
	s_delay_alu instid0(VALU_DEP_1)
	v_max_f32_e32 v23, v24, v23
	flat_store_b32 v[21:22], v23 dlc
	s_waitcnt_vscnt null, 0x0
	s_branch .LBB27_28
.LBB27_46:
	v_cmp_lt_i64_e32 vcc_lo, v[7:8], v[5:6]
	v_cmp_eq_u32_e64 s3, 0, v3
	s_mul_i32 s9, s17, s15
	s_mul_hi_u32 s18, s16, s15
	s_mul_i32 s16, s16, s15
	s_waitcnt lgkmcnt(0)
	s_and_b32 s17, s3, vcc_lo
	s_barrier
	buffer_gl0_inv
	s_and_saveexec_b32 s3, s17
	s_cbranch_execz .LBB27_50
; %bb.47:
	s_load_b64 s[0:1], s[0:1], 0x20
	ds_load_b32 v3, v29
	s_waitcnt lgkmcnt(0)
	s_cmp_eq_u64 s[0:1], 0
	s_cbranch_scc1 .LBB27_49
; %bb.48:
	s_load_b32 s0, s[0:1], 0x0
	v_max_f32_e32 v3, v3, v3
	s_waitcnt lgkmcnt(0)
	v_max_f32_e64 v4, s0, s0
	s_delay_alu instid0(VALU_DEP_1)
	v_min_f32_e32 v3, v3, v4
.LBB27_49:
	s_delay_alu instid0(VALU_DEP_1) | instskip(SKIP_2) | instid1(VALU_DEP_2)
	v_div_scale_f32 v4, null, 0x43e00000, 0x43e00000, v3
	v_div_scale_f32 v7, vcc_lo, v3, 0x43e00000, v3
	s_add_i32 s17, s18, s9
	v_rcp_f32_e32 v5, v4
	v_lshlrev_b64 v[1:2], 2, v[1:2]
	s_lshl_b64 s[0:1], s[16:17], 2
	s_delay_alu instid0(SALU_CYCLE_1) | instskip(SKIP_3) | instid1(VALU_DEP_1)
	s_add_u32 s0, s6, s0
	s_addc_u32 s1, s7, s1
	s_waitcnt_depctr 0xfff
	v_fma_f32 v6, -v4, v5, 1.0
	v_fmac_f32_e32 v5, v6, v5
	s_delay_alu instid0(VALU_DEP_1) | instskip(NEXT) | instid1(VALU_DEP_1)
	v_mul_f32_e32 v6, v7, v5
	v_fma_f32 v8, -v4, v6, v7
	s_delay_alu instid0(VALU_DEP_1) | instskip(NEXT) | instid1(VALU_DEP_1)
	v_fmac_f32_e32 v6, v8, v5
	v_fma_f32 v4, -v4, v6, v7
	s_delay_alu instid0(VALU_DEP_1) | instskip(SKIP_2) | instid1(VALU_DEP_3)
	v_div_fmas_f32 v4, v4, v5, v6
	v_add_co_u32 v1, vcc_lo, s0, v1
	v_add_co_ci_u32_e32 v2, vcc_lo, s1, v2, vcc_lo
	v_div_fixup_f32 v3, v4, 0x43e00000, v3
	s_delay_alu instid0(VALU_DEP_1)
	v_max_f32_e32 v3, 0x36924925, v3
	global_store_b32 v[1:2], v3, off
.LBB27_50:
	s_or_b32 exec_lo, exec_lo, s3
	s_waitcnt_vscnt null, 0x0
	s_barrier
	buffer_gl0_inv
	s_and_saveexec_b32 s0, s2
	s_cbranch_execz .LBB27_155
; %bb.51:
	s_mul_i32 s0, s13, s15
	s_mul_hi_u32 s1, s12, s15
	s_mul_i32 s2, s12, s15
	s_add_i32 s1, s1, s0
	s_add_u32 s2, s4, s2
	s_addc_u32 s3, s5, s1
	s_add_i32 s17, s18, s9
	v_mov_b32_e32 v1, 0
	s_lshl_b64 s[0:1], s[16:17], 2
	s_mul_i32 s4, s27, 3
	s_add_u32 s0, s6, s0
	s_addc_u32 s1, s7, s1
	s_lshl_b32 s5, s27, 1
	s_mov_b32 s6, 0
	s_mov_b32 s7, 0x43e00000
	s_add_i32 s9, s27, s27
	s_branch .LBB27_57
.LBB27_52:                              ;   in Loop: Header=BB27_57 Depth=1
	s_or_b32 exec_lo, exec_lo, s17
.LBB27_53:                              ;   in Loop: Header=BB27_57 Depth=1
	s_delay_alu instid0(SALU_CYCLE_1)
	s_or_b32 exec_lo, exec_lo, s16
	v_lshrrev_b32_e32 v8, 24, v8
	v_lshrrev_b32_e32 v3, 24, v3
	;; [unrolled: 1-line block ×3, first 2 shown]
	v_lshlrev_b32_e32 v4, 24, v4
	v_and_b32_e32 v5, 0x80000000, v5
	v_and_b32_e32 v8, 0x80, v8
	;; [unrolled: 1-line block ×4, first 2 shown]
	s_delay_alu instid0(VALU_DEP_3) | instskip(NEXT) | instid1(VALU_DEP_3)
	v_and_or_b32 v7, 0xff, v7, v8
	v_and_or_b32 v8, 0xff, v2, v3
	v_lshlrev_b64 v[2:3], 2, v[0:1]
	v_add3_u32 v0, s9, s27, v10
	v_and_or_b32 v6, 0x80, v9, v6
	v_lshlrev_b32_e32 v7, 16, v7
	v_lshlrev_b32_e32 v8, 8, v8
	v_add_co_u32 v2, vcc_lo, s2, v2
	s_delay_alu instid0(VALU_DEP_3) | instskip(SKIP_2) | instid1(VALU_DEP_3)
	v_or3_b32 v4, v5, v4, v7
	v_add_co_ci_u32_e32 v3, vcc_lo, s3, v3, vcc_lo
	v_cmp_le_u32_e32 vcc_lo, s8, v0
	v_or3_b32 v4, v4, v8, v6
	s_or_not1_b32 s16, vcc_lo, exec_lo
	global_store_b32 v[2:3], v4, off
.LBB27_54:                              ;   in Loop: Header=BB27_57 Depth=1
	s_or_b32 exec_lo, exec_lo, s15
	s_delay_alu instid0(SALU_CYCLE_1)
	s_or_not1_b32 s15, s16, exec_lo
.LBB27_55:                              ;   in Loop: Header=BB27_57 Depth=1
	s_or_b32 exec_lo, exec_lo, s13
	s_delay_alu instid0(SALU_CYCLE_1)
	s_or_not1_b32 s13, s15, exec_lo
.LBB27_56:                              ;   in Loop: Header=BB27_57 Depth=1
	s_or_b32 exec_lo, exec_lo, s12
	s_delay_alu instid0(SALU_CYCLE_1) | instskip(NEXT) | instid1(SALU_CYCLE_1)
	s_and_b32 s12, exec_lo, s13
	s_or_b32 s6, s12, s6
	s_delay_alu instid0(SALU_CYCLE_1)
	s_and_not1_b32 exec_lo, exec_lo, s6
	s_cbranch_execz .LBB27_155
.LBB27_57:                              ; =>This Inner Loop Header: Depth=1
	v_lshlrev_b64 v[2:3], 4, v[0:1]
	v_lshrrev_b32_e32 v8, 3, v0
	s_mov_b32 s12, exec_lo
	s_delay_alu instid0(VALU_DEP_1) | instskip(NEXT) | instid1(VALU_DEP_3)
	v_and_b32_e32 v10, 0x7fffffc, v8
	v_add_co_u32 v4, vcc_lo, s14, v2
	s_delay_alu instid0(VALU_DEP_4)
	v_add_co_ci_u32_e32 v5, vcc_lo, s26, v3, vcc_lo
	v_add_co_u32 v6, vcc_lo, s10, v2
	v_add_co_ci_u32_e32 v7, vcc_lo, s11, v3, vcc_lo
	global_load_b128 v[2:5], v[4:5], off
	global_load_b128 v[6:9], v[6:7], off
	global_load_b32 v11, v10, s[0:1]
	s_waitcnt vmcnt(2)
	v_mul_f32_e32 v2, v28, v2
	s_waitcnt vmcnt(1)
	s_delay_alu instid0(VALU_DEP_1) | instskip(SKIP_1) | instid1(VALU_DEP_1)
	v_mul_f32_e32 v2, v2, v6
	s_waitcnt vmcnt(0)
	v_div_scale_f32 v6, null, v11, v11, v2
	v_div_scale_f32 v13, vcc_lo, v2, v11, v2
	s_delay_alu instid0(VALU_DEP_2) | instskip(SKIP_2) | instid1(VALU_DEP_1)
	v_rcp_f32_e32 v10, v6
	s_waitcnt_depctr 0xfff
	v_fma_f32 v12, -v6, v10, 1.0
	v_fmac_f32_e32 v10, v12, v10
	s_delay_alu instid0(VALU_DEP_1) | instskip(NEXT) | instid1(VALU_DEP_1)
	v_mul_f32_e32 v12, v13, v10
	v_fma_f32 v14, -v6, v12, v13
	s_delay_alu instid0(VALU_DEP_1) | instskip(NEXT) | instid1(VALU_DEP_1)
	v_fmac_f32_e32 v12, v14, v10
	v_fma_f32 v6, -v6, v12, v13
	s_delay_alu instid0(VALU_DEP_1) | instskip(NEXT) | instid1(VALU_DEP_1)
	v_div_fmas_f32 v6, v6, v10, v12
	v_div_fixup_f32 v2, v6, v11, v2
	v_mov_b32_e32 v6, 0x7f
	s_delay_alu instid0(VALU_DEP_2) | instskip(SKIP_1) | instid1(VALU_DEP_2)
	v_minmax_f32 v10, v2, s7, 0xc3e00000
	v_mov_b32_e32 v2, 0x7f
	v_and_b32_e32 v12, 0x7fffffff, v10
	s_delay_alu instid0(VALU_DEP_1)
	v_cmpx_gt_u32_e32 0x43f00000, v12
	s_cbranch_execz .LBB27_63
; %bb.58:                               ;   in Loop: Header=BB27_57 Depth=1
	s_mov_b32 s13, exec_lo
                                        ; implicit-def: $vgpr6
	v_cmpx_lt_u32_e32 0x3c7fffff, v12
	s_xor_b32 s13, exec_lo, s13
; %bb.59:                               ;   in Loop: Header=BB27_57 Depth=1
	v_bfe_u32 v6, v10, 20, 1
	s_delay_alu instid0(VALU_DEP_1) | instskip(NEXT) | instid1(VALU_DEP_1)
	v_add3_u32 v6, v10, v6, 0x407ffff
	v_lshrrev_b32_e32 v6, 20, v6
; %bb.60:                               ;   in Loop: Header=BB27_57 Depth=1
	s_and_not1_saveexec_b32 s13, s13
; %bb.61:                               ;   in Loop: Header=BB27_57 Depth=1
	v_add_f32_e64 v6, 0x46800000, |v10|
; %bb.62:                               ;   in Loop: Header=BB27_57 Depth=1
	s_or_b32 exec_lo, exec_lo, s13
.LBB27_63:                              ;   in Loop: Header=BB27_57 Depth=1
	s_delay_alu instid0(SALU_CYCLE_1) | instskip(SKIP_2) | instid1(VALU_DEP_1)
	s_or_b32 exec_lo, exec_lo, s12
	v_mul_f32_e32 v3, v28, v3
	s_mov_b32 s12, exec_lo
	v_mul_f32_e32 v3, v3, v7
	s_delay_alu instid0(VALU_DEP_1) | instskip(NEXT) | instid1(VALU_DEP_1)
	v_div_scale_f32 v7, null, v11, v11, v3
	v_rcp_f32_e32 v12, v7
	s_waitcnt_depctr 0xfff
	v_fma_f32 v13, -v7, v12, 1.0
	s_delay_alu instid0(VALU_DEP_1) | instskip(SKIP_1) | instid1(VALU_DEP_1)
	v_fmac_f32_e32 v12, v13, v12
	v_div_scale_f32 v13, vcc_lo, v3, v11, v3
	v_mul_f32_e32 v14, v13, v12
	s_delay_alu instid0(VALU_DEP_1) | instskip(NEXT) | instid1(VALU_DEP_1)
	v_fma_f32 v15, -v7, v14, v13
	v_fmac_f32_e32 v14, v15, v12
	s_delay_alu instid0(VALU_DEP_1) | instskip(NEXT) | instid1(VALU_DEP_1)
	v_fma_f32 v7, -v7, v14, v13
	v_div_fmas_f32 v7, v7, v12, v14
	s_delay_alu instid0(VALU_DEP_1) | instskip(NEXT) | instid1(VALU_DEP_1)
	v_div_fixup_f32 v3, v7, v11, v3
	v_minmax_f32 v3, v3, s7, 0xc3e00000
	s_delay_alu instid0(VALU_DEP_1) | instskip(NEXT) | instid1(VALU_DEP_1)
	v_and_b32_e32 v7, 0x7fffffff, v3
	v_cmpx_gt_u32_e32 0x43f00000, v7
	s_cbranch_execz .LBB27_69
; %bb.64:                               ;   in Loop: Header=BB27_57 Depth=1
	s_mov_b32 s13, exec_lo
                                        ; implicit-def: $vgpr2
	v_cmpx_lt_u32_e32 0x3c7fffff, v7
	s_xor_b32 s13, exec_lo, s13
; %bb.65:                               ;   in Loop: Header=BB27_57 Depth=1
	v_bfe_u32 v2, v3, 20, 1
	s_delay_alu instid0(VALU_DEP_1) | instskip(NEXT) | instid1(VALU_DEP_1)
	v_add3_u32 v2, v3, v2, 0x407ffff
	v_lshrrev_b32_e32 v2, 20, v2
; %bb.66:                               ;   in Loop: Header=BB27_57 Depth=1
	s_and_not1_saveexec_b32 s13, s13
; %bb.67:                               ;   in Loop: Header=BB27_57 Depth=1
	v_add_f32_e64 v2, 0x46800000, |v3|
; %bb.68:                               ;   in Loop: Header=BB27_57 Depth=1
	s_or_b32 exec_lo, exec_lo, s13
.LBB27_69:                              ;   in Loop: Header=BB27_57 Depth=1
	s_delay_alu instid0(SALU_CYCLE_1) | instskip(SKIP_2) | instid1(VALU_DEP_1)
	s_or_b32 exec_lo, exec_lo, s12
	v_mul_f32_e32 v4, v28, v4
	s_mov_b32 s12, exec_lo
	v_mul_f32_e32 v4, v4, v8
	s_delay_alu instid0(VALU_DEP_1) | instskip(SKIP_1) | instid1(VALU_DEP_2)
	v_div_scale_f32 v7, null, v11, v11, v4
	v_div_scale_f32 v13, vcc_lo, v4, v11, v4
	v_rcp_f32_e32 v8, v7
	s_waitcnt_depctr 0xfff
	v_fma_f32 v12, -v7, v8, 1.0
	s_delay_alu instid0(VALU_DEP_1) | instskip(NEXT) | instid1(VALU_DEP_1)
	v_fmac_f32_e32 v8, v12, v8
	v_mul_f32_e32 v12, v13, v8
	s_delay_alu instid0(VALU_DEP_1) | instskip(NEXT) | instid1(VALU_DEP_1)
	v_fma_f32 v14, -v7, v12, v13
	v_fmac_f32_e32 v12, v14, v8
	s_delay_alu instid0(VALU_DEP_1) | instskip(NEXT) | instid1(VALU_DEP_1)
	v_fma_f32 v7, -v7, v12, v13
	v_div_fmas_f32 v7, v7, v8, v12
	s_delay_alu instid0(VALU_DEP_1) | instskip(SKIP_1) | instid1(VALU_DEP_2)
	v_div_fixup_f32 v4, v7, v11, v4
	v_mov_b32_e32 v7, 0x7f
	v_minmax_f32 v8, v4, s7, 0xc3e00000
	v_mov_b32_e32 v4, 0x7f
	s_delay_alu instid0(VALU_DEP_2) | instskip(NEXT) | instid1(VALU_DEP_1)
	v_and_b32_e32 v12, 0x7fffffff, v8
	v_cmpx_gt_u32_e32 0x43f00000, v12
	s_cbranch_execz .LBB27_75
; %bb.70:                               ;   in Loop: Header=BB27_57 Depth=1
	s_mov_b32 s13, exec_lo
                                        ; implicit-def: $vgpr7
	v_cmpx_lt_u32_e32 0x3c7fffff, v12
	s_xor_b32 s13, exec_lo, s13
; %bb.71:                               ;   in Loop: Header=BB27_57 Depth=1
	v_bfe_u32 v7, v8, 20, 1
	s_delay_alu instid0(VALU_DEP_1) | instskip(NEXT) | instid1(VALU_DEP_1)
	v_add3_u32 v7, v8, v7, 0x407ffff
	v_lshrrev_b32_e32 v7, 20, v7
; %bb.72:                               ;   in Loop: Header=BB27_57 Depth=1
	s_and_not1_saveexec_b32 s13, s13
; %bb.73:                               ;   in Loop: Header=BB27_57 Depth=1
	v_add_f32_e64 v7, 0x46800000, |v8|
; %bb.74:                               ;   in Loop: Header=BB27_57 Depth=1
	s_or_b32 exec_lo, exec_lo, s13
.LBB27_75:                              ;   in Loop: Header=BB27_57 Depth=1
	s_delay_alu instid0(SALU_CYCLE_1) | instskip(SKIP_2) | instid1(VALU_DEP_1)
	s_or_b32 exec_lo, exec_lo, s12
	v_mul_f32_e32 v5, v28, v5
	s_mov_b32 s12, exec_lo
	v_mul_f32_e32 v5, v5, v9
	s_delay_alu instid0(VALU_DEP_1) | instskip(NEXT) | instid1(VALU_DEP_1)
	v_div_scale_f32 v9, null, v11, v11, v5
	v_rcp_f32_e32 v12, v9
	s_waitcnt_depctr 0xfff
	v_fma_f32 v13, -v9, v12, 1.0
	s_delay_alu instid0(VALU_DEP_1) | instskip(SKIP_1) | instid1(VALU_DEP_1)
	v_fmac_f32_e32 v12, v13, v12
	v_div_scale_f32 v13, vcc_lo, v5, v11, v5
	v_mul_f32_e32 v14, v13, v12
	s_delay_alu instid0(VALU_DEP_1) | instskip(NEXT) | instid1(VALU_DEP_1)
	v_fma_f32 v15, -v9, v14, v13
	v_fmac_f32_e32 v14, v15, v12
	s_delay_alu instid0(VALU_DEP_1) | instskip(NEXT) | instid1(VALU_DEP_1)
	v_fma_f32 v9, -v9, v14, v13
	v_div_fmas_f32 v9, v9, v12, v14
	s_delay_alu instid0(VALU_DEP_1) | instskip(NEXT) | instid1(VALU_DEP_1)
	v_div_fixup_f32 v5, v9, v11, v5
	v_minmax_f32 v5, v5, s7, 0xc3e00000
	s_delay_alu instid0(VALU_DEP_1) | instskip(NEXT) | instid1(VALU_DEP_1)
	v_and_b32_e32 v9, 0x7fffffff, v5
	v_cmpx_gt_u32_e32 0x43f00000, v9
	s_cbranch_execz .LBB27_81
; %bb.76:                               ;   in Loop: Header=BB27_57 Depth=1
	s_mov_b32 s13, exec_lo
                                        ; implicit-def: $vgpr4
	v_cmpx_lt_u32_e32 0x3c7fffff, v9
	s_xor_b32 s13, exec_lo, s13
; %bb.77:                               ;   in Loop: Header=BB27_57 Depth=1
	v_bfe_u32 v4, v5, 20, 1
	s_delay_alu instid0(VALU_DEP_1) | instskip(NEXT) | instid1(VALU_DEP_1)
	v_add3_u32 v4, v5, v4, 0x407ffff
	v_lshrrev_b32_e32 v4, 20, v4
; %bb.78:                               ;   in Loop: Header=BB27_57 Depth=1
	s_and_not1_saveexec_b32 s13, s13
; %bb.79:                               ;   in Loop: Header=BB27_57 Depth=1
	v_add_f32_e64 v4, 0x46800000, |v5|
; %bb.80:                               ;   in Loop: Header=BB27_57 Depth=1
	s_or_b32 exec_lo, exec_lo, s13
.LBB27_81:                              ;   in Loop: Header=BB27_57 Depth=1
	s_delay_alu instid0(SALU_CYCLE_1)
	s_or_b32 exec_lo, exec_lo, s12
	v_lshrrev_b32_e32 v8, 24, v8
	v_lshrrev_b32_e32 v3, 24, v3
	;; [unrolled: 1-line block ×3, first 2 shown]
	v_lshlrev_b32_e32 v4, 24, v4
	v_and_b32_e32 v5, 0x80000000, v5
	v_and_b32_e32 v8, 0x80, v8
	;; [unrolled: 1-line block ×4, first 2 shown]
	v_add_nc_u32_e32 v10, s27, v0
	s_mov_b32 s13, -1
	v_and_or_b32 v7, 0xff, v7, v8
	v_and_or_b32 v8, 0xff, v2, v3
	v_lshlrev_b64 v[2:3], 2, v[0:1]
	v_and_or_b32 v6, 0x80, v9, v6
	s_mov_b32 s12, exec_lo
	v_lshlrev_b32_e32 v7, 16, v7
	v_lshlrev_b32_e32 v8, 8, v8
	s_delay_alu instid0(VALU_DEP_4) | instskip(NEXT) | instid1(VALU_DEP_3)
	v_add_co_u32 v2, vcc_lo, s2, v2
	v_or3_b32 v4, v5, v4, v7
	v_add_co_ci_u32_e32 v3, vcc_lo, s3, v3, vcc_lo
	s_delay_alu instid0(VALU_DEP_2)
	v_or3_b32 v4, v4, v8, v6
	global_store_b32 v[2:3], v4, off
	v_cmpx_gt_u32_e64 s8, v10
	s_cbranch_execz .LBB27_56
; %bb.82:                               ;   in Loop: Header=BB27_57 Depth=1
	v_lshrrev_b32_e32 v8, 3, v10
	v_mov_b32_e32 v11, v1
	s_mov_b32 s13, exec_lo
	s_delay_alu instid0(VALU_DEP_2) | instskip(NEXT) | instid1(VALU_DEP_2)
	v_and_b32_e32 v12, 0x7fffffc, v8
	v_lshlrev_b64 v[2:3], 4, v[10:11]
	s_delay_alu instid0(VALU_DEP_1) | instskip(NEXT) | instid1(VALU_DEP_2)
	v_add_co_u32 v4, vcc_lo, s14, v2
	v_add_co_ci_u32_e32 v5, vcc_lo, s26, v3, vcc_lo
	v_add_co_u32 v6, vcc_lo, s10, v2
	v_add_co_ci_u32_e32 v7, vcc_lo, s11, v3, vcc_lo
	global_load_b128 v[2:5], v[4:5], off
	global_load_b128 v[6:9], v[6:7], off
	global_load_b32 v13, v12, s[0:1]
	s_waitcnt vmcnt(2)
	v_mul_f32_e32 v2, v28, v2
	s_waitcnt vmcnt(1)
	s_delay_alu instid0(VALU_DEP_1) | instskip(SKIP_1) | instid1(VALU_DEP_1)
	v_mul_f32_e32 v2, v2, v6
	s_waitcnt vmcnt(0)
	v_div_scale_f32 v6, null, v13, v13, v2
	v_div_scale_f32 v15, vcc_lo, v2, v13, v2
	s_delay_alu instid0(VALU_DEP_2) | instskip(SKIP_2) | instid1(VALU_DEP_1)
	v_rcp_f32_e32 v12, v6
	s_waitcnt_depctr 0xfff
	v_fma_f32 v14, -v6, v12, 1.0
	v_fmac_f32_e32 v12, v14, v12
	s_delay_alu instid0(VALU_DEP_1) | instskip(NEXT) | instid1(VALU_DEP_1)
	v_mul_f32_e32 v14, v15, v12
	v_fma_f32 v16, -v6, v14, v15
	s_delay_alu instid0(VALU_DEP_1) | instskip(NEXT) | instid1(VALU_DEP_1)
	v_fmac_f32_e32 v14, v16, v12
	v_fma_f32 v6, -v6, v14, v15
	s_delay_alu instid0(VALU_DEP_1) | instskip(NEXT) | instid1(VALU_DEP_1)
	v_div_fmas_f32 v6, v6, v12, v14
	v_div_fixup_f32 v2, v6, v13, v2
	v_mov_b32_e32 v6, 0x7f
	s_delay_alu instid0(VALU_DEP_2) | instskip(SKIP_1) | instid1(VALU_DEP_2)
	v_minmax_f32 v12, v2, s7, 0xc3e00000
	v_mov_b32_e32 v2, 0x7f
	v_and_b32_e32 v14, 0x7fffffff, v12
	s_delay_alu instid0(VALU_DEP_1)
	v_cmpx_gt_u32_e32 0x43f00000, v14
	s_cbranch_execz .LBB27_88
; %bb.83:                               ;   in Loop: Header=BB27_57 Depth=1
	s_mov_b32 s15, exec_lo
                                        ; implicit-def: $vgpr6
	v_cmpx_lt_u32_e32 0x3c7fffff, v14
	s_xor_b32 s15, exec_lo, s15
; %bb.84:                               ;   in Loop: Header=BB27_57 Depth=1
	v_bfe_u32 v6, v12, 20, 1
	s_delay_alu instid0(VALU_DEP_1) | instskip(NEXT) | instid1(VALU_DEP_1)
	v_add3_u32 v6, v12, v6, 0x407ffff
	v_lshrrev_b32_e32 v6, 20, v6
; %bb.85:                               ;   in Loop: Header=BB27_57 Depth=1
	s_and_not1_saveexec_b32 s15, s15
; %bb.86:                               ;   in Loop: Header=BB27_57 Depth=1
	v_add_f32_e64 v6, 0x46800000, |v12|
; %bb.87:                               ;   in Loop: Header=BB27_57 Depth=1
	s_or_b32 exec_lo, exec_lo, s15
.LBB27_88:                              ;   in Loop: Header=BB27_57 Depth=1
	s_delay_alu instid0(SALU_CYCLE_1) | instskip(SKIP_2) | instid1(VALU_DEP_1)
	s_or_b32 exec_lo, exec_lo, s13
	v_mul_f32_e32 v3, v28, v3
	s_mov_b32 s13, exec_lo
	v_mul_f32_e32 v3, v3, v7
	s_delay_alu instid0(VALU_DEP_1) | instskip(NEXT) | instid1(VALU_DEP_1)
	v_div_scale_f32 v7, null, v13, v13, v3
	v_rcp_f32_e32 v14, v7
	s_waitcnt_depctr 0xfff
	v_fma_f32 v15, -v7, v14, 1.0
	s_delay_alu instid0(VALU_DEP_1) | instskip(SKIP_1) | instid1(VALU_DEP_1)
	v_fmac_f32_e32 v14, v15, v14
	v_div_scale_f32 v15, vcc_lo, v3, v13, v3
	v_mul_f32_e32 v16, v15, v14
	s_delay_alu instid0(VALU_DEP_1) | instskip(NEXT) | instid1(VALU_DEP_1)
	v_fma_f32 v17, -v7, v16, v15
	v_fmac_f32_e32 v16, v17, v14
	s_delay_alu instid0(VALU_DEP_1) | instskip(NEXT) | instid1(VALU_DEP_1)
	v_fma_f32 v7, -v7, v16, v15
	v_div_fmas_f32 v7, v7, v14, v16
	s_delay_alu instid0(VALU_DEP_1) | instskip(NEXT) | instid1(VALU_DEP_1)
	v_div_fixup_f32 v3, v7, v13, v3
	v_minmax_f32 v3, v3, s7, 0xc3e00000
	s_delay_alu instid0(VALU_DEP_1) | instskip(NEXT) | instid1(VALU_DEP_1)
	v_and_b32_e32 v7, 0x7fffffff, v3
	v_cmpx_gt_u32_e32 0x43f00000, v7
	s_cbranch_execz .LBB27_94
; %bb.89:                               ;   in Loop: Header=BB27_57 Depth=1
	s_mov_b32 s15, exec_lo
                                        ; implicit-def: $vgpr2
	v_cmpx_lt_u32_e32 0x3c7fffff, v7
	s_xor_b32 s15, exec_lo, s15
; %bb.90:                               ;   in Loop: Header=BB27_57 Depth=1
	v_bfe_u32 v2, v3, 20, 1
	s_delay_alu instid0(VALU_DEP_1) | instskip(NEXT) | instid1(VALU_DEP_1)
	v_add3_u32 v2, v3, v2, 0x407ffff
	v_lshrrev_b32_e32 v2, 20, v2
; %bb.91:                               ;   in Loop: Header=BB27_57 Depth=1
	s_and_not1_saveexec_b32 s15, s15
; %bb.92:                               ;   in Loop: Header=BB27_57 Depth=1
	v_add_f32_e64 v2, 0x46800000, |v3|
; %bb.93:                               ;   in Loop: Header=BB27_57 Depth=1
	s_or_b32 exec_lo, exec_lo, s15
.LBB27_94:                              ;   in Loop: Header=BB27_57 Depth=1
	s_delay_alu instid0(SALU_CYCLE_1) | instskip(SKIP_2) | instid1(VALU_DEP_1)
	s_or_b32 exec_lo, exec_lo, s13
	v_mul_f32_e32 v4, v28, v4
	s_mov_b32 s13, exec_lo
	v_mul_f32_e32 v4, v4, v8
	s_delay_alu instid0(VALU_DEP_1) | instskip(SKIP_1) | instid1(VALU_DEP_2)
	v_div_scale_f32 v7, null, v13, v13, v4
	v_div_scale_f32 v15, vcc_lo, v4, v13, v4
	v_rcp_f32_e32 v8, v7
	s_waitcnt_depctr 0xfff
	v_fma_f32 v14, -v7, v8, 1.0
	s_delay_alu instid0(VALU_DEP_1) | instskip(NEXT) | instid1(VALU_DEP_1)
	v_fmac_f32_e32 v8, v14, v8
	v_mul_f32_e32 v14, v15, v8
	s_delay_alu instid0(VALU_DEP_1) | instskip(NEXT) | instid1(VALU_DEP_1)
	v_fma_f32 v16, -v7, v14, v15
	v_fmac_f32_e32 v14, v16, v8
	s_delay_alu instid0(VALU_DEP_1) | instskip(NEXT) | instid1(VALU_DEP_1)
	v_fma_f32 v7, -v7, v14, v15
	v_div_fmas_f32 v7, v7, v8, v14
	s_delay_alu instid0(VALU_DEP_1) | instskip(SKIP_1) | instid1(VALU_DEP_2)
	v_div_fixup_f32 v4, v7, v13, v4
	v_mov_b32_e32 v7, 0x7f
	v_minmax_f32 v8, v4, s7, 0xc3e00000
	v_mov_b32_e32 v4, 0x7f
	s_delay_alu instid0(VALU_DEP_2) | instskip(NEXT) | instid1(VALU_DEP_1)
	v_and_b32_e32 v14, 0x7fffffff, v8
	v_cmpx_gt_u32_e32 0x43f00000, v14
	s_cbranch_execz .LBB27_100
; %bb.95:                               ;   in Loop: Header=BB27_57 Depth=1
	s_mov_b32 s15, exec_lo
                                        ; implicit-def: $vgpr7
	v_cmpx_lt_u32_e32 0x3c7fffff, v14
	s_xor_b32 s15, exec_lo, s15
; %bb.96:                               ;   in Loop: Header=BB27_57 Depth=1
	v_bfe_u32 v7, v8, 20, 1
	s_delay_alu instid0(VALU_DEP_1) | instskip(NEXT) | instid1(VALU_DEP_1)
	v_add3_u32 v7, v8, v7, 0x407ffff
	v_lshrrev_b32_e32 v7, 20, v7
; %bb.97:                               ;   in Loop: Header=BB27_57 Depth=1
	s_and_not1_saveexec_b32 s15, s15
; %bb.98:                               ;   in Loop: Header=BB27_57 Depth=1
	v_add_f32_e64 v7, 0x46800000, |v8|
; %bb.99:                               ;   in Loop: Header=BB27_57 Depth=1
	s_or_b32 exec_lo, exec_lo, s15
.LBB27_100:                             ;   in Loop: Header=BB27_57 Depth=1
	s_delay_alu instid0(SALU_CYCLE_1) | instskip(SKIP_2) | instid1(VALU_DEP_1)
	s_or_b32 exec_lo, exec_lo, s13
	v_mul_f32_e32 v5, v28, v5
	s_mov_b32 s13, exec_lo
	v_mul_f32_e32 v5, v5, v9
	s_delay_alu instid0(VALU_DEP_1) | instskip(NEXT) | instid1(VALU_DEP_1)
	v_div_scale_f32 v9, null, v13, v13, v5
	v_rcp_f32_e32 v14, v9
	s_waitcnt_depctr 0xfff
	v_fma_f32 v15, -v9, v14, 1.0
	s_delay_alu instid0(VALU_DEP_1) | instskip(SKIP_1) | instid1(VALU_DEP_1)
	v_fmac_f32_e32 v14, v15, v14
	v_div_scale_f32 v15, vcc_lo, v5, v13, v5
	v_mul_f32_e32 v16, v15, v14
	s_delay_alu instid0(VALU_DEP_1) | instskip(NEXT) | instid1(VALU_DEP_1)
	v_fma_f32 v17, -v9, v16, v15
	v_fmac_f32_e32 v16, v17, v14
	s_delay_alu instid0(VALU_DEP_1) | instskip(NEXT) | instid1(VALU_DEP_1)
	v_fma_f32 v9, -v9, v16, v15
	v_div_fmas_f32 v9, v9, v14, v16
	s_delay_alu instid0(VALU_DEP_1) | instskip(NEXT) | instid1(VALU_DEP_1)
	v_div_fixup_f32 v5, v9, v13, v5
	v_minmax_f32 v5, v5, s7, 0xc3e00000
	s_delay_alu instid0(VALU_DEP_1) | instskip(NEXT) | instid1(VALU_DEP_1)
	v_and_b32_e32 v9, 0x7fffffff, v5
	v_cmpx_gt_u32_e32 0x43f00000, v9
	s_cbranch_execz .LBB27_106
; %bb.101:                              ;   in Loop: Header=BB27_57 Depth=1
	s_mov_b32 s15, exec_lo
                                        ; implicit-def: $vgpr4
	v_cmpx_lt_u32_e32 0x3c7fffff, v9
	s_xor_b32 s15, exec_lo, s15
; %bb.102:                              ;   in Loop: Header=BB27_57 Depth=1
	v_bfe_u32 v4, v5, 20, 1
	s_delay_alu instid0(VALU_DEP_1) | instskip(NEXT) | instid1(VALU_DEP_1)
	v_add3_u32 v4, v5, v4, 0x407ffff
	v_lshrrev_b32_e32 v4, 20, v4
; %bb.103:                              ;   in Loop: Header=BB27_57 Depth=1
	s_and_not1_saveexec_b32 s15, s15
; %bb.104:                              ;   in Loop: Header=BB27_57 Depth=1
	v_add_f32_e64 v4, 0x46800000, |v5|
; %bb.105:                              ;   in Loop: Header=BB27_57 Depth=1
	s_or_b32 exec_lo, exec_lo, s15
.LBB27_106:                             ;   in Loop: Header=BB27_57 Depth=1
	s_delay_alu instid0(SALU_CYCLE_1)
	s_or_b32 exec_lo, exec_lo, s13
	v_lshrrev_b32_e32 v8, 24, v8
	v_lshrrev_b32_e32 v3, 24, v3
	;; [unrolled: 1-line block ×3, first 2 shown]
	v_lshlrev_b32_e32 v4, 24, v4
	v_and_b32_e32 v5, 0x80000000, v5
	v_and_b32_e32 v8, 0x80, v8
	;; [unrolled: 1-line block ×4, first 2 shown]
	s_mov_b32 s15, -1
	s_mov_b32 s13, exec_lo
	v_and_or_b32 v7, 0xff, v7, v8
	v_and_or_b32 v8, 0xff, v2, v3
	v_lshlrev_b64 v[2:3], 2, v[10:11]
	v_and_or_b32 v6, 0x80, v9, v6
	v_add_nc_u32_e32 v11, s5, v0
	v_lshlrev_b32_e32 v7, 16, v7
	v_lshlrev_b32_e32 v8, 8, v8
	v_add_co_u32 v2, vcc_lo, s2, v2
	s_delay_alu instid0(VALU_DEP_3) | instskip(SKIP_1) | instid1(VALU_DEP_2)
	v_or3_b32 v4, v5, v4, v7
	v_add_co_ci_u32_e32 v3, vcc_lo, s3, v3, vcc_lo
	v_or3_b32 v4, v4, v8, v6
	global_store_b32 v[2:3], v4, off
	v_cmpx_gt_u32_e64 s8, v11
	s_cbranch_execz .LBB27_55
; %bb.107:                              ;   in Loop: Header=BB27_57 Depth=1
	v_lshrrev_b32_e32 v8, 3, v11
	v_mov_b32_e32 v12, v1
	s_mov_b32 s15, exec_lo
	s_delay_alu instid0(VALU_DEP_2) | instskip(NEXT) | instid1(VALU_DEP_2)
	v_and_b32_e32 v13, 0x7fffffc, v8
	v_lshlrev_b64 v[2:3], 4, v[11:12]
	s_delay_alu instid0(VALU_DEP_1) | instskip(NEXT) | instid1(VALU_DEP_2)
	v_add_co_u32 v4, vcc_lo, s14, v2
	v_add_co_ci_u32_e32 v5, vcc_lo, s26, v3, vcc_lo
	v_add_co_u32 v6, vcc_lo, s10, v2
	v_add_co_ci_u32_e32 v7, vcc_lo, s11, v3, vcc_lo
	global_load_b128 v[2:5], v[4:5], off
	global_load_b128 v[6:9], v[6:7], off
	global_load_b32 v14, v13, s[0:1]
	s_waitcnt vmcnt(2)
	v_mul_f32_e32 v2, v28, v2
	s_waitcnt vmcnt(1)
	s_delay_alu instid0(VALU_DEP_1) | instskip(SKIP_1) | instid1(VALU_DEP_1)
	v_mul_f32_e32 v2, v2, v6
	s_waitcnt vmcnt(0)
	v_div_scale_f32 v6, null, v14, v14, v2
	v_div_scale_f32 v16, vcc_lo, v2, v14, v2
	s_delay_alu instid0(VALU_DEP_2) | instskip(SKIP_2) | instid1(VALU_DEP_1)
	v_rcp_f32_e32 v13, v6
	s_waitcnt_depctr 0xfff
	v_fma_f32 v15, -v6, v13, 1.0
	v_fmac_f32_e32 v13, v15, v13
	s_delay_alu instid0(VALU_DEP_1) | instskip(NEXT) | instid1(VALU_DEP_1)
	v_mul_f32_e32 v15, v16, v13
	v_fma_f32 v17, -v6, v15, v16
	s_delay_alu instid0(VALU_DEP_1) | instskip(NEXT) | instid1(VALU_DEP_1)
	v_fmac_f32_e32 v15, v17, v13
	v_fma_f32 v6, -v6, v15, v16
	s_delay_alu instid0(VALU_DEP_1) | instskip(NEXT) | instid1(VALU_DEP_1)
	v_div_fmas_f32 v6, v6, v13, v15
	v_div_fixup_f32 v2, v6, v14, v2
	v_mov_b32_e32 v6, 0x7f
	s_delay_alu instid0(VALU_DEP_2) | instskip(SKIP_1) | instid1(VALU_DEP_2)
	v_minmax_f32 v13, v2, s7, 0xc3e00000
	v_mov_b32_e32 v2, 0x7f
	v_and_b32_e32 v15, 0x7fffffff, v13
	s_delay_alu instid0(VALU_DEP_1)
	v_cmpx_gt_u32_e32 0x43f00000, v15
	s_cbranch_execz .LBB27_113
; %bb.108:                              ;   in Loop: Header=BB27_57 Depth=1
	s_mov_b32 s16, exec_lo
                                        ; implicit-def: $vgpr6
	v_cmpx_lt_u32_e32 0x3c7fffff, v15
	s_xor_b32 s16, exec_lo, s16
; %bb.109:                              ;   in Loop: Header=BB27_57 Depth=1
	v_bfe_u32 v6, v13, 20, 1
	s_delay_alu instid0(VALU_DEP_1) | instskip(NEXT) | instid1(VALU_DEP_1)
	v_add3_u32 v6, v13, v6, 0x407ffff
	v_lshrrev_b32_e32 v6, 20, v6
; %bb.110:                              ;   in Loop: Header=BB27_57 Depth=1
	s_and_not1_saveexec_b32 s16, s16
; %bb.111:                              ;   in Loop: Header=BB27_57 Depth=1
	v_add_f32_e64 v6, 0x46800000, |v13|
; %bb.112:                              ;   in Loop: Header=BB27_57 Depth=1
	s_or_b32 exec_lo, exec_lo, s16
.LBB27_113:                             ;   in Loop: Header=BB27_57 Depth=1
	s_delay_alu instid0(SALU_CYCLE_1) | instskip(SKIP_2) | instid1(VALU_DEP_1)
	s_or_b32 exec_lo, exec_lo, s15
	v_mul_f32_e32 v3, v28, v3
	s_mov_b32 s15, exec_lo
	v_mul_f32_e32 v3, v3, v7
	s_delay_alu instid0(VALU_DEP_1) | instskip(NEXT) | instid1(VALU_DEP_1)
	v_div_scale_f32 v7, null, v14, v14, v3
	v_rcp_f32_e32 v15, v7
	s_waitcnt_depctr 0xfff
	v_fma_f32 v16, -v7, v15, 1.0
	s_delay_alu instid0(VALU_DEP_1) | instskip(SKIP_1) | instid1(VALU_DEP_1)
	v_fmac_f32_e32 v15, v16, v15
	v_div_scale_f32 v16, vcc_lo, v3, v14, v3
	v_mul_f32_e32 v17, v16, v15
	s_delay_alu instid0(VALU_DEP_1) | instskip(NEXT) | instid1(VALU_DEP_1)
	v_fma_f32 v18, -v7, v17, v16
	v_fmac_f32_e32 v17, v18, v15
	s_delay_alu instid0(VALU_DEP_1) | instskip(NEXT) | instid1(VALU_DEP_1)
	v_fma_f32 v7, -v7, v17, v16
	v_div_fmas_f32 v7, v7, v15, v17
	s_delay_alu instid0(VALU_DEP_1) | instskip(NEXT) | instid1(VALU_DEP_1)
	v_div_fixup_f32 v3, v7, v14, v3
	v_minmax_f32 v3, v3, s7, 0xc3e00000
	s_delay_alu instid0(VALU_DEP_1) | instskip(NEXT) | instid1(VALU_DEP_1)
	v_and_b32_e32 v7, 0x7fffffff, v3
	v_cmpx_gt_u32_e32 0x43f00000, v7
	s_cbranch_execz .LBB27_119
; %bb.114:                              ;   in Loop: Header=BB27_57 Depth=1
	s_mov_b32 s16, exec_lo
                                        ; implicit-def: $vgpr2
	v_cmpx_lt_u32_e32 0x3c7fffff, v7
	s_xor_b32 s16, exec_lo, s16
; %bb.115:                              ;   in Loop: Header=BB27_57 Depth=1
	v_bfe_u32 v2, v3, 20, 1
	s_delay_alu instid0(VALU_DEP_1) | instskip(NEXT) | instid1(VALU_DEP_1)
	v_add3_u32 v2, v3, v2, 0x407ffff
	v_lshrrev_b32_e32 v2, 20, v2
; %bb.116:                              ;   in Loop: Header=BB27_57 Depth=1
	s_and_not1_saveexec_b32 s16, s16
; %bb.117:                              ;   in Loop: Header=BB27_57 Depth=1
	v_add_f32_e64 v2, 0x46800000, |v3|
; %bb.118:                              ;   in Loop: Header=BB27_57 Depth=1
	s_or_b32 exec_lo, exec_lo, s16
.LBB27_119:                             ;   in Loop: Header=BB27_57 Depth=1
	s_delay_alu instid0(SALU_CYCLE_1) | instskip(SKIP_2) | instid1(VALU_DEP_1)
	s_or_b32 exec_lo, exec_lo, s15
	v_mul_f32_e32 v4, v28, v4
	s_mov_b32 s15, exec_lo
	v_mul_f32_e32 v4, v4, v8
	s_delay_alu instid0(VALU_DEP_1) | instskip(SKIP_1) | instid1(VALU_DEP_2)
	v_div_scale_f32 v7, null, v14, v14, v4
	v_div_scale_f32 v16, vcc_lo, v4, v14, v4
	v_rcp_f32_e32 v8, v7
	s_waitcnt_depctr 0xfff
	v_fma_f32 v15, -v7, v8, 1.0
	s_delay_alu instid0(VALU_DEP_1) | instskip(NEXT) | instid1(VALU_DEP_1)
	v_fmac_f32_e32 v8, v15, v8
	v_mul_f32_e32 v15, v16, v8
	s_delay_alu instid0(VALU_DEP_1) | instskip(NEXT) | instid1(VALU_DEP_1)
	v_fma_f32 v17, -v7, v15, v16
	v_fmac_f32_e32 v15, v17, v8
	s_delay_alu instid0(VALU_DEP_1) | instskip(NEXT) | instid1(VALU_DEP_1)
	v_fma_f32 v7, -v7, v15, v16
	v_div_fmas_f32 v7, v7, v8, v15
	s_delay_alu instid0(VALU_DEP_1) | instskip(SKIP_1) | instid1(VALU_DEP_2)
	v_div_fixup_f32 v4, v7, v14, v4
	v_mov_b32_e32 v7, 0x7f
	v_minmax_f32 v8, v4, s7, 0xc3e00000
	v_mov_b32_e32 v4, 0x7f
	s_delay_alu instid0(VALU_DEP_2) | instskip(NEXT) | instid1(VALU_DEP_1)
	v_and_b32_e32 v15, 0x7fffffff, v8
	v_cmpx_gt_u32_e32 0x43f00000, v15
	s_cbranch_execz .LBB27_125
; %bb.120:                              ;   in Loop: Header=BB27_57 Depth=1
	s_mov_b32 s16, exec_lo
                                        ; implicit-def: $vgpr7
	v_cmpx_lt_u32_e32 0x3c7fffff, v15
	s_xor_b32 s16, exec_lo, s16
; %bb.121:                              ;   in Loop: Header=BB27_57 Depth=1
	v_bfe_u32 v7, v8, 20, 1
	s_delay_alu instid0(VALU_DEP_1) | instskip(NEXT) | instid1(VALU_DEP_1)
	v_add3_u32 v7, v8, v7, 0x407ffff
	v_lshrrev_b32_e32 v7, 20, v7
; %bb.122:                              ;   in Loop: Header=BB27_57 Depth=1
	s_and_not1_saveexec_b32 s16, s16
; %bb.123:                              ;   in Loop: Header=BB27_57 Depth=1
	v_add_f32_e64 v7, 0x46800000, |v8|
; %bb.124:                              ;   in Loop: Header=BB27_57 Depth=1
	s_or_b32 exec_lo, exec_lo, s16
.LBB27_125:                             ;   in Loop: Header=BB27_57 Depth=1
	s_delay_alu instid0(SALU_CYCLE_1) | instskip(SKIP_2) | instid1(VALU_DEP_1)
	s_or_b32 exec_lo, exec_lo, s15
	v_mul_f32_e32 v5, v28, v5
	s_mov_b32 s15, exec_lo
	v_mul_f32_e32 v5, v5, v9
	s_delay_alu instid0(VALU_DEP_1) | instskip(NEXT) | instid1(VALU_DEP_1)
	v_div_scale_f32 v9, null, v14, v14, v5
	v_rcp_f32_e32 v15, v9
	s_waitcnt_depctr 0xfff
	v_fma_f32 v16, -v9, v15, 1.0
	s_delay_alu instid0(VALU_DEP_1) | instskip(SKIP_1) | instid1(VALU_DEP_1)
	v_fmac_f32_e32 v15, v16, v15
	v_div_scale_f32 v16, vcc_lo, v5, v14, v5
	v_mul_f32_e32 v17, v16, v15
	s_delay_alu instid0(VALU_DEP_1) | instskip(NEXT) | instid1(VALU_DEP_1)
	v_fma_f32 v18, -v9, v17, v16
	v_fmac_f32_e32 v17, v18, v15
	s_delay_alu instid0(VALU_DEP_1) | instskip(NEXT) | instid1(VALU_DEP_1)
	v_fma_f32 v9, -v9, v17, v16
	v_div_fmas_f32 v9, v9, v15, v17
	s_delay_alu instid0(VALU_DEP_1) | instskip(NEXT) | instid1(VALU_DEP_1)
	v_div_fixup_f32 v5, v9, v14, v5
	v_minmax_f32 v5, v5, s7, 0xc3e00000
	s_delay_alu instid0(VALU_DEP_1) | instskip(NEXT) | instid1(VALU_DEP_1)
	v_and_b32_e32 v9, 0x7fffffff, v5
	v_cmpx_gt_u32_e32 0x43f00000, v9
	s_cbranch_execz .LBB27_131
; %bb.126:                              ;   in Loop: Header=BB27_57 Depth=1
	s_mov_b32 s16, exec_lo
                                        ; implicit-def: $vgpr4
	v_cmpx_lt_u32_e32 0x3c7fffff, v9
	s_xor_b32 s16, exec_lo, s16
; %bb.127:                              ;   in Loop: Header=BB27_57 Depth=1
	v_bfe_u32 v4, v5, 20, 1
	s_delay_alu instid0(VALU_DEP_1) | instskip(NEXT) | instid1(VALU_DEP_1)
	v_add3_u32 v4, v5, v4, 0x407ffff
	v_lshrrev_b32_e32 v4, 20, v4
; %bb.128:                              ;   in Loop: Header=BB27_57 Depth=1
	s_and_not1_saveexec_b32 s16, s16
; %bb.129:                              ;   in Loop: Header=BB27_57 Depth=1
	v_add_f32_e64 v4, 0x46800000, |v5|
; %bb.130:                              ;   in Loop: Header=BB27_57 Depth=1
	s_or_b32 exec_lo, exec_lo, s16
.LBB27_131:                             ;   in Loop: Header=BB27_57 Depth=1
	s_delay_alu instid0(SALU_CYCLE_1)
	s_or_b32 exec_lo, exec_lo, s15
	v_lshrrev_b32_e32 v8, 24, v8
	v_lshrrev_b32_e32 v3, 24, v3
	;; [unrolled: 1-line block ×3, first 2 shown]
	v_lshlrev_b32_e32 v4, 24, v4
	v_and_b32_e32 v5, 0x80000000, v5
	v_and_b32_e32 v8, 0x80, v8
	v_and_b32_e32 v3, 0x80, v3
	v_and_b32_e32 v6, 0xff, v6
	v_add_nc_u32_e32 v0, s4, v0
	s_mov_b32 s16, -1
	v_and_or_b32 v7, 0xff, v7, v8
	v_and_or_b32 v8, 0xff, v2, v3
	v_lshlrev_b64 v[2:3], 2, v[11:12]
	v_and_or_b32 v6, 0x80, v9, v6
	s_mov_b32 s15, exec_lo
	v_lshlrev_b32_e32 v7, 16, v7
	v_lshlrev_b32_e32 v8, 8, v8
	s_delay_alu instid0(VALU_DEP_4) | instskip(NEXT) | instid1(VALU_DEP_3)
	v_add_co_u32 v2, vcc_lo, s2, v2
	v_or3_b32 v4, v5, v4, v7
	v_add_co_ci_u32_e32 v3, vcc_lo, s3, v3, vcc_lo
	s_delay_alu instid0(VALU_DEP_2)
	v_or3_b32 v4, v4, v8, v6
	global_store_b32 v[2:3], v4, off
	v_cmpx_gt_u32_e64 s8, v0
	s_cbranch_execz .LBB27_54
; %bb.132:                              ;   in Loop: Header=BB27_57 Depth=1
	v_lshlrev_b64 v[2:3], 4, v[0:1]
	v_lshrrev_b32_e32 v8, 3, v0
	s_mov_b32 s16, exec_lo
	s_delay_alu instid0(VALU_DEP_2) | instskip(NEXT) | instid1(VALU_DEP_3)
	v_add_co_u32 v4, vcc_lo, s14, v2
	v_add_co_ci_u32_e32 v5, vcc_lo, s26, v3, vcc_lo
	v_add_co_u32 v6, vcc_lo, s10, v2
	v_add_co_ci_u32_e32 v7, vcc_lo, s11, v3, vcc_lo
	global_load_b128 v[2:5], v[4:5], off
	s_waitcnt vmcnt(0)
	v_dual_mul_f32 v2, v28, v2 :: v_dual_and_b32 v11, 0x7fffffc, v8
	global_load_b128 v[6:9], v[6:7], off
	global_load_b32 v12, v11, s[0:1]
	s_waitcnt vmcnt(1)
	v_mul_f32_e32 v2, v2, v6
	s_waitcnt vmcnt(0)
	s_delay_alu instid0(VALU_DEP_1) | instskip(NEXT) | instid1(VALU_DEP_1)
	v_div_scale_f32 v6, null, v12, v12, v2
	v_rcp_f32_e32 v11, v6
	s_waitcnt_depctr 0xfff
	v_fma_f32 v13, -v6, v11, 1.0
	s_delay_alu instid0(VALU_DEP_1) | instskip(SKIP_1) | instid1(VALU_DEP_1)
	v_fmac_f32_e32 v11, v13, v11
	v_div_scale_f32 v14, vcc_lo, v2, v12, v2
	v_mul_f32_e32 v13, v14, v11
	s_delay_alu instid0(VALU_DEP_1) | instskip(NEXT) | instid1(VALU_DEP_1)
	v_fma_f32 v15, -v6, v13, v14
	v_fmac_f32_e32 v13, v15, v11
	s_delay_alu instid0(VALU_DEP_1) | instskip(NEXT) | instid1(VALU_DEP_1)
	v_fma_f32 v6, -v6, v13, v14
	v_div_fmas_f32 v6, v6, v11, v13
	s_delay_alu instid0(VALU_DEP_1) | instskip(SKIP_1) | instid1(VALU_DEP_2)
	v_div_fixup_f32 v2, v6, v12, v2
	v_mov_b32_e32 v6, 0x7f
	v_minmax_f32 v11, v2, s7, 0xc3e00000
	v_mov_b32_e32 v2, 0x7f
	s_delay_alu instid0(VALU_DEP_2) | instskip(NEXT) | instid1(VALU_DEP_1)
	v_and_b32_e32 v13, 0x7fffffff, v11
	v_cmpx_gt_u32_e32 0x43f00000, v13
	s_cbranch_execz .LBB27_138
; %bb.133:                              ;   in Loop: Header=BB27_57 Depth=1
	s_mov_b32 s17, exec_lo
                                        ; implicit-def: $vgpr6
	v_cmpx_lt_u32_e32 0x3c7fffff, v13
	s_xor_b32 s17, exec_lo, s17
; %bb.134:                              ;   in Loop: Header=BB27_57 Depth=1
	v_bfe_u32 v6, v11, 20, 1
	s_delay_alu instid0(VALU_DEP_1) | instskip(NEXT) | instid1(VALU_DEP_1)
	v_add3_u32 v6, v11, v6, 0x407ffff
	v_lshrrev_b32_e32 v6, 20, v6
; %bb.135:                              ;   in Loop: Header=BB27_57 Depth=1
	s_and_not1_saveexec_b32 s17, s17
; %bb.136:                              ;   in Loop: Header=BB27_57 Depth=1
	v_add_f32_e64 v6, 0x46800000, |v11|
; %bb.137:                              ;   in Loop: Header=BB27_57 Depth=1
	s_or_b32 exec_lo, exec_lo, s17
.LBB27_138:                             ;   in Loop: Header=BB27_57 Depth=1
	s_delay_alu instid0(SALU_CYCLE_1) | instskip(SKIP_2) | instid1(VALU_DEP_1)
	s_or_b32 exec_lo, exec_lo, s16
	v_mul_f32_e32 v3, v28, v3
	s_mov_b32 s16, exec_lo
	v_mul_f32_e32 v3, v3, v7
	s_delay_alu instid0(VALU_DEP_1) | instskip(NEXT) | instid1(VALU_DEP_1)
	v_div_scale_f32 v7, null, v12, v12, v3
	v_rcp_f32_e32 v13, v7
	s_waitcnt_depctr 0xfff
	v_fma_f32 v14, -v7, v13, 1.0
	s_delay_alu instid0(VALU_DEP_1) | instskip(SKIP_1) | instid1(VALU_DEP_1)
	v_fmac_f32_e32 v13, v14, v13
	v_div_scale_f32 v14, vcc_lo, v3, v12, v3
	v_mul_f32_e32 v15, v14, v13
	s_delay_alu instid0(VALU_DEP_1) | instskip(NEXT) | instid1(VALU_DEP_1)
	v_fma_f32 v16, -v7, v15, v14
	v_fmac_f32_e32 v15, v16, v13
	s_delay_alu instid0(VALU_DEP_1) | instskip(NEXT) | instid1(VALU_DEP_1)
	v_fma_f32 v7, -v7, v15, v14
	v_div_fmas_f32 v7, v7, v13, v15
	s_delay_alu instid0(VALU_DEP_1) | instskip(NEXT) | instid1(VALU_DEP_1)
	v_div_fixup_f32 v3, v7, v12, v3
	v_minmax_f32 v3, v3, s7, 0xc3e00000
	s_delay_alu instid0(VALU_DEP_1) | instskip(NEXT) | instid1(VALU_DEP_1)
	v_and_b32_e32 v7, 0x7fffffff, v3
	v_cmpx_gt_u32_e32 0x43f00000, v7
	s_cbranch_execz .LBB27_144
; %bb.139:                              ;   in Loop: Header=BB27_57 Depth=1
	s_mov_b32 s17, exec_lo
                                        ; implicit-def: $vgpr2
	v_cmpx_lt_u32_e32 0x3c7fffff, v7
	s_xor_b32 s17, exec_lo, s17
; %bb.140:                              ;   in Loop: Header=BB27_57 Depth=1
	v_bfe_u32 v2, v3, 20, 1
	s_delay_alu instid0(VALU_DEP_1) | instskip(NEXT) | instid1(VALU_DEP_1)
	v_add3_u32 v2, v3, v2, 0x407ffff
	v_lshrrev_b32_e32 v2, 20, v2
; %bb.141:                              ;   in Loop: Header=BB27_57 Depth=1
	s_and_not1_saveexec_b32 s17, s17
; %bb.142:                              ;   in Loop: Header=BB27_57 Depth=1
	v_add_f32_e64 v2, 0x46800000, |v3|
; %bb.143:                              ;   in Loop: Header=BB27_57 Depth=1
	s_or_b32 exec_lo, exec_lo, s17
.LBB27_144:                             ;   in Loop: Header=BB27_57 Depth=1
	s_delay_alu instid0(SALU_CYCLE_1) | instskip(SKIP_2) | instid1(VALU_DEP_1)
	s_or_b32 exec_lo, exec_lo, s16
	v_mul_f32_e32 v4, v28, v4
	s_mov_b32 s16, exec_lo
	v_mul_f32_e32 v4, v4, v8
	s_delay_alu instid0(VALU_DEP_1) | instskip(SKIP_1) | instid1(VALU_DEP_2)
	v_div_scale_f32 v7, null, v12, v12, v4
	v_div_scale_f32 v14, vcc_lo, v4, v12, v4
	v_rcp_f32_e32 v8, v7
	s_waitcnt_depctr 0xfff
	v_fma_f32 v13, -v7, v8, 1.0
	s_delay_alu instid0(VALU_DEP_1) | instskip(NEXT) | instid1(VALU_DEP_1)
	v_fmac_f32_e32 v8, v13, v8
	v_mul_f32_e32 v13, v14, v8
	s_delay_alu instid0(VALU_DEP_1) | instskip(NEXT) | instid1(VALU_DEP_1)
	v_fma_f32 v15, -v7, v13, v14
	v_fmac_f32_e32 v13, v15, v8
	s_delay_alu instid0(VALU_DEP_1) | instskip(NEXT) | instid1(VALU_DEP_1)
	v_fma_f32 v7, -v7, v13, v14
	v_div_fmas_f32 v7, v7, v8, v13
	s_delay_alu instid0(VALU_DEP_1) | instskip(SKIP_1) | instid1(VALU_DEP_2)
	v_div_fixup_f32 v4, v7, v12, v4
	v_mov_b32_e32 v7, 0x7f
	v_minmax_f32 v8, v4, s7, 0xc3e00000
	v_mov_b32_e32 v4, 0x7f
	s_delay_alu instid0(VALU_DEP_2) | instskip(NEXT) | instid1(VALU_DEP_1)
	v_and_b32_e32 v13, 0x7fffffff, v8
	v_cmpx_gt_u32_e32 0x43f00000, v13
	s_cbranch_execz .LBB27_150
; %bb.145:                              ;   in Loop: Header=BB27_57 Depth=1
	s_mov_b32 s17, exec_lo
                                        ; implicit-def: $vgpr7
	v_cmpx_lt_u32_e32 0x3c7fffff, v13
	s_xor_b32 s17, exec_lo, s17
; %bb.146:                              ;   in Loop: Header=BB27_57 Depth=1
	v_bfe_u32 v7, v8, 20, 1
	s_delay_alu instid0(VALU_DEP_1) | instskip(NEXT) | instid1(VALU_DEP_1)
	v_add3_u32 v7, v8, v7, 0x407ffff
	v_lshrrev_b32_e32 v7, 20, v7
; %bb.147:                              ;   in Loop: Header=BB27_57 Depth=1
	s_and_not1_saveexec_b32 s17, s17
; %bb.148:                              ;   in Loop: Header=BB27_57 Depth=1
	v_add_f32_e64 v7, 0x46800000, |v8|
; %bb.149:                              ;   in Loop: Header=BB27_57 Depth=1
	s_or_b32 exec_lo, exec_lo, s17
.LBB27_150:                             ;   in Loop: Header=BB27_57 Depth=1
	s_delay_alu instid0(SALU_CYCLE_1) | instskip(SKIP_2) | instid1(VALU_DEP_1)
	s_or_b32 exec_lo, exec_lo, s16
	v_mul_f32_e32 v5, v28, v5
	s_mov_b32 s16, exec_lo
	v_mul_f32_e32 v5, v5, v9
	s_delay_alu instid0(VALU_DEP_1) | instskip(NEXT) | instid1(VALU_DEP_1)
	v_div_scale_f32 v9, null, v12, v12, v5
	v_rcp_f32_e32 v13, v9
	s_waitcnt_depctr 0xfff
	v_fma_f32 v14, -v9, v13, 1.0
	s_delay_alu instid0(VALU_DEP_1) | instskip(SKIP_1) | instid1(VALU_DEP_1)
	v_fmac_f32_e32 v13, v14, v13
	v_div_scale_f32 v14, vcc_lo, v5, v12, v5
	v_mul_f32_e32 v15, v14, v13
	s_delay_alu instid0(VALU_DEP_1) | instskip(NEXT) | instid1(VALU_DEP_1)
	v_fma_f32 v16, -v9, v15, v14
	v_fmac_f32_e32 v15, v16, v13
	s_delay_alu instid0(VALU_DEP_1) | instskip(NEXT) | instid1(VALU_DEP_1)
	v_fma_f32 v9, -v9, v15, v14
	v_div_fmas_f32 v9, v9, v13, v15
	s_delay_alu instid0(VALU_DEP_1) | instskip(NEXT) | instid1(VALU_DEP_1)
	v_div_fixup_f32 v5, v9, v12, v5
	v_minmax_f32 v5, v5, s7, 0xc3e00000
	s_delay_alu instid0(VALU_DEP_1) | instskip(NEXT) | instid1(VALU_DEP_1)
	v_and_b32_e32 v9, 0x7fffffff, v5
	v_cmpx_gt_u32_e32 0x43f00000, v9
	s_cbranch_execz .LBB27_53
; %bb.151:                              ;   in Loop: Header=BB27_57 Depth=1
	s_mov_b32 s17, exec_lo
                                        ; implicit-def: $vgpr4
	v_cmpx_lt_u32_e32 0x3c7fffff, v9
	s_xor_b32 s17, exec_lo, s17
; %bb.152:                              ;   in Loop: Header=BB27_57 Depth=1
	v_bfe_u32 v4, v5, 20, 1
	s_delay_alu instid0(VALU_DEP_1) | instskip(NEXT) | instid1(VALU_DEP_1)
	v_add3_u32 v4, v5, v4, 0x407ffff
	v_lshrrev_b32_e32 v4, 20, v4
; %bb.153:                              ;   in Loop: Header=BB27_57 Depth=1
	s_and_not1_saveexec_b32 s17, s17
	s_cbranch_execz .LBB27_52
; %bb.154:                              ;   in Loop: Header=BB27_57 Depth=1
	v_add_f32_e64 v4, 0x46800000, |v5|
	s_branch .LBB27_52
.LBB27_155:
	s_nop 0
	s_sendmsg sendmsg(MSG_DEALLOC_VGPRS)
	s_endpgm
	.section	.rodata,"a",@progbits
	.p2align	6, 0x0
	.amdhsa_kernel _ZN4vllm31rms_norm_per_block_quant_kernelIfN3c1013Float8_e4m3fnELb0ELb0ELi128EEEvPT0_PfPKT_S8_PKffiiPS6_l
		.amdhsa_group_segment_fixed_size 4228
		.amdhsa_private_segment_fixed_size 0
		.amdhsa_kernarg_size 328
		.amdhsa_user_sgpr_count 15
		.amdhsa_user_sgpr_dispatch_ptr 0
		.amdhsa_user_sgpr_queue_ptr 0
		.amdhsa_user_sgpr_kernarg_segment_ptr 1
		.amdhsa_user_sgpr_dispatch_id 0
		.amdhsa_user_sgpr_private_segment_size 0
		.amdhsa_wavefront_size32 1
		.amdhsa_uses_dynamic_stack 0
		.amdhsa_enable_private_segment 0
		.amdhsa_system_sgpr_workgroup_id_x 1
		.amdhsa_system_sgpr_workgroup_id_y 0
		.amdhsa_system_sgpr_workgroup_id_z 0
		.amdhsa_system_sgpr_workgroup_info 0
		.amdhsa_system_vgpr_workitem_id 0
		.amdhsa_next_free_vgpr 35
		.amdhsa_next_free_sgpr 36
		.amdhsa_reserve_vcc 1
		.amdhsa_float_round_mode_32 0
		.amdhsa_float_round_mode_16_64 0
		.amdhsa_float_denorm_mode_32 3
		.amdhsa_float_denorm_mode_16_64 3
		.amdhsa_dx10_clamp 1
		.amdhsa_ieee_mode 1
		.amdhsa_fp16_overflow 0
		.amdhsa_workgroup_processor_mode 1
		.amdhsa_memory_ordered 1
		.amdhsa_forward_progress 0
		.amdhsa_shared_vgpr_count 0
		.amdhsa_exception_fp_ieee_invalid_op 0
		.amdhsa_exception_fp_denorm_src 0
		.amdhsa_exception_fp_ieee_div_zero 0
		.amdhsa_exception_fp_ieee_overflow 0
		.amdhsa_exception_fp_ieee_underflow 0
		.amdhsa_exception_fp_ieee_inexact 0
		.amdhsa_exception_int_div_zero 0
	.end_amdhsa_kernel
	.section	.text._ZN4vllm31rms_norm_per_block_quant_kernelIfN3c1013Float8_e4m3fnELb0ELb0ELi128EEEvPT0_PfPKT_S8_PKffiiPS6_l,"axG",@progbits,_ZN4vllm31rms_norm_per_block_quant_kernelIfN3c1013Float8_e4m3fnELb0ELb0ELi128EEEvPT0_PfPKT_S8_PKffiiPS6_l,comdat
.Lfunc_end27:
	.size	_ZN4vllm31rms_norm_per_block_quant_kernelIfN3c1013Float8_e4m3fnELb0ELb0ELi128EEEvPT0_PfPKT_S8_PKffiiPS6_l, .Lfunc_end27-_ZN4vllm31rms_norm_per_block_quant_kernelIfN3c1013Float8_e4m3fnELb0ELb0ELi128EEEvPT0_PfPKT_S8_PKffiiPS6_l
                                        ; -- End function
	.section	.AMDGPU.csdata,"",@progbits
; Kernel info:
; codeLenInByte = 8688
; NumSgprs: 38
; NumVgprs: 35
; ScratchSize: 0
; MemoryBound: 0
; FloatMode: 240
; IeeeMode: 1
; LDSByteSize: 4228 bytes/workgroup (compile time only)
; SGPRBlocks: 4
; VGPRBlocks: 4
; NumSGPRsForWavesPerEU: 38
; NumVGPRsForWavesPerEU: 35
; Occupancy: 16
; WaveLimiterHint : 0
; COMPUTE_PGM_RSRC2:SCRATCH_EN: 0
; COMPUTE_PGM_RSRC2:USER_SGPR: 15
; COMPUTE_PGM_RSRC2:TRAP_HANDLER: 0
; COMPUTE_PGM_RSRC2:TGID_X_EN: 1
; COMPUTE_PGM_RSRC2:TGID_Y_EN: 0
; COMPUTE_PGM_RSRC2:TGID_Z_EN: 0
; COMPUTE_PGM_RSRC2:TIDIG_COMP_CNT: 0
	.section	.text._ZN4vllm31rms_norm_per_block_quant_kernelIfN3c1015Float8_e4m3fnuzELb0ELb0ELi128EEEvPT0_PfPKT_S8_PKffiiPS6_l,"axG",@progbits,_ZN4vllm31rms_norm_per_block_quant_kernelIfN3c1015Float8_e4m3fnuzELb0ELb0ELi128EEEvPT0_PfPKT_S8_PKffiiPS6_l,comdat
	.protected	_ZN4vllm31rms_norm_per_block_quant_kernelIfN3c1015Float8_e4m3fnuzELb0ELb0ELi128EEEvPT0_PfPKT_S8_PKffiiPS6_l ; -- Begin function _ZN4vllm31rms_norm_per_block_quant_kernelIfN3c1015Float8_e4m3fnuzELb0ELb0ELi128EEEvPT0_PfPKT_S8_PKffiiPS6_l
	.globl	_ZN4vllm31rms_norm_per_block_quant_kernelIfN3c1015Float8_e4m3fnuzELb0ELb0ELi128EEEvPT0_PfPKT_S8_PKffiiPS6_l
	.p2align	8
	.type	_ZN4vllm31rms_norm_per_block_quant_kernelIfN3c1015Float8_e4m3fnuzELb0ELb0ELi128EEEvPT0_PfPKT_S8_PKffiiPS6_l,@function
_ZN4vllm31rms_norm_per_block_quant_kernelIfN3c1015Float8_e4m3fnuzELb0ELb0ELi128EEEvPT0_PfPKT_S8_PKffiiPS6_l: ; @_ZN4vllm31rms_norm_per_block_quant_kernelIfN3c1015Float8_e4m3fnuzELb0ELb0ELi128EEEvPT0_PfPKT_S8_PKffiiPS6_l
; %bb.0:
	s_clause 0x1
	s_load_b128 s[16:19], s[0:1], 0x28
	s_load_b256 s[4:11], s[0:1], 0x0
	v_mov_b32_e32 v6, 0
	s_waitcnt lgkmcnt(0)
	s_ashr_i32 s2, s18, 31
	s_mul_hi_u32 s3, s18, s15
	s_mul_i32 s12, s2, s15
	s_mul_i32 s2, s18, s15
	s_add_i32 s3, s3, s12
	s_mov_b32 s12, s17
	s_lshl_b64 s[2:3], s[2:3], 2
	s_delay_alu instid0(SALU_CYCLE_1)
	s_add_u32 s14, s8, s2
	s_addc_u32 s26, s9, s3
	s_ashr_i32 s8, s17, 2
	s_add_u32 s18, s0, 0x48
	v_cmp_gt_u32_e64 s2, s8, v0
	s_mov_b32 s9, 0
	s_addc_u32 s19, s1, 0
	s_delay_alu instid0(VALU_DEP_1)
	s_and_saveexec_b32 s3, s2
	s_cbranch_execz .LBB28_10
; %bb.1:
	s_load_b32 s13, s[18:19], 0x0
	v_dual_mov_b32 v2, 0 :: v_dual_mov_b32 v1, v0
	s_waitcnt lgkmcnt(0)
	s_cmp_lt_u32 s15, s13
	s_cselect_b32 s13, 12, 18
	s_delay_alu instid0(SALU_CYCLE_1)
	s_add_u32 s20, s18, s13
	s_addc_u32 s21, s19, 0
                                        ; implicit-def: $sgpr13
	global_load_u16 v7, v2, s[20:21]
	s_waitcnt vmcnt(0)
	v_lshlrev_b32_e32 v9, 1, v7
	v_mul_lo_u32 v8, v7, 3
	v_add_nc_u32_e32 v10, v7, v7
	v_mov_b32_e32 v6, v2
	s_branch .LBB28_5
.LBB28_2:                               ;   in Loop: Header=BB28_5 Depth=1
	s_or_b32 exec_lo, exec_lo, s22
	s_delay_alu instid0(SALU_CYCLE_1)
	s_or_not1_b32 s22, s23, exec_lo
.LBB28_3:                               ;   in Loop: Header=BB28_5 Depth=1
	s_or_b32 exec_lo, exec_lo, s21
	s_delay_alu instid0(SALU_CYCLE_1) | instskip(SKIP_1) | instid1(SALU_CYCLE_1)
	s_and_not1_b32 s13, s13, exec_lo
	s_and_b32 s21, s22, exec_lo
	s_or_b32 s13, s13, s21
.LBB28_4:                               ;   in Loop: Header=BB28_5 Depth=1
	s_or_b32 exec_lo, exec_lo, s20
	s_delay_alu instid0(SALU_CYCLE_1) | instskip(NEXT) | instid1(SALU_CYCLE_1)
	s_and_b32 s20, exec_lo, s13
	s_or_b32 s9, s20, s9
	s_delay_alu instid0(SALU_CYCLE_1)
	s_and_not1_b32 exec_lo, exec_lo, s9
	s_cbranch_execz .LBB28_9
.LBB28_5:                               ; =>This Inner Loop Header: Depth=1
	v_lshlrev_b64 v[3:4], 4, v[1:2]
	s_or_b32 s13, s13, exec_lo
	s_mov_b32 s20, exec_lo
	s_delay_alu instid0(VALU_DEP_1) | instskip(NEXT) | instid1(VALU_DEP_2)
	v_add_co_u32 v3, vcc_lo, s14, v3
	v_add_co_ci_u32_e32 v4, vcc_lo, s26, v4, vcc_lo
	global_load_b128 v[11:14], v[3:4], off
	v_add_nc_u32_e32 v3, v1, v7
	s_waitcnt vmcnt(0)
	v_fmac_f32_e32 v6, v11, v11
	s_delay_alu instid0(VALU_DEP_1) | instskip(NEXT) | instid1(VALU_DEP_1)
	v_fmac_f32_e32 v6, v12, v12
	v_fmac_f32_e32 v6, v13, v13
	s_delay_alu instid0(VALU_DEP_1)
	v_fmac_f32_e32 v6, v14, v14
	v_cmpx_gt_u32_e64 s8, v3
	s_cbranch_execz .LBB28_4
; %bb.6:                                ;   in Loop: Header=BB28_5 Depth=1
	v_mov_b32_e32 v4, v2
	s_mov_b32 s22, -1
	s_mov_b32 s21, exec_lo
	s_delay_alu instid0(VALU_DEP_1) | instskip(NEXT) | instid1(VALU_DEP_1)
	v_lshlrev_b64 v[4:5], 4, v[3:4]
	v_add_co_u32 v4, vcc_lo, s14, v4
	s_delay_alu instid0(VALU_DEP_2) | instskip(SKIP_4) | instid1(VALU_DEP_1)
	v_add_co_ci_u32_e32 v5, vcc_lo, s26, v5, vcc_lo
	global_load_b128 v[11:14], v[4:5], off
	v_add_nc_u32_e32 v4, v9, v1
	s_waitcnt vmcnt(0)
	v_fmac_f32_e32 v6, v11, v11
	v_fmac_f32_e32 v6, v12, v12
	s_delay_alu instid0(VALU_DEP_1) | instskip(NEXT) | instid1(VALU_DEP_1)
	v_fmac_f32_e32 v6, v13, v13
	v_fmac_f32_e32 v6, v14, v14
	v_cmpx_gt_u32_e64 s8, v4
	s_cbranch_execz .LBB28_3
; %bb.7:                                ;   in Loop: Header=BB28_5 Depth=1
	v_mov_b32_e32 v5, v2
	s_mov_b32 s23, -1
	s_mov_b32 s22, exec_lo
	s_delay_alu instid0(VALU_DEP_1) | instskip(NEXT) | instid1(VALU_DEP_1)
	v_lshlrev_b64 v[4:5], 4, v[4:5]
	v_add_co_u32 v4, vcc_lo, s14, v4
	s_delay_alu instid0(VALU_DEP_2) | instskip(SKIP_3) | instid1(VALU_DEP_1)
	v_add_co_ci_u32_e32 v5, vcc_lo, s26, v5, vcc_lo
	global_load_b128 v[11:14], v[4:5], off
	s_waitcnt vmcnt(0)
	v_fmac_f32_e32 v6, v11, v11
	v_fmac_f32_e32 v6, v12, v12
	s_delay_alu instid0(VALU_DEP_1) | instskip(NEXT) | instid1(VALU_DEP_1)
	v_fmac_f32_e32 v6, v13, v13
	v_dual_fmac_f32 v6, v14, v14 :: v_dual_add_nc_u32 v1, v8, v1
	s_delay_alu instid0(VALU_DEP_1)
	v_cmpx_gt_u32_e64 s8, v1
	s_xor_b32 s22, exec_lo, s22
	s_cbranch_execz .LBB28_2
; %bb.8:                                ;   in Loop: Header=BB28_5 Depth=1
	v_lshlrev_b64 v[4:5], 4, v[1:2]
	v_add3_u32 v1, v10, v7, v3
	s_delay_alu instid0(VALU_DEP_2) | instskip(NEXT) | instid1(VALU_DEP_3)
	v_add_co_u32 v4, vcc_lo, s14, v4
	v_add_co_ci_u32_e32 v5, vcc_lo, s26, v5, vcc_lo
	s_delay_alu instid0(VALU_DEP_3) | instskip(SKIP_4) | instid1(VALU_DEP_1)
	v_cmp_le_u32_e32 vcc_lo, s8, v1
	global_load_b128 v[11:14], v[4:5], off
	s_or_not1_b32 s23, vcc_lo, exec_lo
	s_waitcnt vmcnt(0)
	v_fmac_f32_e32 v6, v11, v11
	v_fmac_f32_e32 v6, v12, v12
	s_delay_alu instid0(VALU_DEP_1) | instskip(NEXT) | instid1(VALU_DEP_1)
	v_fmac_f32_e32 v6, v13, v13
	v_fmac_f32_e32 v6, v14, v14
	s_branch .LBB28_2
.LBB28_9:
	s_or_b32 exec_lo, exec_lo, s9
.LBB28_10:
	s_delay_alu instid0(SALU_CYCLE_1) | instskip(SKIP_3) | instid1(VALU_DEP_2)
	s_or_b32 exec_lo, exec_lo, s3
	v_mbcnt_lo_u32_b32 v1, -1, 0
	s_load_b32 s3, s[18:19], 0xc
	v_and_b32_e32 v7, 0x3e0, v0
	v_cmp_ne_u32_e32 vcc_lo, 31, v1
	v_add_nc_u32_e32 v3, 1, v1
	v_add_co_ci_u32_e32 v2, vcc_lo, 0, v1, vcc_lo
	v_cmp_gt_u32_e32 vcc_lo, 30, v1
	s_delay_alu instid0(VALU_DEP_2)
	v_lshlrev_b32_e32 v2, 2, v2
	v_cndmask_b32_e64 v5, 0, 1, vcc_lo
	ds_bpermute_b32 v4, v2, v6
	s_waitcnt lgkmcnt(0)
	s_and_b32 s27, s3, 0xffff
	v_lshlrev_b32_e32 v5, 1, v5
	v_sub_nc_u32_e64 v12, s27, v7 clamp
	s_mov_b32 s3, exec_lo
	s_delay_alu instid0(VALU_DEP_1) | instskip(SKIP_2) | instid1(VALU_DEP_2)
	v_cmp_lt_u32_e32 vcc_lo, v3, v12
	v_add_f32_e32 v7, v6, v4
	v_add_lshl_u32 v4, v5, v1, 2
	v_cndmask_b32_e32 v7, v6, v7, vcc_lo
	v_cmp_gt_u32_e32 vcc_lo, 28, v1
	v_cndmask_b32_e64 v5, 0, 1, vcc_lo
	s_delay_alu instid0(VALU_DEP_1) | instskip(SKIP_2) | instid1(VALU_DEP_1)
	v_lshlrev_b32_e32 v8, 2, v5
	ds_bpermute_b32 v6, v4, v7
	v_add_nc_u32_e32 v5, 2, v1
	v_cmp_lt_u32_e32 vcc_lo, v5, v12
	s_waitcnt lgkmcnt(0)
	v_add_f32_e32 v9, v7, v6
	v_add_lshl_u32 v6, v8, v1, 2
	s_delay_alu instid0(VALU_DEP_2) | instskip(SKIP_3) | instid1(VALU_DEP_1)
	v_cndmask_b32_e32 v9, v7, v9, vcc_lo
	v_cmp_gt_u32_e32 vcc_lo, 24, v1
	ds_bpermute_b32 v8, v6, v9
	v_cndmask_b32_e64 v7, 0, 1, vcc_lo
	v_lshlrev_b32_e32 v10, 3, v7
	v_add_nc_u32_e32 v7, 4, v1
	s_delay_alu instid0(VALU_DEP_1) | instskip(SKIP_3) | instid1(VALU_DEP_2)
	v_cmp_lt_u32_e32 vcc_lo, v7, v12
	s_waitcnt lgkmcnt(0)
	v_add_f32_e32 v11, v9, v8
	v_add_lshl_u32 v8, v10, v1, 2
	v_cndmask_b32_e32 v11, v9, v11, vcc_lo
	v_cmp_gt_u32_e32 vcc_lo, 16, v1
	ds_bpermute_b32 v10, v8, v11
	v_cndmask_b32_e64 v9, 0, 1, vcc_lo
	s_delay_alu instid0(VALU_DEP_1) | instskip(SKIP_1) | instid1(VALU_DEP_1)
	v_lshlrev_b32_e32 v13, 4, v9
	v_add_nc_u32_e32 v9, 8, v1
	v_cmp_lt_u32_e32 vcc_lo, v9, v12
	s_waitcnt lgkmcnt(0)
	v_add_f32_e32 v14, v11, v10
	v_add_lshl_u32 v10, v13, v1, 2
	s_delay_alu instid0(VALU_DEP_2)
	v_cndmask_b32_e32 v13, v11, v14, vcc_lo
	v_add_nc_u32_e32 v11, 16, v1
	ds_bpermute_b32 v14, v10, v13
	v_cmp_lt_u32_e32 vcc_lo, v11, v12
	s_waitcnt lgkmcnt(0)
	v_add_f32_e32 v14, v13, v14
	s_delay_alu instid0(VALU_DEP_1)
	v_cndmask_b32_e32 v12, v13, v14, vcc_lo
	v_cmpx_eq_u32_e32 0, v1
	s_cbranch_execz .LBB28_12
; %bb.11:
	v_lshrrev_b32_e32 v13, 3, v0
	s_delay_alu instid0(VALU_DEP_1)
	v_and_b32_e32 v13, 0x7c, v13
	ds_store_b32 v13, v12 offset:4096
.LBB28_12:
	s_or_b32 exec_lo, exec_lo, s3
	s_delay_alu instid0(SALU_CYCLE_1)
	s_mov_b32 s3, exec_lo
	s_waitcnt lgkmcnt(0)
	s_barrier
	buffer_gl0_inv
	v_cmpx_gt_u32_e32 32, v0
	s_cbranch_execz .LBB28_14
; %bb.13:
	v_lshlrev_b32_e32 v1, 2, v1
	s_add_i32 s9, s27, 31
	s_delay_alu instid0(SALU_CYCLE_1) | instskip(NEXT) | instid1(SALU_CYCLE_1)
	s_lshr_b32 s9, s9, 5
	v_cmp_gt_u32_e32 vcc_lo, s9, v3
	ds_load_b32 v1, v1 offset:4096
	s_waitcnt lgkmcnt(0)
	ds_bpermute_b32 v2, v2, v1
	s_waitcnt lgkmcnt(0)
	v_add_f32_e32 v2, v1, v2
	s_delay_alu instid0(VALU_DEP_1) | instskip(SKIP_4) | instid1(VALU_DEP_1)
	v_cndmask_b32_e32 v1, v1, v2, vcc_lo
	v_cmp_gt_u32_e32 vcc_lo, s9, v5
	ds_bpermute_b32 v2, v4, v1
	s_waitcnt lgkmcnt(0)
	v_add_f32_e32 v2, v1, v2
	v_cndmask_b32_e32 v1, v1, v2, vcc_lo
	v_cmp_gt_u32_e32 vcc_lo, s9, v7
	ds_bpermute_b32 v2, v6, v1
	s_waitcnt lgkmcnt(0)
	v_add_f32_e32 v2, v1, v2
	s_delay_alu instid0(VALU_DEP_1) | instskip(SKIP_4) | instid1(VALU_DEP_1)
	v_cndmask_b32_e32 v1, v1, v2, vcc_lo
	v_cmp_gt_u32_e32 vcc_lo, s9, v9
	ds_bpermute_b32 v2, v8, v1
	s_waitcnt lgkmcnt(0)
	v_add_f32_e32 v2, v1, v2
	v_cndmask_b32_e32 v1, v1, v2, vcc_lo
	v_cmp_gt_u32_e32 vcc_lo, s9, v11
	ds_bpermute_b32 v2, v10, v1
	s_waitcnt lgkmcnt(0)
	v_add_f32_e32 v2, v1, v2
	s_delay_alu instid0(VALU_DEP_1)
	v_cndmask_b32_e32 v12, v1, v2, vcc_lo
.LBB28_14:
	s_or_b32 exec_lo, exec_lo, s3
	s_delay_alu instid0(SALU_CYCLE_1)
	s_mov_b32 s3, exec_lo
	v_cmpx_eq_u32_e32 0, v0
	s_cbranch_execz .LBB28_16
; %bb.15:
	v_cvt_f32_i32_e32 v1, s17
	s_delay_alu instid0(VALU_DEP_1) | instskip(SKIP_1) | instid1(VALU_DEP_2)
	v_div_scale_f32 v2, null, v1, v1, v12
	v_div_scale_f32 v5, vcc_lo, v12, v1, v12
	v_rcp_f32_e32 v3, v2
	s_waitcnt_depctr 0xfff
	v_fma_f32 v4, -v2, v3, 1.0
	s_delay_alu instid0(VALU_DEP_1) | instskip(NEXT) | instid1(VALU_DEP_1)
	v_fmac_f32_e32 v3, v4, v3
	v_mul_f32_e32 v4, v5, v3
	s_delay_alu instid0(VALU_DEP_1) | instskip(NEXT) | instid1(VALU_DEP_1)
	v_fma_f32 v6, -v2, v4, v5
	v_fmac_f32_e32 v4, v6, v3
	s_delay_alu instid0(VALU_DEP_1) | instskip(NEXT) | instid1(VALU_DEP_1)
	v_fma_f32 v2, -v2, v4, v5
	v_div_fmas_f32 v2, v2, v3, v4
	s_delay_alu instid0(VALU_DEP_1) | instskip(NEXT) | instid1(VALU_DEP_1)
	v_div_fixup_f32 v1, v2, v1, v12
	v_add_f32_e32 v1, s16, v1
	s_delay_alu instid0(VALU_DEP_1) | instskip(SKIP_1) | instid1(VALU_DEP_2)
	v_mul_f32_e32 v2, 0x4b800000, v1
	v_cmp_gt_f32_e32 vcc_lo, 0x800000, v1
	v_cndmask_b32_e32 v1, v1, v2, vcc_lo
	s_delay_alu instid0(VALU_DEP_1) | instskip(SKIP_2) | instid1(VALU_DEP_1)
	v_rsq_f32_e32 v1, v1
	s_waitcnt_depctr 0xfff
	v_mul_f32_e32 v2, 0x45800000, v1
	v_dual_cndmask_b32 v1, v1, v2 :: v_dual_mov_b32 v2, 0
	ds_store_b32 v2, v1 offset:4224
.LBB28_16:
	s_or_b32 exec_lo, exec_lo, s3
	s_ashr_i32 s13, s17, 31
	s_waitcnt lgkmcnt(0)
	s_lshr_b32 s3, s13, 25
	s_barrier
	s_add_i32 s3, s17, s3
	buffer_gl0_inv
	s_ashr_i32 s16, s3, 7
	s_ashr_i32 s3, s3, 31
	s_abs_i32 s9, s16
	s_delay_alu instid0(SALU_CYCLE_1) | instskip(SKIP_1) | instid1(VALU_DEP_1)
	v_cvt_f32_u32_e32 v1, s9
	s_sub_i32 s18, 0, s9
	v_rcp_iflag_f32_e32 v1, v1
	s_waitcnt_depctr 0xfff
	v_mul_f32_e32 v1, 0x4f7ffffe, v1
	s_delay_alu instid0(VALU_DEP_1) | instskip(NEXT) | instid1(VALU_DEP_1)
	v_cvt_u32_f32_e32 v1, v1
	v_readfirstlane_b32 s17, v1
	s_delay_alu instid0(VALU_DEP_1) | instskip(NEXT) | instid1(SALU_CYCLE_1)
	s_mul_i32 s18, s18, s17
	s_mul_hi_u32 s18, s17, s18
	s_delay_alu instid0(SALU_CYCLE_1) | instskip(NEXT) | instid1(SALU_CYCLE_1)
	s_add_i32 s17, s17, s18
	s_mul_hi_u32 s17, s27, s17
	s_delay_alu instid0(SALU_CYCLE_1) | instskip(SKIP_2) | instid1(SALU_CYCLE_1)
	s_mul_i32 s18, s17, s9
	s_add_i32 s19, s17, 1
	s_sub_i32 s18, s27, s18
	s_sub_i32 s20, s18, s9
	s_cmp_ge_u32 s18, s9
	s_cselect_b32 s17, s19, s17
	s_cselect_b32 s18, s20, s18
	s_add_i32 s19, s17, 1
	s_cmp_ge_u32 s18, s9
	s_cselect_b32 s9, s19, s17
	s_delay_alu instid0(SALU_CYCLE_1) | instskip(NEXT) | instid1(SALU_CYCLE_1)
	s_xor_b32 s9, s9, s3
	s_sub_i32 s18, s9, s3
	s_delay_alu instid0(SALU_CYCLE_1) | instskip(SKIP_3) | instid1(VALU_DEP_1)
	s_abs_i32 s3, s18
	s_ashr_i32 s19, s18, 31
	v_cvt_f32_u32_e32 v1, s3
	s_sub_i32 s9, 0, s3
	v_rcp_iflag_f32_e32 v1, v1
	s_waitcnt_depctr 0xfff
	v_mul_f32_e32 v1, 0x4f7ffffe, v1
	s_delay_alu instid0(VALU_DEP_1) | instskip(NEXT) | instid1(VALU_DEP_1)
	v_cvt_u32_f32_e32 v1, v1
	v_mul_lo_u32 v2, s9, v1
	s_ashr_i32 s9, s8, 31
	s_delay_alu instid0(VALU_DEP_1) | instskip(NEXT) | instid1(VALU_DEP_1)
	v_mul_hi_u32 v2, v1, v2
	v_add_nc_u32_e32 v1, v1, v2
	s_delay_alu instid0(VALU_DEP_1) | instskip(NEXT) | instid1(VALU_DEP_1)
	v_mul_hi_u32 v1, v0, v1
	v_mul_lo_u32 v2, v1, s3
	v_add_nc_u32_e32 v3, 1, v1
	s_delay_alu instid0(VALU_DEP_2) | instskip(NEXT) | instid1(VALU_DEP_1)
	v_sub_nc_u32_e32 v2, v0, v2
	v_subrev_nc_u32_e32 v4, s3, v2
	v_cmp_le_u32_e32 vcc_lo, s3, v2
	s_delay_alu instid0(VALU_DEP_2) | instskip(NEXT) | instid1(VALU_DEP_1)
	v_dual_cndmask_b32 v1, v1, v3 :: v_dual_cndmask_b32 v2, v2, v4
	v_dual_mov_b32 v4, 0 :: v_dual_add_nc_u32 v3, 1, v1
	s_delay_alu instid0(VALU_DEP_2) | instskip(SKIP_2) | instid1(VALU_DEP_1)
	v_cmp_le_u32_e32 vcc_lo, s3, v2
	ds_load_b32 v28, v4 offset:4224
	v_cndmask_b32_e32 v1, v1, v3, vcc_lo
	v_xor_b32_e32 v1, s19, v1
	s_delay_alu instid0(VALU_DEP_1) | instskip(NEXT) | instid1(VALU_DEP_1)
	v_subrev_nc_u32_e32 v1, s19, v1
	v_ashrrev_i32_e32 v2, 31, v1
	v_mul_lo_u32 v3, v1, s18
	s_delay_alu instid0(VALU_DEP_2) | instskip(NEXT) | instid1(VALU_DEP_2)
	v_lshlrev_b64 v[7:8], 5, v[1:2]
	v_sub_nc_u32_e32 v3, v0, v3
	s_delay_alu instid0(VALU_DEP_2) | instskip(NEXT) | instid1(VALU_DEP_3)
	v_add_co_u32 v5, vcc_lo, v7, 32
	v_add_co_ci_u32_e32 v6, vcc_lo, 0, v8, vcc_lo
	s_delay_alu instid0(VALU_DEP_1) | instskip(SKIP_4) | instid1(VALU_DEP_3)
	v_cmp_gt_i64_e32 vcc_lo, s[8:9], v[5:6]
	v_cndmask_b32_e32 v6, s9, v6, vcc_lo
	v_cndmask_b32_e32 v5, s8, v5, vcc_lo
	v_add_co_u32 v7, vcc_lo, v7, v3
	v_add_co_ci_u32_e32 v8, vcc_lo, 0, v8, vcc_lo
	v_ashrrev_i32_e32 v10, 31, v5
	v_mov_b32_e32 v9, v5
	s_mov_b32 s9, exec_lo
	s_delay_alu instid0(VALU_DEP_1)
	v_cmpx_lt_i64_e64 v[7:8], v[9:10]
	s_cbranch_execz .LBB28_26
; %bb.17:
	v_lshlrev_b64 v[11:12], 9, v[1:2]
	v_lshlrev_b64 v[13:14], 4, v[3:4]
	v_mov_b32_e32 v4, 0
	s_lshl_b64 s[20:21], s[18:19], 6
	s_mul_hi_i32 s17, s18, 3
	s_mul_i32 s28, s18, 3
	s_lshl_b64 s[22:23], s[18:19], 1
	v_add_co_u32 v19, vcc_lo, v11, v13
	v_add_co_ci_u32_e32 v20, vcc_lo, v12, v14, vcc_lo
	v_dual_mov_b32 v12, v8 :: v_dual_mov_b32 v11, v7
	s_lshl_b64 s[24:25], s[18:19], 4
	s_mov_b32 s29, 0
                                        ; implicit-def: $sgpr30
	s_branch .LBB28_21
.LBB28_18:                              ;   in Loop: Header=BB28_21 Depth=1
	s_or_b32 exec_lo, exec_lo, s34
	s_delay_alu instid0(SALU_CYCLE_1)
	s_or_not1_b32 s3, s3, exec_lo
.LBB28_19:                              ;   in Loop: Header=BB28_21 Depth=1
	s_or_b32 exec_lo, exec_lo, s33
	s_delay_alu instid0(SALU_CYCLE_1) | instskip(SKIP_1) | instid1(SALU_CYCLE_1)
	s_and_not1_b32 s30, s30, exec_lo
	s_and_b32 s3, s3, exec_lo
	s_or_b32 s30, s30, s3
.LBB28_20:                              ;   in Loop: Header=BB28_21 Depth=1
	s_or_b32 exec_lo, exec_lo, s31
	s_delay_alu instid0(SALU_CYCLE_1) | instskip(NEXT) | instid1(SALU_CYCLE_1)
	s_and_b32 s3, exec_lo, s30
	s_or_b32 s29, s3, s29
	s_delay_alu instid0(SALU_CYCLE_1)
	s_and_not1_b32 exec_lo, exec_lo, s29
	s_cbranch_execz .LBB28_25
.LBB28_21:                              ; =>This Inner Loop Header: Depth=1
	v_add_co_u32 v15, vcc_lo, s14, v19
	v_add_co_ci_u32_e32 v16, vcc_lo, s26, v20, vcc_lo
	v_add_co_u32 v17, vcc_lo, s10, v19
	v_add_co_ci_u32_e32 v18, vcc_lo, s11, v20, vcc_lo
	s_or_b32 s30, s30, exec_lo
	global_load_b128 v[21:24], v[15:16], off
	global_load_b128 v[29:32], v[17:18], off
	s_mov_b32 s31, exec_lo
	s_waitcnt vmcnt(1) lgkmcnt(0)
	v_mul_f32_e32 v14, v28, v22
	v_mul_f32_e32 v13, v28, v21
	;; [unrolled: 1-line block ×3, first 2 shown]
	s_waitcnt vmcnt(0)
	s_delay_alu instid0(VALU_DEP_3) | instskip(NEXT) | instid1(VALU_DEP_2)
	v_dual_mul_f32 v21, v28, v23 :: v_dual_mul_f32 v24, v14, v30
	v_dual_mul_f32 v23, v13, v29 :: v_dual_mul_f32 v22, v22, v32
	s_delay_alu instid0(VALU_DEP_2) | instskip(SKIP_1) | instid1(VALU_DEP_3)
	v_mul_f32_e32 v21, v21, v31
	v_add_co_u32 v13, vcc_lo, v11, s18
	v_max3_f32 v4, v4, |v23|, |v24|
	v_add_co_ci_u32_e32 v14, vcc_lo, s19, v12, vcc_lo
	s_delay_alu instid0(VALU_DEP_2) | instskip(NEXT) | instid1(VALU_DEP_2)
	v_max3_f32 v4, v4, |v21|, |v22|
	v_cmpx_lt_i64_e64 v[13:14], v[9:10]
	s_cbranch_execz .LBB28_20
; %bb.22:                               ;   in Loop: Header=BB28_21 Depth=1
	v_add_co_u32 v15, vcc_lo, v15, s24
	v_add_co_ci_u32_e32 v16, vcc_lo, s25, v16, vcc_lo
	v_add_co_u32 v17, vcc_lo, v17, s24
	v_add_co_ci_u32_e32 v18, vcc_lo, s25, v18, vcc_lo
	s_mov_b32 s3, -1
	global_load_b128 v[21:24], v[15:16], off
	global_load_b128 v[29:32], v[17:18], off
	s_mov_b32 s33, exec_lo
	s_waitcnt vmcnt(1)
	v_mul_f32_e32 v22, v28, v22
	v_mul_f32_e32 v21, v28, v21
	;; [unrolled: 1-line block ×4, first 2 shown]
	s_waitcnt vmcnt(0)
	s_delay_alu instid0(VALU_DEP_3) | instskip(NEXT) | instid1(VALU_DEP_2)
	v_dual_mul_f32 v26, v22, v30 :: v_dual_mul_f32 v25, v21, v29
	v_dual_mul_f32 v23, v23, v31 :: v_dual_mul_f32 v24, v24, v32
	v_add_co_u32 v21, vcc_lo, s22, v11
	s_delay_alu instid0(VALU_DEP_3) | instskip(SKIP_1) | instid1(VALU_DEP_2)
	v_max3_f32 v4, v4, |v25|, |v26|
	v_add_co_ci_u32_e32 v22, vcc_lo, s23, v12, vcc_lo
	v_max3_f32 v4, v4, |v23|, |v24|
	s_delay_alu instid0(VALU_DEP_2)
	v_cmpx_lt_i64_e64 v[21:22], v[9:10]
	s_cbranch_execz .LBB28_19
; %bb.23:                               ;   in Loop: Header=BB28_21 Depth=1
	v_add_co_u32 v15, vcc_lo, v15, s24
	v_add_co_ci_u32_e32 v16, vcc_lo, s25, v16, vcc_lo
	v_add_co_u32 v17, vcc_lo, v17, s24
	v_add_co_ci_u32_e32 v18, vcc_lo, s25, v18, vcc_lo
	v_add_co_u32 v11, vcc_lo, s28, v11
	global_load_b128 v[21:24], v[15:16], off
	global_load_b128 v[29:32], v[17:18], off
	v_add_co_ci_u32_e32 v12, vcc_lo, s17, v12, vcc_lo
	s_delay_alu instid0(VALU_DEP_1)
	v_cmp_lt_i64_e32 vcc_lo, v[11:12], v[9:10]
                                        ; implicit-def: $vgpr11_vgpr12
	s_waitcnt vmcnt(1)
	v_mul_f32_e32 v22, v28, v22
	v_mul_f32_e32 v21, v28, v21
	;; [unrolled: 1-line block ×4, first 2 shown]
	s_waitcnt vmcnt(0)
	s_delay_alu instid0(VALU_DEP_3) | instskip(NEXT) | instid1(VALU_DEP_3)
	v_dual_mul_f32 v22, v22, v30 :: v_dual_mul_f32 v21, v21, v29
	v_mul_f32_e32 v23, v23, v31
	s_delay_alu instid0(VALU_DEP_2) | instskip(SKIP_1) | instid1(VALU_DEP_1)
	v_max3_f32 v4, v4, |v21|, |v22|
	v_mul_f32_e32 v21, v24, v32
	v_max3_f32 v4, v4, |v23|, |v21|
	s_and_saveexec_b32 s34, vcc_lo
	s_delay_alu instid0(SALU_CYCLE_1)
	s_xor_b32 s34, exec_lo, s34
	s_cbranch_execz .LBB28_18
; %bb.24:                               ;   in Loop: Header=BB28_21 Depth=1
	v_add_co_u32 v11, vcc_lo, v15, s24
	v_add_co_ci_u32_e32 v12, vcc_lo, s25, v16, vcc_lo
	v_add_co_u32 v21, vcc_lo, v17, s24
	v_add_co_ci_u32_e32 v22, vcc_lo, s25, v18, vcc_lo
	s_add_u32 s3, s18, s18
	global_load_b128 v[15:18], v[11:12], off
	global_load_b128 v[21:24], v[21:22], off
	s_addc_u32 s35, s19, s19
	s_add_u32 s3, s3, s18
	s_addc_u32 s35, s35, s19
	s_waitcnt vmcnt(1)
	v_mul_f32_e32 v11, v28, v15
	v_mul_f32_e32 v12, v28, v16
	;; [unrolled: 1-line block ×3, first 2 shown]
	s_waitcnt vmcnt(0)
	s_delay_alu instid0(VALU_DEP_3) | instskip(NEXT) | instid1(VALU_DEP_3)
	v_dual_mul_f32 v16, v28, v18 :: v_dual_mul_f32 v17, v11, v21
	v_mul_f32_e32 v18, v12, v22
	v_add_co_u32 v11, vcc_lo, s3, v13
	v_mul_f32_e32 v13, v15, v23
	v_add_co_ci_u32_e32 v12, vcc_lo, s35, v14, vcc_lo
	v_mul_f32_e32 v14, v16, v24
	v_max3_f32 v4, v4, |v17|, |v18|
	v_add_co_u32 v19, s3, v19, s20
	s_delay_alu instid0(VALU_DEP_4) | instskip(SKIP_1) | instid1(VALU_DEP_4)
	v_cmp_ge_i64_e32 vcc_lo, v[11:12], v[9:10]
	v_add_co_ci_u32_e64 v20, s3, s21, v20, s3
	v_max3_f32 v4, v4, |v13|, |v14|
	s_or_not1_b32 s3, vcc_lo, exec_lo
	s_branch .LBB28_18
.LBB28_25:
	s_or_b32 exec_lo, exec_lo, s29
.LBB28_26:
	s_delay_alu instid0(SALU_CYCLE_1)
	s_or_b32 exec_lo, exec_lo, s9
	s_lshr_b32 s9, s27, 5
	v_lshlrev_b32_e32 v29, 2, v0
	v_cvt_f32_u32_e32 v9, s9
	s_sub_i32 s17, 0, s9
	s_add_i32 s20, s16, s9
	s_delay_alu instid0(SALU_CYCLE_1) | instskip(NEXT) | instid1(VALU_DEP_1)
	s_add_i32 s20, s20, -1
	v_rcp_iflag_f32_e32 v9, v9
	s_abs_i32 s21, s20
	s_ashr_i32 s20, s20, 31
	ds_store_b32 v29, v4
	s_waitcnt lgkmcnt(0)
	s_barrier
	buffer_gl0_inv
	v_mul_f32_e32 v9, 0x4f7ffffe, v9
	s_delay_alu instid0(VALU_DEP_1) | instskip(NEXT) | instid1(VALU_DEP_1)
	v_cvt_u32_f32_e32 v9, v9
	v_readfirstlane_b32 s3, v9
	s_delay_alu instid0(VALU_DEP_1) | instskip(NEXT) | instid1(SALU_CYCLE_1)
	s_mul_i32 s17, s17, s3
	s_mul_hi_u32 s17, s3, s17
	s_delay_alu instid0(SALU_CYCLE_1) | instskip(SKIP_2) | instid1(SALU_CYCLE_1)
	s_add_i32 s3, s3, s17
	s_ashr_i32 s17, s16, 31
	s_mul_hi_u32 s3, s21, s3
	s_mul_i32 s22, s3, s9
	s_delay_alu instid0(SALU_CYCLE_1)
	s_sub_i32 s21, s21, s22
	s_add_i32 s22, s3, 1
	s_sub_i32 s23, s21, s9
	s_cmp_ge_u32 s21, s9
	s_cselect_b32 s3, s22, s3
	s_cselect_b32 s21, s23, s21
	s_add_i32 s22, s3, 1
	s_cmp_ge_u32 s21, s9
	s_cselect_b32 s3, s22, s3
	s_delay_alu instid0(SALU_CYCLE_1) | instskip(NEXT) | instid1(SALU_CYCLE_1)
	s_xor_b32 s3, s3, s20
	s_sub_i32 s20, s3, s20
	s_delay_alu instid0(SALU_CYCLE_1) | instskip(NEXT) | instid1(SALU_CYCLE_1)
	s_ashr_i32 s21, s20, 31
	v_cmp_lt_i64_e64 s3, s[20:21], 1
	s_delay_alu instid0(VALU_DEP_1)
	s_and_b32 vcc_lo, exec_lo, s3
	s_cbranch_vccnz .LBB28_46
; %bb.27:
	v_lshrrev_b32_e32 v9, 5, v0
	v_and_b32_e32 v4, 31, v0
	s_mov_b64 s[22:23], 0
	s_mov_b64 s[24:25], src_shared_base
	s_delay_alu instid0(VALU_DEP_2) | instskip(NEXT) | instid1(VALU_DEP_2)
	v_mul_lo_u32 v19, s18, v9
	v_add_co_u32 v11, s3, v4, 16
	s_delay_alu instid0(VALU_DEP_1) | instskip(SKIP_1) | instid1(VALU_DEP_1)
	v_add_co_ci_u32_e64 v12, null, 0, 0, s3
	v_add_co_u32 v13, s3, v4, 8
	v_add_co_ci_u32_e64 v14, null, 0, 0, s3
	v_add_co_u32 v15, s3, v4, 4
	v_dual_mov_b32 v10, 0 :: v_dual_lshlrev_b32 v21, 2, v19
	v_lshlrev_b32_e32 v22, 2, v4
	v_add_co_ci_u32_e64 v16, null, 0, 0, s3
	v_add_co_u32 v17, s3, v4, 2
	s_delay_alu instid0(VALU_DEP_1) | instskip(SKIP_1) | instid1(VALU_DEP_1)
	v_add_co_ci_u32_e64 v18, null, 0, 0, s3
	v_add_co_u32 v19, s3, v4, 1
	v_add_co_ci_u32_e64 v20, null, 0, 0, s3
	v_add3_u32 v30, v21, v22, 0x80
	s_mul_i32 s3, s18, s9
	s_delay_alu instid0(SALU_CYCLE_1)
	s_lshl_b32 s28, s3, 2
	s_branch .LBB28_30
.LBB28_28:                              ;   in Loop: Header=BB28_30 Depth=1
	s_or_b32 exec_lo, exec_lo, s3
	v_mov_b32_e32 v22, s25
	flat_load_b32 v21, v[21:22] glc dlc
	s_waitcnt vmcnt(0)
.LBB28_29:                              ;   in Loop: Header=BB28_30 Depth=1
	s_or_b32 exec_lo, exec_lo, s24
	s_add_u32 s22, s22, 1
	v_add_nc_u32_e32 v30, s28, v30
	s_addc_u32 s23, s23, 0
	s_delay_alu instid0(SALU_CYCLE_1)
	s_cmp_eq_u64 s[22:23], s[20:21]
	s_cbranch_scc1 .LBB28_46
.LBB28_30:                              ; =>This Loop Header: Depth=1
                                        ;     Child Loop BB28_33 Depth 2
	s_waitcnt lgkmcnt(0)
	v_mad_u64_u32 v[21:22], null, s22, s9, v[9:10]
	s_mov_b32 s24, exec_lo
	s_delay_alu instid0(VALU_DEP_1) | instskip(NEXT) | instid1(VALU_DEP_1)
	v_mad_u64_u32 v[23:24], null, s23, s9, v[22:23]
	v_mov_b32_e32 v22, v23
	s_delay_alu instid0(VALU_DEP_1)
	v_cmpx_gt_i64_e64 s[16:17], v[21:22]
	s_cbranch_execz .LBB28_29
; %bb.31:                               ;   in Loop: Header=BB28_30 Depth=1
	v_mul_lo_u32 v24, v22, s18
	v_mul_lo_u32 v25, v21, s19
	v_mad_u64_u32 v[22:23], null, v21, s18, 0
	s_delay_alu instid0(VALU_DEP_1) | instskip(NEXT) | instid1(VALU_DEP_2)
	v_add3_u32 v23, v23, v25, v24
	v_add_co_u32 v24, vcc_lo, v22, s18
	v_add_co_u32 v31, s3, v22, v4
	s_delay_alu instid0(VALU_DEP_3) | instskip(SKIP_2) | instid1(VALU_DEP_2)
	v_add_co_ci_u32_e32 v25, vcc_lo, s19, v23, vcc_lo
	v_add_co_ci_u32_e64 v21, s3, 0, v23, s3
	s_mov_b32 s3, exec_lo
	v_cmp_gt_i64_e32 vcc_lo, s[12:13], v[24:25]
	v_cndmask_b32_e32 v25, s13, v25, vcc_lo
	v_cndmask_b32_e32 v24, s12, v24, vcc_lo
	v_add_co_u32 v26, vcc_lo, v31, 32
	v_add_co_ci_u32_e32 v27, vcc_lo, 0, v21, vcc_lo
	v_lshlrev_b32_e32 v21, 2, v31
	s_delay_alu instid0(VALU_DEP_2)
	v_cmpx_lt_i64_e64 v[26:27], v[24:25]
	s_cbranch_execz .LBB28_34
; %bb.32:                               ;   in Loop: Header=BB28_30 Depth=1
	ds_load_b32 v33, v21
	v_mov_b32_e32 v32, v30
	s_mov_b32 s29, 0
.LBB28_33:                              ;   Parent Loop BB28_30 Depth=1
                                        ; =>  This Inner Loop Header: Depth=2
	ds_load_b32 v34, v32
	v_add_co_u32 v26, vcc_lo, v26, 32
	v_add_co_ci_u32_e32 v27, vcc_lo, 0, v27, vcc_lo
	s_waitcnt lgkmcnt(1)
	v_dual_max_f32 v33, v33, v33 :: v_dual_add_nc_u32 v32, 0x80, v32
	s_delay_alu instid0(VALU_DEP_2) | instskip(SKIP_3) | instid1(VALU_DEP_1)
	v_cmp_ge_i64_e32 vcc_lo, v[26:27], v[24:25]
	s_or_b32 s29, vcc_lo, s29
	s_waitcnt lgkmcnt(0)
	v_max_f32_e32 v34, v34, v34
	v_max_f32_e32 v33, v33, v34
	ds_store_b32 v21, v33
	s_and_not1_b32 exec_lo, exec_lo, s29
	s_cbranch_execnz .LBB28_33
.LBB28_34:                              ;   in Loop: Header=BB28_30 Depth=1
	s_or_b32 exec_lo, exec_lo, s3
	v_sub_co_u32 v22, vcc_lo, v24, v22
	v_sub_co_ci_u32_e32 v23, vcc_lo, v25, v23, vcc_lo
	s_mov_b32 s3, exec_lo
	s_delay_alu instid0(VALU_DEP_1) | instskip(SKIP_1) | instid1(VALU_DEP_1)
	v_cmp_gt_i64_e32 vcc_lo, 32, v[22:23]
	v_dual_cndmask_b32 v24, 0, v23 :: v_dual_cndmask_b32 v23, 32, v22
	v_cmpx_lt_i64_e64 v[11:12], v[23:24]
	s_cbranch_execz .LBB28_36
; %bb.35:                               ;   in Loop: Header=BB28_30 Depth=1
	v_dual_mov_b32 v22, s25 :: v_dual_add_nc_u32 v25, 64, v21
	v_mov_b32_e32 v26, s25
	flat_load_b32 v27, v[21:22] glc dlc
	s_waitcnt vmcnt(0)
	flat_load_b32 v25, v[25:26] glc dlc
	s_waitcnt vmcnt(0) lgkmcnt(0)
	v_dual_max_f32 v26, v27, v27 :: v_dual_max_f32 v25, v25, v25
	s_delay_alu instid0(VALU_DEP_1)
	v_max_f32_e32 v25, v26, v25
	flat_store_b32 v[21:22], v25 dlc
	s_waitcnt_vscnt null, 0x0
.LBB28_36:                              ;   in Loop: Header=BB28_30 Depth=1
	s_or_b32 exec_lo, exec_lo, s3
	s_delay_alu instid0(SALU_CYCLE_1)
	s_mov_b32 s3, exec_lo
	v_cmpx_lt_i64_e64 v[13:14], v[23:24]
	s_cbranch_execz .LBB28_38
; %bb.37:                               ;   in Loop: Header=BB28_30 Depth=1
	v_dual_mov_b32 v22, s25 :: v_dual_add_nc_u32 v25, 32, v21
	v_mov_b32_e32 v26, s25
	flat_load_b32 v27, v[21:22] glc dlc
	s_waitcnt vmcnt(0)
	flat_load_b32 v25, v[25:26] glc dlc
	s_waitcnt vmcnt(0) lgkmcnt(0)
	v_dual_max_f32 v26, v27, v27 :: v_dual_max_f32 v25, v25, v25
	s_delay_alu instid0(VALU_DEP_1)
	v_max_f32_e32 v25, v26, v25
	flat_store_b32 v[21:22], v25 dlc
	s_waitcnt_vscnt null, 0x0
.LBB28_38:                              ;   in Loop: Header=BB28_30 Depth=1
	s_or_b32 exec_lo, exec_lo, s3
	s_delay_alu instid0(SALU_CYCLE_1)
	s_mov_b32 s3, exec_lo
	v_cmpx_ge_i64_e64 v[15:16], v[23:24]
	s_xor_b32 s3, exec_lo, s3
; %bb.39:                               ;   in Loop: Header=BB28_30 Depth=1
                                        ; implicit-def: $vgpr21
; %bb.40:                               ;   in Loop: Header=BB28_30 Depth=1
	s_delay_alu instid0(SALU_CYCLE_1)
	s_and_not1_saveexec_b32 s3, s3
	s_cbranch_execz .LBB28_42
; %bb.41:                               ;   in Loop: Header=BB28_30 Depth=1
	v_dual_mov_b32 v22, s25 :: v_dual_add_nc_u32 v25, 16, v21
	v_mov_b32_e32 v26, s25
	flat_load_b32 v27, v[21:22] glc dlc
	s_waitcnt vmcnt(0)
	flat_load_b32 v25, v[25:26] glc dlc
	s_waitcnt vmcnt(0) lgkmcnt(0)
	v_dual_max_f32 v26, v27, v27 :: v_dual_max_f32 v25, v25, v25
	s_delay_alu instid0(VALU_DEP_1)
	v_max_f32_e32 v25, v26, v25
	flat_store_b32 v[21:22], v25 dlc
	s_waitcnt_vscnt null, 0x0
.LBB28_42:                              ;   in Loop: Header=BB28_30 Depth=1
	s_or_b32 exec_lo, exec_lo, s3
	v_lshlrev_b32_e32 v21, 2, v31
	s_mov_b32 s3, exec_lo
	v_cmpx_lt_i64_e64 v[17:18], v[23:24]
	s_cbranch_execz .LBB28_44
; %bb.43:                               ;   in Loop: Header=BB28_30 Depth=1
	s_delay_alu instid0(VALU_DEP_2)
	v_dual_mov_b32 v22, s25 :: v_dual_add_nc_u32 v25, 8, v21
	v_mov_b32_e32 v26, s25
	flat_load_b32 v27, v[21:22] glc dlc
	s_waitcnt vmcnt(0)
	flat_load_b32 v25, v[25:26] glc dlc
	s_waitcnt vmcnt(0) lgkmcnt(0)
	v_dual_max_f32 v26, v27, v27 :: v_dual_max_f32 v25, v25, v25
	s_delay_alu instid0(VALU_DEP_1)
	v_max_f32_e32 v25, v26, v25
	flat_store_b32 v[21:22], v25 dlc
	s_waitcnt_vscnt null, 0x0
.LBB28_44:                              ;   in Loop: Header=BB28_30 Depth=1
	s_or_b32 exec_lo, exec_lo, s3
	s_delay_alu instid0(SALU_CYCLE_1)
	s_mov_b32 s3, exec_lo
	v_cmpx_lt_i64_e64 v[19:20], v[23:24]
	s_cbranch_execz .LBB28_28
; %bb.45:                               ;   in Loop: Header=BB28_30 Depth=1
	v_dual_mov_b32 v22, s25 :: v_dual_add_nc_u32 v23, 4, v21
	v_mov_b32_e32 v24, s25
	flat_load_b32 v25, v[21:22] glc dlc
	s_waitcnt vmcnt(0)
	flat_load_b32 v23, v[23:24] glc dlc
	s_waitcnt vmcnt(0) lgkmcnt(0)
	v_dual_max_f32 v24, v25, v25 :: v_dual_max_f32 v23, v23, v23
	s_delay_alu instid0(VALU_DEP_1)
	v_max_f32_e32 v23, v24, v23
	flat_store_b32 v[21:22], v23 dlc
	s_waitcnt_vscnt null, 0x0
	s_branch .LBB28_28
.LBB28_46:
	v_cmp_lt_i64_e32 vcc_lo, v[7:8], v[5:6]
	v_cmp_eq_u32_e64 s3, 0, v3
	s_mul_i32 s9, s17, s15
	s_mul_hi_u32 s18, s16, s15
	s_mul_i32 s16, s16, s15
	s_waitcnt lgkmcnt(0)
	s_and_b32 s17, s3, vcc_lo
	s_barrier
	buffer_gl0_inv
	s_and_saveexec_b32 s3, s17
	s_cbranch_execz .LBB28_50
; %bb.47:
	s_load_b64 s[0:1], s[0:1], 0x20
	ds_load_b32 v3, v29
	s_waitcnt lgkmcnt(0)
	s_cmp_eq_u64 s[0:1], 0
	s_cbranch_scc1 .LBB28_49
; %bb.48:
	s_load_b32 s0, s[0:1], 0x0
	v_max_f32_e32 v3, v3, v3
	s_waitcnt lgkmcnt(0)
	v_max_f32_e64 v4, s0, s0
	s_delay_alu instid0(VALU_DEP_1)
	v_min_f32_e32 v3, v3, v4
.LBB28_49:
	s_delay_alu instid0(VALU_DEP_1) | instskip(SKIP_2) | instid1(VALU_DEP_2)
	v_div_scale_f32 v4, null, 0x43600000, 0x43600000, v3
	v_div_scale_f32 v7, vcc_lo, v3, 0x43600000, v3
	s_add_i32 s17, s18, s9
	v_rcp_f32_e32 v5, v4
	v_lshlrev_b64 v[1:2], 2, v[1:2]
	s_lshl_b64 s[0:1], s[16:17], 2
	s_delay_alu instid0(SALU_CYCLE_1) | instskip(SKIP_3) | instid1(VALU_DEP_1)
	s_add_u32 s0, s6, s0
	s_addc_u32 s1, s7, s1
	s_waitcnt_depctr 0xfff
	v_fma_f32 v6, -v4, v5, 1.0
	v_fmac_f32_e32 v5, v6, v5
	s_delay_alu instid0(VALU_DEP_1) | instskip(NEXT) | instid1(VALU_DEP_1)
	v_mul_f32_e32 v6, v7, v5
	v_fma_f32 v8, -v4, v6, v7
	s_delay_alu instid0(VALU_DEP_1) | instskip(NEXT) | instid1(VALU_DEP_1)
	v_fmac_f32_e32 v6, v8, v5
	v_fma_f32 v4, -v4, v6, v7
	s_delay_alu instid0(VALU_DEP_1) | instskip(SKIP_2) | instid1(VALU_DEP_3)
	v_div_fmas_f32 v4, v4, v5, v6
	v_add_co_u32 v1, vcc_lo, s0, v1
	v_add_co_ci_u32_e32 v2, vcc_lo, s1, v2, vcc_lo
	v_div_fixup_f32 v3, v4, 0x43600000, v3
	s_delay_alu instid0(VALU_DEP_1)
	v_max_f32_e32 v3, 0x37124925, v3
	global_store_b32 v[1:2], v3, off
.LBB28_50:
	s_or_b32 exec_lo, exec_lo, s3
	s_waitcnt_vscnt null, 0x0
	s_barrier
	buffer_gl0_inv
	s_and_saveexec_b32 s0, s2
	s_cbranch_execz .LBB28_187
; %bb.51:
	s_mul_i32 s0, s13, s15
	s_mul_hi_u32 s1, s12, s15
	s_mul_i32 s2, s12, s15
	s_add_i32 s1, s1, s0
	s_add_u32 s2, s4, s2
	s_addc_u32 s3, s5, s1
	s_add_i32 s17, s18, s9
	v_mov_b32_e32 v1, 0
	s_lshl_b64 s[0:1], s[16:17], 2
	s_mul_i32 s4, s27, 3
	s_add_u32 s0, s6, s0
	s_addc_u32 s1, s7, s1
	s_lshl_b32 s5, s27, 1
	s_mov_b32 s6, 0
	s_mov_b32 s7, 0x43600000
	s_branch .LBB28_57
.LBB28_52:                              ;   in Loop: Header=BB28_57 Depth=1
	s_or_b32 exec_lo, exec_lo, s17
.LBB28_53:                              ;   in Loop: Header=BB28_57 Depth=1
	s_delay_alu instid0(SALU_CYCLE_1)
	s_or_b32 exec_lo, exec_lo, s15
	v_lshlrev_b32_e32 v7, 16, v4
	v_lshlrev_b64 v[4:5], 2, v[0:1]
	v_lshlrev_b32_e32 v6, 8, v6
	s_add_i32 s15, s27, s27
	v_and_b32_e32 v8, 0xff, v2
	v_add3_u32 v0, s15, s27, v10
	v_perm_b32 v7, v3, v7, 0x4020c0c
	v_and_b32_e32 v6, 0xff00, v6
	v_add_co_u32 v2, vcc_lo, s2, v4
	v_add_co_ci_u32_e32 v3, vcc_lo, s3, v5, vcc_lo
	v_cmp_le_u32_e32 vcc_lo, s8, v0
	s_delay_alu instid0(VALU_DEP_4)
	v_or3_b32 v4, v7, v6, v8
	s_or_not1_b32 s15, vcc_lo, exec_lo
	global_store_b32 v[2:3], v4, off
.LBB28_54:                              ;   in Loop: Header=BB28_57 Depth=1
	s_or_b32 exec_lo, exec_lo, s13
	s_delay_alu instid0(SALU_CYCLE_1)
	s_or_not1_b32 s13, s15, exec_lo
.LBB28_55:                              ;   in Loop: Header=BB28_57 Depth=1
	s_or_b32 exec_lo, exec_lo, s12
	s_delay_alu instid0(SALU_CYCLE_1)
	s_or_not1_b32 s12, s13, exec_lo
.LBB28_56:                              ;   in Loop: Header=BB28_57 Depth=1
	s_or_b32 exec_lo, exec_lo, s9
	s_delay_alu instid0(SALU_CYCLE_1) | instskip(NEXT) | instid1(SALU_CYCLE_1)
	s_and_b32 s9, exec_lo, s12
	s_or_b32 s6, s9, s6
	s_delay_alu instid0(SALU_CYCLE_1)
	s_and_not1_b32 exec_lo, exec_lo, s6
	s_cbranch_execz .LBB28_187
.LBB28_57:                              ; =>This Inner Loop Header: Depth=1
	v_lshlrev_b64 v[2:3], 4, v[0:1]
	v_lshrrev_b32_e32 v8, 3, v0
	s_mov_b32 s9, exec_lo
	s_delay_alu instid0(VALU_DEP_1) | instskip(NEXT) | instid1(VALU_DEP_3)
	v_and_b32_e32 v10, 0x7fffffc, v8
	v_add_co_u32 v4, vcc_lo, s14, v2
	s_delay_alu instid0(VALU_DEP_4)
	v_add_co_ci_u32_e32 v5, vcc_lo, s26, v3, vcc_lo
	v_add_co_u32 v6, vcc_lo, s10, v2
	v_add_co_ci_u32_e32 v7, vcc_lo, s11, v3, vcc_lo
	global_load_b128 v[2:5], v[4:5], off
	global_load_b128 v[6:9], v[6:7], off
	global_load_b32 v10, v10, s[0:1]
	s_waitcnt vmcnt(2)
	v_mul_f32_e32 v2, v28, v2
	s_waitcnt vmcnt(1)
	s_delay_alu instid0(VALU_DEP_1) | instskip(SKIP_1) | instid1(VALU_DEP_1)
	v_mul_f32_e32 v2, v2, v6
	s_waitcnt vmcnt(0)
	v_div_scale_f32 v6, null, v10, v10, v2
	v_div_scale_f32 v13, vcc_lo, v2, v10, v2
	s_delay_alu instid0(VALU_DEP_2) | instskip(SKIP_2) | instid1(VALU_DEP_1)
	v_rcp_f32_e32 v11, v6
	s_waitcnt_depctr 0xfff
	v_fma_f32 v12, -v6, v11, 1.0
	v_fmac_f32_e32 v11, v12, v11
	s_delay_alu instid0(VALU_DEP_1) | instskip(NEXT) | instid1(VALU_DEP_1)
	v_mul_f32_e32 v12, v13, v11
	v_fma_f32 v14, -v6, v12, v13
	s_delay_alu instid0(VALU_DEP_1) | instskip(NEXT) | instid1(VALU_DEP_1)
	v_fmac_f32_e32 v12, v14, v11
	v_fma_f32 v6, -v6, v12, v13
	s_delay_alu instid0(VALU_DEP_1) | instskip(NEXT) | instid1(VALU_DEP_1)
	v_div_fmas_f32 v6, v6, v11, v12
	v_div_fixup_f32 v2, v6, v10, v2
	v_mov_b32_e32 v6, 0x80
	s_delay_alu instid0(VALU_DEP_2) | instskip(SKIP_1) | instid1(VALU_DEP_2)
	v_minmax_f32 v11, v2, s7, 0xc3600000
	v_mov_b32_e32 v2, 0x80
	v_and_b32_e32 v12, 0x7fffffff, v11
	s_delay_alu instid0(VALU_DEP_1)
	v_cmpx_gt_u32_e32 0x43800000, v12
	s_cbranch_execz .LBB28_63
; %bb.58:                               ;   in Loop: Header=BB28_57 Depth=1
	v_cmp_lt_u32_e32 vcc_lo, 0x3bffffff, v12
	s_mov_b32 s12, 0
                                        ; implicit-def: $vgpr12
	s_and_saveexec_b32 s13, vcc_lo
	s_delay_alu instid0(SALU_CYCLE_1)
	s_xor_b32 s13, exec_lo, s13
	s_cbranch_execnz .LBB28_154
; %bb.59:                               ;   in Loop: Header=BB28_57 Depth=1
	s_or_saveexec_b32 s13, s13
                                        ; implicit-def: $sgpr15
	s_delay_alu instid0(SALU_CYCLE_1)
	s_xor_b32 exec_lo, exec_lo, s13
	s_cbranch_execnz .LBB28_155
.LBB28_60:                              ;   in Loop: Header=BB28_57 Depth=1
	s_or_b32 exec_lo, exec_lo, s13
	v_mov_b32_e32 v6, s15
	s_and_saveexec_b32 s13, s12
.LBB28_61:                              ;   in Loop: Header=BB28_57 Depth=1
	v_lshrrev_b32_e32 v6, 24, v11
	s_delay_alu instid0(VALU_DEP_1)
	v_and_or_b32 v6, 0x80, v6, v12
.LBB28_62:                              ;   in Loop: Header=BB28_57 Depth=1
	s_or_b32 exec_lo, exec_lo, s13
.LBB28_63:                              ;   in Loop: Header=BB28_57 Depth=1
	s_delay_alu instid0(SALU_CYCLE_1) | instskip(SKIP_2) | instid1(VALU_DEP_1)
	s_or_b32 exec_lo, exec_lo, s9
	v_mul_f32_e32 v3, v28, v3
	s_mov_b32 s9, exec_lo
	v_mul_f32_e32 v3, v3, v7
	s_delay_alu instid0(VALU_DEP_1) | instskip(NEXT) | instid1(VALU_DEP_1)
	v_div_scale_f32 v7, null, v10, v10, v3
	v_rcp_f32_e32 v11, v7
	s_waitcnt_depctr 0xfff
	v_fma_f32 v12, -v7, v11, 1.0
	s_delay_alu instid0(VALU_DEP_1) | instskip(SKIP_1) | instid1(VALU_DEP_1)
	v_fmac_f32_e32 v11, v12, v11
	v_div_scale_f32 v12, vcc_lo, v3, v10, v3
	v_mul_f32_e32 v13, v12, v11
	s_delay_alu instid0(VALU_DEP_1) | instskip(NEXT) | instid1(VALU_DEP_1)
	v_fma_f32 v14, -v7, v13, v12
	v_fmac_f32_e32 v13, v14, v11
	s_delay_alu instid0(VALU_DEP_1) | instskip(NEXT) | instid1(VALU_DEP_1)
	v_fma_f32 v7, -v7, v13, v12
	v_div_fmas_f32 v7, v7, v11, v13
	s_delay_alu instid0(VALU_DEP_1) | instskip(NEXT) | instid1(VALU_DEP_1)
	v_div_fixup_f32 v3, v7, v10, v3
	v_minmax_f32 v3, v3, s7, 0xc3600000
	s_delay_alu instid0(VALU_DEP_1) | instskip(NEXT) | instid1(VALU_DEP_1)
	v_and_b32_e32 v7, 0x7fffffff, v3
	v_cmpx_gt_u32_e32 0x43800000, v7
	s_cbranch_execz .LBB28_69
; %bb.64:                               ;   in Loop: Header=BB28_57 Depth=1
	v_cmp_lt_u32_e32 vcc_lo, 0x3bffffff, v7
	s_mov_b32 s12, 0
                                        ; implicit-def: $vgpr7
	s_and_saveexec_b32 s13, vcc_lo
	s_delay_alu instid0(SALU_CYCLE_1)
	s_xor_b32 s13, exec_lo, s13
	s_cbranch_execnz .LBB28_156
; %bb.65:                               ;   in Loop: Header=BB28_57 Depth=1
	s_or_saveexec_b32 s13, s13
                                        ; implicit-def: $sgpr15
	s_delay_alu instid0(SALU_CYCLE_1)
	s_xor_b32 exec_lo, exec_lo, s13
	s_cbranch_execnz .LBB28_157
.LBB28_66:                              ;   in Loop: Header=BB28_57 Depth=1
	s_or_b32 exec_lo, exec_lo, s13
	v_mov_b32_e32 v2, s15
	s_and_saveexec_b32 s13, s12
.LBB28_67:                              ;   in Loop: Header=BB28_57 Depth=1
	v_lshrrev_b32_e32 v2, 24, v3
	s_delay_alu instid0(VALU_DEP_1)
	v_and_or_b32 v2, 0x80, v2, v7
.LBB28_68:                              ;   in Loop: Header=BB28_57 Depth=1
	s_or_b32 exec_lo, exec_lo, s13
.LBB28_69:                              ;   in Loop: Header=BB28_57 Depth=1
	s_delay_alu instid0(SALU_CYCLE_1) | instskip(SKIP_2) | instid1(VALU_DEP_1)
	s_or_b32 exec_lo, exec_lo, s9
	v_mul_f32_e32 v3, v28, v4
	s_mov_b32 s9, exec_lo
	v_mul_f32_e32 v3, v3, v8
	s_delay_alu instid0(VALU_DEP_1) | instskip(SKIP_1) | instid1(VALU_DEP_2)
	v_div_scale_f32 v4, null, v10, v10, v3
	v_div_scale_f32 v11, vcc_lo, v3, v10, v3
	v_rcp_f32_e32 v7, v4
	s_waitcnt_depctr 0xfff
	v_fma_f32 v8, -v4, v7, 1.0
	s_delay_alu instid0(VALU_DEP_1) | instskip(NEXT) | instid1(VALU_DEP_1)
	v_fmac_f32_e32 v7, v8, v7
	v_mul_f32_e32 v8, v11, v7
	s_delay_alu instid0(VALU_DEP_1) | instskip(NEXT) | instid1(VALU_DEP_1)
	v_fma_f32 v12, -v4, v8, v11
	v_fmac_f32_e32 v8, v12, v7
	s_delay_alu instid0(VALU_DEP_1) | instskip(NEXT) | instid1(VALU_DEP_1)
	v_fma_f32 v4, -v4, v8, v11
	v_div_fmas_f32 v4, v4, v7, v8
	s_delay_alu instid0(VALU_DEP_1) | instskip(SKIP_1) | instid1(VALU_DEP_2)
	v_div_fixup_f32 v3, v4, v10, v3
	v_mov_b32_e32 v4, 0x80
	v_minmax_f32 v7, v3, s7, 0xc3600000
	v_mov_b32_e32 v3, 0x80
	s_delay_alu instid0(VALU_DEP_2) | instskip(NEXT) | instid1(VALU_DEP_1)
	v_and_b32_e32 v8, 0x7fffffff, v7
	v_cmpx_gt_u32_e32 0x43800000, v8
	s_cbranch_execz .LBB28_75
; %bb.70:                               ;   in Loop: Header=BB28_57 Depth=1
	v_cmp_lt_u32_e32 vcc_lo, 0x3bffffff, v8
	s_mov_b32 s12, 0
                                        ; implicit-def: $vgpr8
	s_and_saveexec_b32 s13, vcc_lo
	s_delay_alu instid0(SALU_CYCLE_1)
	s_xor_b32 s13, exec_lo, s13
	s_cbranch_execnz .LBB28_158
; %bb.71:                               ;   in Loop: Header=BB28_57 Depth=1
	s_or_saveexec_b32 s13, s13
                                        ; implicit-def: $sgpr15
	s_delay_alu instid0(SALU_CYCLE_1)
	s_xor_b32 exec_lo, exec_lo, s13
	s_cbranch_execnz .LBB28_159
.LBB28_72:                              ;   in Loop: Header=BB28_57 Depth=1
	s_or_b32 exec_lo, exec_lo, s13
	v_mov_b32_e32 v4, s15
	s_and_saveexec_b32 s13, s12
.LBB28_73:                              ;   in Loop: Header=BB28_57 Depth=1
	v_lshrrev_b32_e32 v4, 24, v7
	s_delay_alu instid0(VALU_DEP_1)
	v_and_or_b32 v4, 0x80, v4, v8
.LBB28_74:                              ;   in Loop: Header=BB28_57 Depth=1
	s_or_b32 exec_lo, exec_lo, s13
.LBB28_75:                              ;   in Loop: Header=BB28_57 Depth=1
	s_delay_alu instid0(SALU_CYCLE_1) | instskip(SKIP_2) | instid1(VALU_DEP_1)
	s_or_b32 exec_lo, exec_lo, s9
	v_mul_f32_e32 v5, v28, v5
	s_mov_b32 s9, exec_lo
	v_mul_f32_e32 v5, v5, v9
	s_delay_alu instid0(VALU_DEP_1) | instskip(NEXT) | instid1(VALU_DEP_1)
	v_div_scale_f32 v7, null, v10, v10, v5
	v_rcp_f32_e32 v8, v7
	s_waitcnt_depctr 0xfff
	v_fma_f32 v9, -v7, v8, 1.0
	s_delay_alu instid0(VALU_DEP_1) | instskip(SKIP_1) | instid1(VALU_DEP_1)
	v_fmac_f32_e32 v8, v9, v8
	v_div_scale_f32 v9, vcc_lo, v5, v10, v5
	v_mul_f32_e32 v11, v9, v8
	s_delay_alu instid0(VALU_DEP_1) | instskip(NEXT) | instid1(VALU_DEP_1)
	v_fma_f32 v12, -v7, v11, v9
	v_fmac_f32_e32 v11, v12, v8
	s_delay_alu instid0(VALU_DEP_1) | instskip(NEXT) | instid1(VALU_DEP_1)
	v_fma_f32 v7, -v7, v11, v9
	v_div_fmas_f32 v7, v7, v8, v11
	s_delay_alu instid0(VALU_DEP_1) | instskip(NEXT) | instid1(VALU_DEP_1)
	v_div_fixup_f32 v5, v7, v10, v5
	v_minmax_f32 v5, v5, s7, 0xc3600000
	s_delay_alu instid0(VALU_DEP_1) | instskip(NEXT) | instid1(VALU_DEP_1)
	v_and_b32_e32 v7, 0x7fffffff, v5
	v_cmpx_gt_u32_e32 0x43800000, v7
	s_cbranch_execz .LBB28_81
; %bb.76:                               ;   in Loop: Header=BB28_57 Depth=1
	v_cmp_lt_u32_e32 vcc_lo, 0x3bffffff, v7
	s_mov_b32 s12, 0
                                        ; implicit-def: $vgpr7
	s_and_saveexec_b32 s13, vcc_lo
	s_delay_alu instid0(SALU_CYCLE_1)
	s_xor_b32 s13, exec_lo, s13
	s_cbranch_execnz .LBB28_160
; %bb.77:                               ;   in Loop: Header=BB28_57 Depth=1
	s_or_saveexec_b32 s13, s13
                                        ; implicit-def: $sgpr15
	s_delay_alu instid0(SALU_CYCLE_1)
	s_xor_b32 exec_lo, exec_lo, s13
	s_cbranch_execnz .LBB28_161
.LBB28_78:                              ;   in Loop: Header=BB28_57 Depth=1
	s_or_b32 exec_lo, exec_lo, s13
	v_mov_b32_e32 v3, s15
	s_and_saveexec_b32 s13, s12
.LBB28_79:                              ;   in Loop: Header=BB28_57 Depth=1
	v_lshrrev_b32_e32 v3, 24, v5
	s_delay_alu instid0(VALU_DEP_1)
	v_and_or_b32 v3, 0x80, v3, v7
.LBB28_80:                              ;   in Loop: Header=BB28_57 Depth=1
	s_or_b32 exec_lo, exec_lo, s13
.LBB28_81:                              ;   in Loop: Header=BB28_57 Depth=1
	s_delay_alu instid0(SALU_CYCLE_1)
	s_or_b32 exec_lo, exec_lo, s9
	v_lshlrev_b32_e32 v7, 16, v4
	v_lshlrev_b32_e32 v2, 8, v2
	v_lshlrev_b64 v[4:5], 2, v[0:1]
	v_and_b32_e32 v6, 0xff, v6
	v_add_nc_u32_e32 v10, s27, v0
	v_perm_b32 v7, v3, v7, 0x4020c0c
	v_and_b32_e32 v8, 0xff00, v2
	s_mov_b32 s12, -1
	v_add_co_u32 v2, vcc_lo, s2, v4
	v_add_co_ci_u32_e32 v3, vcc_lo, s3, v5, vcc_lo
	s_delay_alu instid0(VALU_DEP_3)
	v_or3_b32 v4, v7, v8, v6
	s_mov_b32 s9, exec_lo
	global_store_b32 v[2:3], v4, off
	v_cmpx_gt_u32_e64 s8, v10
	s_cbranch_execz .LBB28_56
; %bb.82:                               ;   in Loop: Header=BB28_57 Depth=1
	v_lshrrev_b32_e32 v8, 3, v10
	v_mov_b32_e32 v11, v1
	s_mov_b32 s12, exec_lo
	s_delay_alu instid0(VALU_DEP_2) | instskip(NEXT) | instid1(VALU_DEP_2)
	v_and_b32_e32 v12, 0x7fffffc, v8
	v_lshlrev_b64 v[2:3], 4, v[10:11]
	s_delay_alu instid0(VALU_DEP_1) | instskip(NEXT) | instid1(VALU_DEP_2)
	v_add_co_u32 v4, vcc_lo, s14, v2
	v_add_co_ci_u32_e32 v5, vcc_lo, s26, v3, vcc_lo
	v_add_co_u32 v6, vcc_lo, s10, v2
	v_add_co_ci_u32_e32 v7, vcc_lo, s11, v3, vcc_lo
	global_load_b128 v[2:5], v[4:5], off
	global_load_b128 v[6:9], v[6:7], off
	global_load_b32 v12, v12, s[0:1]
	s_waitcnt vmcnt(2)
	v_mul_f32_e32 v2, v28, v2
	s_waitcnt vmcnt(1)
	s_delay_alu instid0(VALU_DEP_1) | instskip(SKIP_1) | instid1(VALU_DEP_1)
	v_mul_f32_e32 v2, v2, v6
	s_waitcnt vmcnt(0)
	v_div_scale_f32 v6, null, v12, v12, v2
	v_div_scale_f32 v15, vcc_lo, v2, v12, v2
	s_delay_alu instid0(VALU_DEP_2) | instskip(SKIP_2) | instid1(VALU_DEP_1)
	v_rcp_f32_e32 v13, v6
	s_waitcnt_depctr 0xfff
	v_fma_f32 v14, -v6, v13, 1.0
	v_fmac_f32_e32 v13, v14, v13
	s_delay_alu instid0(VALU_DEP_1) | instskip(NEXT) | instid1(VALU_DEP_1)
	v_mul_f32_e32 v14, v15, v13
	v_fma_f32 v16, -v6, v14, v15
	s_delay_alu instid0(VALU_DEP_1) | instskip(NEXT) | instid1(VALU_DEP_1)
	v_fmac_f32_e32 v14, v16, v13
	v_fma_f32 v6, -v6, v14, v15
	s_delay_alu instid0(VALU_DEP_1) | instskip(NEXT) | instid1(VALU_DEP_1)
	v_div_fmas_f32 v6, v6, v13, v14
	v_div_fixup_f32 v2, v6, v12, v2
	v_mov_b32_e32 v6, 0x80
	s_delay_alu instid0(VALU_DEP_2) | instskip(SKIP_1) | instid1(VALU_DEP_2)
	v_minmax_f32 v13, v2, s7, 0xc3600000
	v_mov_b32_e32 v2, 0x80
	v_and_b32_e32 v14, 0x7fffffff, v13
	s_delay_alu instid0(VALU_DEP_1)
	v_cmpx_gt_u32_e32 0x43800000, v14
	s_cbranch_execz .LBB28_88
; %bb.83:                               ;   in Loop: Header=BB28_57 Depth=1
	v_cmp_lt_u32_e32 vcc_lo, 0x3bffffff, v14
	s_mov_b32 s13, 0
                                        ; implicit-def: $vgpr14
	s_and_saveexec_b32 s15, vcc_lo
	s_delay_alu instid0(SALU_CYCLE_1)
	s_xor_b32 s15, exec_lo, s15
	s_cbranch_execnz .LBB28_162
; %bb.84:                               ;   in Loop: Header=BB28_57 Depth=1
	s_or_saveexec_b32 s15, s15
                                        ; implicit-def: $sgpr16
	s_delay_alu instid0(SALU_CYCLE_1)
	s_xor_b32 exec_lo, exec_lo, s15
	s_cbranch_execnz .LBB28_163
.LBB28_85:                              ;   in Loop: Header=BB28_57 Depth=1
	s_or_b32 exec_lo, exec_lo, s15
	v_mov_b32_e32 v2, s16
	s_and_saveexec_b32 s15, s13
.LBB28_86:                              ;   in Loop: Header=BB28_57 Depth=1
	v_lshrrev_b32_e32 v2, 24, v13
	s_delay_alu instid0(VALU_DEP_1)
	v_and_or_b32 v2, 0x80, v2, v14
.LBB28_87:                              ;   in Loop: Header=BB28_57 Depth=1
	s_or_b32 exec_lo, exec_lo, s15
.LBB28_88:                              ;   in Loop: Header=BB28_57 Depth=1
	s_delay_alu instid0(SALU_CYCLE_1) | instskip(SKIP_2) | instid1(VALU_DEP_1)
	s_or_b32 exec_lo, exec_lo, s12
	v_mul_f32_e32 v3, v28, v3
	s_mov_b32 s12, exec_lo
	v_mul_f32_e32 v3, v3, v7
	s_delay_alu instid0(VALU_DEP_1) | instskip(NEXT) | instid1(VALU_DEP_1)
	v_div_scale_f32 v7, null, v12, v12, v3
	v_rcp_f32_e32 v13, v7
	s_waitcnt_depctr 0xfff
	v_fma_f32 v14, -v7, v13, 1.0
	s_delay_alu instid0(VALU_DEP_1) | instskip(SKIP_1) | instid1(VALU_DEP_1)
	v_fmac_f32_e32 v13, v14, v13
	v_div_scale_f32 v14, vcc_lo, v3, v12, v3
	v_mul_f32_e32 v15, v14, v13
	s_delay_alu instid0(VALU_DEP_1) | instskip(NEXT) | instid1(VALU_DEP_1)
	v_fma_f32 v16, -v7, v15, v14
	v_fmac_f32_e32 v15, v16, v13
	s_delay_alu instid0(VALU_DEP_1) | instskip(NEXT) | instid1(VALU_DEP_1)
	v_fma_f32 v7, -v7, v15, v14
	v_div_fmas_f32 v7, v7, v13, v15
	s_delay_alu instid0(VALU_DEP_1) | instskip(NEXT) | instid1(VALU_DEP_1)
	v_div_fixup_f32 v3, v7, v12, v3
	v_minmax_f32 v3, v3, s7, 0xc3600000
	s_delay_alu instid0(VALU_DEP_1) | instskip(NEXT) | instid1(VALU_DEP_1)
	v_and_b32_e32 v7, 0x7fffffff, v3
	v_cmpx_gt_u32_e32 0x43800000, v7
	s_cbranch_execz .LBB28_94
; %bb.89:                               ;   in Loop: Header=BB28_57 Depth=1
	v_cmp_lt_u32_e32 vcc_lo, 0x3bffffff, v7
	s_mov_b32 s13, 0
                                        ; implicit-def: $vgpr7
	s_and_saveexec_b32 s15, vcc_lo
	s_delay_alu instid0(SALU_CYCLE_1)
	s_xor_b32 s15, exec_lo, s15
	s_cbranch_execnz .LBB28_164
; %bb.90:                               ;   in Loop: Header=BB28_57 Depth=1
	s_or_saveexec_b32 s15, s15
                                        ; implicit-def: $sgpr16
	s_delay_alu instid0(SALU_CYCLE_1)
	s_xor_b32 exec_lo, exec_lo, s15
	s_cbranch_execnz .LBB28_165
.LBB28_91:                              ;   in Loop: Header=BB28_57 Depth=1
	s_or_b32 exec_lo, exec_lo, s15
	v_mov_b32_e32 v6, s16
	s_and_saveexec_b32 s15, s13
.LBB28_92:                              ;   in Loop: Header=BB28_57 Depth=1
	v_lshrrev_b32_e32 v3, 24, v3
	s_delay_alu instid0(VALU_DEP_1)
	v_and_or_b32 v6, 0x80, v3, v7
.LBB28_93:                              ;   in Loop: Header=BB28_57 Depth=1
	s_or_b32 exec_lo, exec_lo, s15
.LBB28_94:                              ;   in Loop: Header=BB28_57 Depth=1
	s_delay_alu instid0(SALU_CYCLE_1) | instskip(SKIP_2) | instid1(VALU_DEP_1)
	s_or_b32 exec_lo, exec_lo, s12
	v_mul_f32_e32 v3, v28, v4
	s_mov_b32 s12, exec_lo
	v_mul_f32_e32 v3, v3, v8
	s_delay_alu instid0(VALU_DEP_1) | instskip(SKIP_1) | instid1(VALU_DEP_2)
	v_div_scale_f32 v4, null, v12, v12, v3
	v_div_scale_f32 v13, vcc_lo, v3, v12, v3
	v_rcp_f32_e32 v7, v4
	s_waitcnt_depctr 0xfff
	v_fma_f32 v8, -v4, v7, 1.0
	s_delay_alu instid0(VALU_DEP_1) | instskip(NEXT) | instid1(VALU_DEP_1)
	v_fmac_f32_e32 v7, v8, v7
	v_mul_f32_e32 v8, v13, v7
	s_delay_alu instid0(VALU_DEP_1) | instskip(NEXT) | instid1(VALU_DEP_1)
	v_fma_f32 v14, -v4, v8, v13
	v_fmac_f32_e32 v8, v14, v7
	s_delay_alu instid0(VALU_DEP_1) | instskip(NEXT) | instid1(VALU_DEP_1)
	v_fma_f32 v4, -v4, v8, v13
	v_div_fmas_f32 v4, v4, v7, v8
	s_delay_alu instid0(VALU_DEP_1) | instskip(SKIP_1) | instid1(VALU_DEP_2)
	v_div_fixup_f32 v3, v4, v12, v3
	v_mov_b32_e32 v4, 0x80
	v_minmax_f32 v7, v3, s7, 0xc3600000
	v_mov_b32_e32 v3, 0x80
	s_delay_alu instid0(VALU_DEP_2) | instskip(NEXT) | instid1(VALU_DEP_1)
	v_and_b32_e32 v8, 0x7fffffff, v7
	v_cmpx_gt_u32_e32 0x43800000, v8
	s_cbranch_execz .LBB28_100
; %bb.95:                               ;   in Loop: Header=BB28_57 Depth=1
	v_cmp_lt_u32_e32 vcc_lo, 0x3bffffff, v8
	s_mov_b32 s13, 0
                                        ; implicit-def: $vgpr8
	s_and_saveexec_b32 s15, vcc_lo
	s_delay_alu instid0(SALU_CYCLE_1)
	s_xor_b32 s15, exec_lo, s15
	s_cbranch_execnz .LBB28_166
; %bb.96:                               ;   in Loop: Header=BB28_57 Depth=1
	s_or_saveexec_b32 s15, s15
                                        ; implicit-def: $sgpr16
	s_delay_alu instid0(SALU_CYCLE_1)
	s_xor_b32 exec_lo, exec_lo, s15
	s_cbranch_execnz .LBB28_167
.LBB28_97:                              ;   in Loop: Header=BB28_57 Depth=1
	s_or_b32 exec_lo, exec_lo, s15
	v_mov_b32_e32 v4, s16
	s_and_saveexec_b32 s15, s13
.LBB28_98:                              ;   in Loop: Header=BB28_57 Depth=1
	v_lshrrev_b32_e32 v4, 24, v7
	s_delay_alu instid0(VALU_DEP_1)
	v_and_or_b32 v4, 0x80, v4, v8
.LBB28_99:                              ;   in Loop: Header=BB28_57 Depth=1
	s_or_b32 exec_lo, exec_lo, s15
.LBB28_100:                             ;   in Loop: Header=BB28_57 Depth=1
	s_delay_alu instid0(SALU_CYCLE_1) | instskip(SKIP_2) | instid1(VALU_DEP_1)
	s_or_b32 exec_lo, exec_lo, s12
	v_mul_f32_e32 v5, v28, v5
	s_mov_b32 s12, exec_lo
	v_mul_f32_e32 v5, v5, v9
	s_delay_alu instid0(VALU_DEP_1) | instskip(NEXT) | instid1(VALU_DEP_1)
	v_div_scale_f32 v7, null, v12, v12, v5
	v_rcp_f32_e32 v8, v7
	s_waitcnt_depctr 0xfff
	v_fma_f32 v9, -v7, v8, 1.0
	s_delay_alu instid0(VALU_DEP_1) | instskip(SKIP_1) | instid1(VALU_DEP_1)
	v_fmac_f32_e32 v8, v9, v8
	v_div_scale_f32 v9, vcc_lo, v5, v12, v5
	v_mul_f32_e32 v13, v9, v8
	s_delay_alu instid0(VALU_DEP_1) | instskip(NEXT) | instid1(VALU_DEP_1)
	v_fma_f32 v14, -v7, v13, v9
	v_fmac_f32_e32 v13, v14, v8
	s_delay_alu instid0(VALU_DEP_1) | instskip(NEXT) | instid1(VALU_DEP_1)
	v_fma_f32 v7, -v7, v13, v9
	v_div_fmas_f32 v7, v7, v8, v13
	s_delay_alu instid0(VALU_DEP_1) | instskip(NEXT) | instid1(VALU_DEP_1)
	v_div_fixup_f32 v5, v7, v12, v5
	v_minmax_f32 v5, v5, s7, 0xc3600000
	s_delay_alu instid0(VALU_DEP_1) | instskip(NEXT) | instid1(VALU_DEP_1)
	v_and_b32_e32 v7, 0x7fffffff, v5
	v_cmpx_gt_u32_e32 0x43800000, v7
	s_cbranch_execz .LBB28_106
; %bb.101:                              ;   in Loop: Header=BB28_57 Depth=1
	v_cmp_lt_u32_e32 vcc_lo, 0x3bffffff, v7
	s_mov_b32 s13, 0
                                        ; implicit-def: $vgpr7
	s_and_saveexec_b32 s15, vcc_lo
	s_delay_alu instid0(SALU_CYCLE_1)
	s_xor_b32 s15, exec_lo, s15
	s_cbranch_execnz .LBB28_168
; %bb.102:                              ;   in Loop: Header=BB28_57 Depth=1
	s_or_saveexec_b32 s15, s15
                                        ; implicit-def: $sgpr16
	s_delay_alu instid0(SALU_CYCLE_1)
	s_xor_b32 exec_lo, exec_lo, s15
	s_cbranch_execnz .LBB28_169
.LBB28_103:                             ;   in Loop: Header=BB28_57 Depth=1
	s_or_b32 exec_lo, exec_lo, s15
	v_mov_b32_e32 v3, s16
	s_and_saveexec_b32 s15, s13
.LBB28_104:                             ;   in Loop: Header=BB28_57 Depth=1
	v_lshrrev_b32_e32 v3, 24, v5
	s_delay_alu instid0(VALU_DEP_1)
	v_and_or_b32 v3, 0x80, v3, v7
.LBB28_105:                             ;   in Loop: Header=BB28_57 Depth=1
	s_or_b32 exec_lo, exec_lo, s15
.LBB28_106:                             ;   in Loop: Header=BB28_57 Depth=1
	s_delay_alu instid0(SALU_CYCLE_1)
	s_or_b32 exec_lo, exec_lo, s12
	v_lshlrev_b32_e32 v7, 16, v4
	v_lshlrev_b32_e32 v6, 8, v6
	v_lshlrev_b64 v[4:5], 2, v[10:11]
	v_and_b32_e32 v8, 0xff, v2
	v_add_nc_u32_e32 v11, s5, v0
	v_perm_b32 v7, v3, v7, 0x4020c0c
	v_and_b32_e32 v6, 0xff00, v6
	s_mov_b32 s13, -1
	v_add_co_u32 v2, vcc_lo, s2, v4
	v_add_co_ci_u32_e32 v3, vcc_lo, s3, v5, vcc_lo
	s_delay_alu instid0(VALU_DEP_3)
	v_or3_b32 v4, v7, v6, v8
	s_mov_b32 s12, exec_lo
	global_store_b32 v[2:3], v4, off
	v_cmpx_gt_u32_e64 s8, v11
	s_cbranch_execz .LBB28_55
; %bb.107:                              ;   in Loop: Header=BB28_57 Depth=1
	v_lshrrev_b32_e32 v8, 3, v11
	v_mov_b32_e32 v12, v1
	s_mov_b32 s13, exec_lo
	s_delay_alu instid0(VALU_DEP_2) | instskip(NEXT) | instid1(VALU_DEP_2)
	v_and_b32_e32 v13, 0x7fffffc, v8
	v_lshlrev_b64 v[2:3], 4, v[11:12]
	s_delay_alu instid0(VALU_DEP_1) | instskip(NEXT) | instid1(VALU_DEP_2)
	v_add_co_u32 v4, vcc_lo, s14, v2
	v_add_co_ci_u32_e32 v5, vcc_lo, s26, v3, vcc_lo
	v_add_co_u32 v6, vcc_lo, s10, v2
	v_add_co_ci_u32_e32 v7, vcc_lo, s11, v3, vcc_lo
	global_load_b128 v[2:5], v[4:5], off
	global_load_b128 v[6:9], v[6:7], off
	global_load_b32 v13, v13, s[0:1]
	s_waitcnt vmcnt(2)
	v_mul_f32_e32 v2, v28, v2
	s_waitcnt vmcnt(1)
	s_delay_alu instid0(VALU_DEP_1) | instskip(SKIP_1) | instid1(VALU_DEP_1)
	v_mul_f32_e32 v2, v2, v6
	s_waitcnt vmcnt(0)
	v_div_scale_f32 v6, null, v13, v13, v2
	v_div_scale_f32 v16, vcc_lo, v2, v13, v2
	s_delay_alu instid0(VALU_DEP_2) | instskip(SKIP_2) | instid1(VALU_DEP_1)
	v_rcp_f32_e32 v14, v6
	s_waitcnt_depctr 0xfff
	v_fma_f32 v15, -v6, v14, 1.0
	v_fmac_f32_e32 v14, v15, v14
	s_delay_alu instid0(VALU_DEP_1) | instskip(NEXT) | instid1(VALU_DEP_1)
	v_mul_f32_e32 v15, v16, v14
	v_fma_f32 v17, -v6, v15, v16
	s_delay_alu instid0(VALU_DEP_1) | instskip(NEXT) | instid1(VALU_DEP_1)
	v_fmac_f32_e32 v15, v17, v14
	v_fma_f32 v6, -v6, v15, v16
	s_delay_alu instid0(VALU_DEP_1) | instskip(NEXT) | instid1(VALU_DEP_1)
	v_div_fmas_f32 v6, v6, v14, v15
	v_div_fixup_f32 v2, v6, v13, v2
	v_mov_b32_e32 v6, 0x80
	s_delay_alu instid0(VALU_DEP_2) | instskip(SKIP_1) | instid1(VALU_DEP_2)
	v_minmax_f32 v14, v2, s7, 0xc3600000
	v_mov_b32_e32 v2, 0x80
	v_and_b32_e32 v15, 0x7fffffff, v14
	s_delay_alu instid0(VALU_DEP_1)
	v_cmpx_gt_u32_e32 0x43800000, v15
	s_cbranch_execz .LBB28_113
; %bb.108:                              ;   in Loop: Header=BB28_57 Depth=1
	v_cmp_lt_u32_e32 vcc_lo, 0x3bffffff, v15
	s_mov_b32 s15, 0
                                        ; implicit-def: $vgpr15
	s_and_saveexec_b32 s16, vcc_lo
	s_delay_alu instid0(SALU_CYCLE_1)
	s_xor_b32 s16, exec_lo, s16
	s_cbranch_execnz .LBB28_170
; %bb.109:                              ;   in Loop: Header=BB28_57 Depth=1
	s_or_saveexec_b32 s16, s16
                                        ; implicit-def: $sgpr17
	s_delay_alu instid0(SALU_CYCLE_1)
	s_xor_b32 exec_lo, exec_lo, s16
	s_cbranch_execnz .LBB28_171
.LBB28_110:                             ;   in Loop: Header=BB28_57 Depth=1
	s_or_b32 exec_lo, exec_lo, s16
	v_mov_b32_e32 v2, s17
	s_and_saveexec_b32 s16, s15
.LBB28_111:                             ;   in Loop: Header=BB28_57 Depth=1
	v_lshrrev_b32_e32 v2, 24, v14
	s_delay_alu instid0(VALU_DEP_1)
	v_and_or_b32 v2, 0x80, v2, v15
.LBB28_112:                             ;   in Loop: Header=BB28_57 Depth=1
	s_or_b32 exec_lo, exec_lo, s16
.LBB28_113:                             ;   in Loop: Header=BB28_57 Depth=1
	s_delay_alu instid0(SALU_CYCLE_1) | instskip(SKIP_2) | instid1(VALU_DEP_1)
	s_or_b32 exec_lo, exec_lo, s13
	v_mul_f32_e32 v3, v28, v3
	s_mov_b32 s13, exec_lo
	v_mul_f32_e32 v3, v3, v7
	s_delay_alu instid0(VALU_DEP_1) | instskip(NEXT) | instid1(VALU_DEP_1)
	v_div_scale_f32 v7, null, v13, v13, v3
	v_rcp_f32_e32 v14, v7
	s_waitcnt_depctr 0xfff
	v_fma_f32 v15, -v7, v14, 1.0
	s_delay_alu instid0(VALU_DEP_1) | instskip(SKIP_1) | instid1(VALU_DEP_1)
	v_fmac_f32_e32 v14, v15, v14
	v_div_scale_f32 v15, vcc_lo, v3, v13, v3
	v_mul_f32_e32 v16, v15, v14
	s_delay_alu instid0(VALU_DEP_1) | instskip(NEXT) | instid1(VALU_DEP_1)
	v_fma_f32 v17, -v7, v16, v15
	v_fmac_f32_e32 v16, v17, v14
	s_delay_alu instid0(VALU_DEP_1) | instskip(NEXT) | instid1(VALU_DEP_1)
	v_fma_f32 v7, -v7, v16, v15
	v_div_fmas_f32 v7, v7, v14, v16
	s_delay_alu instid0(VALU_DEP_1) | instskip(NEXT) | instid1(VALU_DEP_1)
	v_div_fixup_f32 v3, v7, v13, v3
	v_minmax_f32 v3, v3, s7, 0xc3600000
	s_delay_alu instid0(VALU_DEP_1) | instskip(NEXT) | instid1(VALU_DEP_1)
	v_and_b32_e32 v7, 0x7fffffff, v3
	v_cmpx_gt_u32_e32 0x43800000, v7
	s_cbranch_execz .LBB28_119
; %bb.114:                              ;   in Loop: Header=BB28_57 Depth=1
	v_cmp_lt_u32_e32 vcc_lo, 0x3bffffff, v7
	s_mov_b32 s15, 0
                                        ; implicit-def: $vgpr7
	s_and_saveexec_b32 s16, vcc_lo
	s_delay_alu instid0(SALU_CYCLE_1)
	s_xor_b32 s16, exec_lo, s16
	s_cbranch_execnz .LBB28_172
; %bb.115:                              ;   in Loop: Header=BB28_57 Depth=1
	s_or_saveexec_b32 s16, s16
                                        ; implicit-def: $sgpr17
	s_delay_alu instid0(SALU_CYCLE_1)
	s_xor_b32 exec_lo, exec_lo, s16
	s_cbranch_execnz .LBB28_173
.LBB28_116:                             ;   in Loop: Header=BB28_57 Depth=1
	s_or_b32 exec_lo, exec_lo, s16
	v_mov_b32_e32 v6, s17
	s_and_saveexec_b32 s16, s15
.LBB28_117:                             ;   in Loop: Header=BB28_57 Depth=1
	v_lshrrev_b32_e32 v3, 24, v3
	s_delay_alu instid0(VALU_DEP_1)
	v_and_or_b32 v6, 0x80, v3, v7
.LBB28_118:                             ;   in Loop: Header=BB28_57 Depth=1
	s_or_b32 exec_lo, exec_lo, s16
.LBB28_119:                             ;   in Loop: Header=BB28_57 Depth=1
	s_delay_alu instid0(SALU_CYCLE_1) | instskip(SKIP_2) | instid1(VALU_DEP_1)
	s_or_b32 exec_lo, exec_lo, s13
	v_mul_f32_e32 v3, v28, v4
	s_mov_b32 s13, exec_lo
	v_mul_f32_e32 v3, v3, v8
	s_delay_alu instid0(VALU_DEP_1) | instskip(SKIP_1) | instid1(VALU_DEP_2)
	v_div_scale_f32 v4, null, v13, v13, v3
	v_div_scale_f32 v14, vcc_lo, v3, v13, v3
	v_rcp_f32_e32 v7, v4
	s_waitcnt_depctr 0xfff
	v_fma_f32 v8, -v4, v7, 1.0
	s_delay_alu instid0(VALU_DEP_1) | instskip(NEXT) | instid1(VALU_DEP_1)
	v_fmac_f32_e32 v7, v8, v7
	v_mul_f32_e32 v8, v14, v7
	s_delay_alu instid0(VALU_DEP_1) | instskip(NEXT) | instid1(VALU_DEP_1)
	v_fma_f32 v15, -v4, v8, v14
	v_fmac_f32_e32 v8, v15, v7
	s_delay_alu instid0(VALU_DEP_1) | instskip(NEXT) | instid1(VALU_DEP_1)
	v_fma_f32 v4, -v4, v8, v14
	v_div_fmas_f32 v4, v4, v7, v8
	s_delay_alu instid0(VALU_DEP_1) | instskip(SKIP_1) | instid1(VALU_DEP_2)
	v_div_fixup_f32 v3, v4, v13, v3
	v_mov_b32_e32 v4, 0x80
	v_minmax_f32 v7, v3, s7, 0xc3600000
	v_mov_b32_e32 v3, 0x80
	s_delay_alu instid0(VALU_DEP_2) | instskip(NEXT) | instid1(VALU_DEP_1)
	v_and_b32_e32 v8, 0x7fffffff, v7
	v_cmpx_gt_u32_e32 0x43800000, v8
	s_cbranch_execz .LBB28_125
; %bb.120:                              ;   in Loop: Header=BB28_57 Depth=1
	v_cmp_lt_u32_e32 vcc_lo, 0x3bffffff, v8
	s_mov_b32 s15, 0
                                        ; implicit-def: $vgpr8
	s_and_saveexec_b32 s16, vcc_lo
	s_delay_alu instid0(SALU_CYCLE_1)
	s_xor_b32 s16, exec_lo, s16
	s_cbranch_execnz .LBB28_174
; %bb.121:                              ;   in Loop: Header=BB28_57 Depth=1
	s_or_saveexec_b32 s16, s16
                                        ; implicit-def: $sgpr17
	s_delay_alu instid0(SALU_CYCLE_1)
	s_xor_b32 exec_lo, exec_lo, s16
	s_cbranch_execnz .LBB28_175
.LBB28_122:                             ;   in Loop: Header=BB28_57 Depth=1
	s_or_b32 exec_lo, exec_lo, s16
	v_mov_b32_e32 v4, s17
	s_and_saveexec_b32 s16, s15
.LBB28_123:                             ;   in Loop: Header=BB28_57 Depth=1
	v_lshrrev_b32_e32 v4, 24, v7
	s_delay_alu instid0(VALU_DEP_1)
	v_and_or_b32 v4, 0x80, v4, v8
.LBB28_124:                             ;   in Loop: Header=BB28_57 Depth=1
	s_or_b32 exec_lo, exec_lo, s16
.LBB28_125:                             ;   in Loop: Header=BB28_57 Depth=1
	s_delay_alu instid0(SALU_CYCLE_1) | instskip(SKIP_2) | instid1(VALU_DEP_1)
	s_or_b32 exec_lo, exec_lo, s13
	v_mul_f32_e32 v5, v28, v5
	s_mov_b32 s13, exec_lo
	v_mul_f32_e32 v5, v5, v9
	s_delay_alu instid0(VALU_DEP_1) | instskip(NEXT) | instid1(VALU_DEP_1)
	v_div_scale_f32 v7, null, v13, v13, v5
	v_rcp_f32_e32 v8, v7
	s_waitcnt_depctr 0xfff
	v_fma_f32 v9, -v7, v8, 1.0
	s_delay_alu instid0(VALU_DEP_1) | instskip(SKIP_1) | instid1(VALU_DEP_1)
	v_fmac_f32_e32 v8, v9, v8
	v_div_scale_f32 v9, vcc_lo, v5, v13, v5
	v_mul_f32_e32 v14, v9, v8
	s_delay_alu instid0(VALU_DEP_1) | instskip(NEXT) | instid1(VALU_DEP_1)
	v_fma_f32 v15, -v7, v14, v9
	v_fmac_f32_e32 v14, v15, v8
	s_delay_alu instid0(VALU_DEP_1) | instskip(NEXT) | instid1(VALU_DEP_1)
	v_fma_f32 v7, -v7, v14, v9
	v_div_fmas_f32 v7, v7, v8, v14
	s_delay_alu instid0(VALU_DEP_1) | instskip(NEXT) | instid1(VALU_DEP_1)
	v_div_fixup_f32 v5, v7, v13, v5
	v_minmax_f32 v5, v5, s7, 0xc3600000
	s_delay_alu instid0(VALU_DEP_1) | instskip(NEXT) | instid1(VALU_DEP_1)
	v_and_b32_e32 v7, 0x7fffffff, v5
	v_cmpx_gt_u32_e32 0x43800000, v7
	s_cbranch_execz .LBB28_131
; %bb.126:                              ;   in Loop: Header=BB28_57 Depth=1
	v_cmp_lt_u32_e32 vcc_lo, 0x3bffffff, v7
	s_mov_b32 s15, 0
                                        ; implicit-def: $vgpr7
	s_and_saveexec_b32 s16, vcc_lo
	s_delay_alu instid0(SALU_CYCLE_1)
	s_xor_b32 s16, exec_lo, s16
	s_cbranch_execnz .LBB28_176
; %bb.127:                              ;   in Loop: Header=BB28_57 Depth=1
	s_or_saveexec_b32 s16, s16
                                        ; implicit-def: $sgpr17
	s_delay_alu instid0(SALU_CYCLE_1)
	s_xor_b32 exec_lo, exec_lo, s16
	s_cbranch_execnz .LBB28_177
.LBB28_128:                             ;   in Loop: Header=BB28_57 Depth=1
	s_or_b32 exec_lo, exec_lo, s16
	v_mov_b32_e32 v3, s17
	s_and_saveexec_b32 s16, s15
.LBB28_129:                             ;   in Loop: Header=BB28_57 Depth=1
	v_lshrrev_b32_e32 v3, 24, v5
	s_delay_alu instid0(VALU_DEP_1)
	v_and_or_b32 v3, 0x80, v3, v7
.LBB28_130:                             ;   in Loop: Header=BB28_57 Depth=1
	s_or_b32 exec_lo, exec_lo, s16
.LBB28_131:                             ;   in Loop: Header=BB28_57 Depth=1
	s_delay_alu instid0(SALU_CYCLE_1)
	s_or_b32 exec_lo, exec_lo, s13
	v_lshlrev_b32_e32 v7, 16, v4
	v_lshlrev_b32_e32 v6, 8, v6
	v_lshlrev_b64 v[4:5], 2, v[11:12]
	v_and_b32_e32 v8, 0xff, v2
	v_add_nc_u32_e32 v0, s4, v0
	v_perm_b32 v7, v3, v7, 0x4020c0c
	v_and_b32_e32 v6, 0xff00, v6
	s_mov_b32 s15, -1
	v_add_co_u32 v2, vcc_lo, s2, v4
	v_add_co_ci_u32_e32 v3, vcc_lo, s3, v5, vcc_lo
	s_delay_alu instid0(VALU_DEP_3)
	v_or3_b32 v4, v7, v6, v8
	s_mov_b32 s13, exec_lo
	global_store_b32 v[2:3], v4, off
	v_cmpx_gt_u32_e64 s8, v0
	s_cbranch_execz .LBB28_54
; %bb.132:                              ;   in Loop: Header=BB28_57 Depth=1
	v_lshlrev_b64 v[2:3], 4, v[0:1]
	v_lshrrev_b32_e32 v8, 3, v0
	s_mov_b32 s15, exec_lo
	s_delay_alu instid0(VALU_DEP_2) | instskip(NEXT) | instid1(VALU_DEP_3)
	v_add_co_u32 v4, vcc_lo, s14, v2
	v_add_co_ci_u32_e32 v5, vcc_lo, s26, v3, vcc_lo
	v_add_co_u32 v6, vcc_lo, s10, v2
	v_add_co_ci_u32_e32 v7, vcc_lo, s11, v3, vcc_lo
	global_load_b128 v[2:5], v[4:5], off
	s_waitcnt vmcnt(0)
	v_dual_mul_f32 v2, v28, v2 :: v_dual_and_b32 v11, 0x7fffffc, v8
	global_load_b128 v[6:9], v[6:7], off
	global_load_b32 v11, v11, s[0:1]
	s_waitcnt vmcnt(1)
	v_mul_f32_e32 v2, v2, v6
	s_waitcnt vmcnt(0)
	s_delay_alu instid0(VALU_DEP_1) | instskip(SKIP_1) | instid1(VALU_DEP_2)
	v_div_scale_f32 v6, null, v11, v11, v2
	v_div_scale_f32 v14, vcc_lo, v2, v11, v2
	v_rcp_f32_e32 v12, v6
	s_waitcnt_depctr 0xfff
	v_fma_f32 v13, -v6, v12, 1.0
	s_delay_alu instid0(VALU_DEP_1) | instskip(NEXT) | instid1(VALU_DEP_1)
	v_fmac_f32_e32 v12, v13, v12
	v_mul_f32_e32 v13, v14, v12
	s_delay_alu instid0(VALU_DEP_1) | instskip(NEXT) | instid1(VALU_DEP_1)
	v_fma_f32 v15, -v6, v13, v14
	v_fmac_f32_e32 v13, v15, v12
	s_delay_alu instid0(VALU_DEP_1) | instskip(NEXT) | instid1(VALU_DEP_1)
	v_fma_f32 v6, -v6, v13, v14
	v_div_fmas_f32 v6, v6, v12, v13
	s_delay_alu instid0(VALU_DEP_1) | instskip(SKIP_1) | instid1(VALU_DEP_2)
	v_div_fixup_f32 v2, v6, v11, v2
	v_mov_b32_e32 v6, 0x80
	v_minmax_f32 v12, v2, s7, 0xc3600000
	v_mov_b32_e32 v2, 0x80
	s_delay_alu instid0(VALU_DEP_2) | instskip(NEXT) | instid1(VALU_DEP_1)
	v_and_b32_e32 v13, 0x7fffffff, v12
	v_cmpx_gt_u32_e32 0x43800000, v13
	s_cbranch_execz .LBB28_138
; %bb.133:                              ;   in Loop: Header=BB28_57 Depth=1
	v_cmp_lt_u32_e32 vcc_lo, 0x3bffffff, v13
	s_mov_b32 s16, 0
                                        ; implicit-def: $vgpr13
	s_and_saveexec_b32 s17, vcc_lo
	s_delay_alu instid0(SALU_CYCLE_1)
	s_xor_b32 s17, exec_lo, s17
	s_cbranch_execnz .LBB28_178
; %bb.134:                              ;   in Loop: Header=BB28_57 Depth=1
	s_or_saveexec_b32 s17, s17
                                        ; implicit-def: $sgpr18
	s_delay_alu instid0(SALU_CYCLE_1)
	s_xor_b32 exec_lo, exec_lo, s17
	s_cbranch_execnz .LBB28_179
.LBB28_135:                             ;   in Loop: Header=BB28_57 Depth=1
	s_or_b32 exec_lo, exec_lo, s17
	v_mov_b32_e32 v2, s18
	s_and_saveexec_b32 s17, s16
.LBB28_136:                             ;   in Loop: Header=BB28_57 Depth=1
	v_lshrrev_b32_e32 v2, 24, v12
	s_delay_alu instid0(VALU_DEP_1)
	v_and_or_b32 v2, 0x80, v2, v13
.LBB28_137:                             ;   in Loop: Header=BB28_57 Depth=1
	s_or_b32 exec_lo, exec_lo, s17
.LBB28_138:                             ;   in Loop: Header=BB28_57 Depth=1
	s_delay_alu instid0(SALU_CYCLE_1) | instskip(SKIP_2) | instid1(VALU_DEP_1)
	s_or_b32 exec_lo, exec_lo, s15
	v_mul_f32_e32 v3, v28, v3
	s_mov_b32 s15, exec_lo
	v_mul_f32_e32 v3, v3, v7
	s_delay_alu instid0(VALU_DEP_1) | instskip(NEXT) | instid1(VALU_DEP_1)
	v_div_scale_f32 v7, null, v11, v11, v3
	v_rcp_f32_e32 v12, v7
	s_waitcnt_depctr 0xfff
	v_fma_f32 v13, -v7, v12, 1.0
	s_delay_alu instid0(VALU_DEP_1) | instskip(SKIP_1) | instid1(VALU_DEP_1)
	v_fmac_f32_e32 v12, v13, v12
	v_div_scale_f32 v13, vcc_lo, v3, v11, v3
	v_mul_f32_e32 v14, v13, v12
	s_delay_alu instid0(VALU_DEP_1) | instskip(NEXT) | instid1(VALU_DEP_1)
	v_fma_f32 v15, -v7, v14, v13
	v_fmac_f32_e32 v14, v15, v12
	s_delay_alu instid0(VALU_DEP_1) | instskip(NEXT) | instid1(VALU_DEP_1)
	v_fma_f32 v7, -v7, v14, v13
	v_div_fmas_f32 v7, v7, v12, v14
	s_delay_alu instid0(VALU_DEP_1) | instskip(NEXT) | instid1(VALU_DEP_1)
	v_div_fixup_f32 v3, v7, v11, v3
	v_minmax_f32 v3, v3, s7, 0xc3600000
	s_delay_alu instid0(VALU_DEP_1) | instskip(NEXT) | instid1(VALU_DEP_1)
	v_and_b32_e32 v7, 0x7fffffff, v3
	v_cmpx_gt_u32_e32 0x43800000, v7
	s_cbranch_execz .LBB28_144
; %bb.139:                              ;   in Loop: Header=BB28_57 Depth=1
	v_cmp_lt_u32_e32 vcc_lo, 0x3bffffff, v7
	s_mov_b32 s16, 0
                                        ; implicit-def: $vgpr7
	s_and_saveexec_b32 s17, vcc_lo
	s_delay_alu instid0(SALU_CYCLE_1)
	s_xor_b32 s17, exec_lo, s17
	s_cbranch_execnz .LBB28_180
; %bb.140:                              ;   in Loop: Header=BB28_57 Depth=1
	s_or_saveexec_b32 s17, s17
                                        ; implicit-def: $sgpr18
	s_delay_alu instid0(SALU_CYCLE_1)
	s_xor_b32 exec_lo, exec_lo, s17
	s_cbranch_execnz .LBB28_181
.LBB28_141:                             ;   in Loop: Header=BB28_57 Depth=1
	s_or_b32 exec_lo, exec_lo, s17
	v_mov_b32_e32 v6, s18
	s_and_saveexec_b32 s17, s16
.LBB28_142:                             ;   in Loop: Header=BB28_57 Depth=1
	v_lshrrev_b32_e32 v3, 24, v3
	s_delay_alu instid0(VALU_DEP_1)
	v_and_or_b32 v6, 0x80, v3, v7
.LBB28_143:                             ;   in Loop: Header=BB28_57 Depth=1
	s_or_b32 exec_lo, exec_lo, s17
.LBB28_144:                             ;   in Loop: Header=BB28_57 Depth=1
	s_delay_alu instid0(SALU_CYCLE_1) | instskip(SKIP_2) | instid1(VALU_DEP_1)
	s_or_b32 exec_lo, exec_lo, s15
	v_mul_f32_e32 v3, v28, v4
	s_mov_b32 s15, exec_lo
	v_mul_f32_e32 v3, v3, v8
	s_delay_alu instid0(VALU_DEP_1) | instskip(SKIP_1) | instid1(VALU_DEP_2)
	v_div_scale_f32 v4, null, v11, v11, v3
	v_div_scale_f32 v12, vcc_lo, v3, v11, v3
	v_rcp_f32_e32 v7, v4
	s_waitcnt_depctr 0xfff
	v_fma_f32 v8, -v4, v7, 1.0
	s_delay_alu instid0(VALU_DEP_1) | instskip(NEXT) | instid1(VALU_DEP_1)
	v_fmac_f32_e32 v7, v8, v7
	v_mul_f32_e32 v8, v12, v7
	s_delay_alu instid0(VALU_DEP_1) | instskip(NEXT) | instid1(VALU_DEP_1)
	v_fma_f32 v13, -v4, v8, v12
	v_fmac_f32_e32 v8, v13, v7
	s_delay_alu instid0(VALU_DEP_1) | instskip(NEXT) | instid1(VALU_DEP_1)
	v_fma_f32 v4, -v4, v8, v12
	v_div_fmas_f32 v4, v4, v7, v8
	s_delay_alu instid0(VALU_DEP_1) | instskip(SKIP_1) | instid1(VALU_DEP_2)
	v_div_fixup_f32 v3, v4, v11, v3
	v_mov_b32_e32 v4, 0x80
	v_minmax_f32 v7, v3, s7, 0xc3600000
	v_mov_b32_e32 v3, 0x80
	s_delay_alu instid0(VALU_DEP_2) | instskip(NEXT) | instid1(VALU_DEP_1)
	v_and_b32_e32 v8, 0x7fffffff, v7
	v_cmpx_gt_u32_e32 0x43800000, v8
	s_cbranch_execz .LBB28_150
; %bb.145:                              ;   in Loop: Header=BB28_57 Depth=1
	v_cmp_lt_u32_e32 vcc_lo, 0x3bffffff, v8
	s_mov_b32 s16, 0
                                        ; implicit-def: $vgpr8
	s_and_saveexec_b32 s17, vcc_lo
	s_delay_alu instid0(SALU_CYCLE_1)
	s_xor_b32 s17, exec_lo, s17
	s_cbranch_execnz .LBB28_182
; %bb.146:                              ;   in Loop: Header=BB28_57 Depth=1
	s_or_saveexec_b32 s17, s17
                                        ; implicit-def: $sgpr18
	s_delay_alu instid0(SALU_CYCLE_1)
	s_xor_b32 exec_lo, exec_lo, s17
	s_cbranch_execnz .LBB28_183
.LBB28_147:                             ;   in Loop: Header=BB28_57 Depth=1
	s_or_b32 exec_lo, exec_lo, s17
	v_mov_b32_e32 v4, s18
	s_and_saveexec_b32 s17, s16
.LBB28_148:                             ;   in Loop: Header=BB28_57 Depth=1
	v_lshrrev_b32_e32 v4, 24, v7
	s_delay_alu instid0(VALU_DEP_1)
	v_and_or_b32 v4, 0x80, v4, v8
.LBB28_149:                             ;   in Loop: Header=BB28_57 Depth=1
	s_or_b32 exec_lo, exec_lo, s17
.LBB28_150:                             ;   in Loop: Header=BB28_57 Depth=1
	s_delay_alu instid0(SALU_CYCLE_1) | instskip(SKIP_2) | instid1(VALU_DEP_1)
	s_or_b32 exec_lo, exec_lo, s15
	v_mul_f32_e32 v5, v28, v5
	s_mov_b32 s15, exec_lo
	v_mul_f32_e32 v5, v5, v9
	s_delay_alu instid0(VALU_DEP_1) | instskip(NEXT) | instid1(VALU_DEP_1)
	v_div_scale_f32 v7, null, v11, v11, v5
	v_rcp_f32_e32 v8, v7
	s_waitcnt_depctr 0xfff
	v_fma_f32 v9, -v7, v8, 1.0
	s_delay_alu instid0(VALU_DEP_1) | instskip(SKIP_1) | instid1(VALU_DEP_1)
	v_fmac_f32_e32 v8, v9, v8
	v_div_scale_f32 v9, vcc_lo, v5, v11, v5
	v_mul_f32_e32 v12, v9, v8
	s_delay_alu instid0(VALU_DEP_1) | instskip(NEXT) | instid1(VALU_DEP_1)
	v_fma_f32 v13, -v7, v12, v9
	v_fmac_f32_e32 v12, v13, v8
	s_delay_alu instid0(VALU_DEP_1) | instskip(NEXT) | instid1(VALU_DEP_1)
	v_fma_f32 v7, -v7, v12, v9
	v_div_fmas_f32 v7, v7, v8, v12
	s_delay_alu instid0(VALU_DEP_1) | instskip(NEXT) | instid1(VALU_DEP_1)
	v_div_fixup_f32 v5, v7, v11, v5
	v_minmax_f32 v5, v5, s7, 0xc3600000
	s_delay_alu instid0(VALU_DEP_1) | instskip(NEXT) | instid1(VALU_DEP_1)
	v_and_b32_e32 v7, 0x7fffffff, v5
	v_cmpx_gt_u32_e32 0x43800000, v7
	s_cbranch_execz .LBB28_53
; %bb.151:                              ;   in Loop: Header=BB28_57 Depth=1
	v_cmp_lt_u32_e32 vcc_lo, 0x3bffffff, v7
	s_mov_b32 s16, 0
                                        ; implicit-def: $vgpr7
	s_and_saveexec_b32 s17, vcc_lo
	s_delay_alu instid0(SALU_CYCLE_1)
	s_xor_b32 s17, exec_lo, s17
	s_cbranch_execnz .LBB28_184
; %bb.152:                              ;   in Loop: Header=BB28_57 Depth=1
	s_or_saveexec_b32 s17, s17
                                        ; implicit-def: $sgpr18
	s_delay_alu instid0(SALU_CYCLE_1)
	s_xor_b32 exec_lo, exec_lo, s17
	s_cbranch_execnz .LBB28_185
.LBB28_153:                             ;   in Loop: Header=BB28_57 Depth=1
	s_or_b32 exec_lo, exec_lo, s17
	v_mov_b32_e32 v3, s18
	s_and_saveexec_b32 s17, s16
	s_cbranch_execz .LBB28_52
	s_branch .LBB28_186
.LBB28_154:                             ;   in Loop: Header=BB28_57 Depth=1
	v_bfe_u32 v6, v11, 20, 1
	s_mov_b32 s12, exec_lo
	s_delay_alu instid0(VALU_DEP_1) | instskip(NEXT) | instid1(VALU_DEP_1)
	v_add3_u32 v6, v11, v6, 0x487ffff
	v_lshrrev_b32_e32 v12, 20, v6
	s_or_saveexec_b32 s13, s13
                                        ; implicit-def: $sgpr15
	s_delay_alu instid0(SALU_CYCLE_1)
	s_xor_b32 exec_lo, exec_lo, s13
	s_cbranch_execz .LBB28_60
.LBB28_155:                             ;   in Loop: Header=BB28_57 Depth=1
	v_add_f32_e64 v6, 0x46000000, |v11|
	s_and_not1_b32 s12, s12, exec_lo
	s_mov_b32 s15, 0
	s_delay_alu instid0(VALU_DEP_1) | instskip(NEXT) | instid1(VALU_DEP_1)
	v_and_b32_e32 v12, 0xff, v6
	v_cmp_ne_u32_e32 vcc_lo, 0, v12
	s_and_b32 s16, vcc_lo, exec_lo
	s_delay_alu instid0(SALU_CYCLE_1)
	s_or_b32 s12, s12, s16
	s_or_b32 exec_lo, exec_lo, s13
	v_mov_b32_e32 v6, s15
	s_and_saveexec_b32 s13, s12
	s_cbranch_execnz .LBB28_61
	s_branch .LBB28_62
.LBB28_156:                             ;   in Loop: Header=BB28_57 Depth=1
	v_bfe_u32 v2, v3, 20, 1
	s_mov_b32 s12, exec_lo
	s_delay_alu instid0(VALU_DEP_1) | instskip(NEXT) | instid1(VALU_DEP_1)
	v_add3_u32 v2, v3, v2, 0x487ffff
	v_lshrrev_b32_e32 v7, 20, v2
	s_or_saveexec_b32 s13, s13
                                        ; implicit-def: $sgpr15
	s_delay_alu instid0(SALU_CYCLE_1)
	s_xor_b32 exec_lo, exec_lo, s13
	s_cbranch_execz .LBB28_66
.LBB28_157:                             ;   in Loop: Header=BB28_57 Depth=1
	v_add_f32_e64 v2, 0x46000000, |v3|
	s_and_not1_b32 s12, s12, exec_lo
	s_mov_b32 s15, 0
	s_delay_alu instid0(VALU_DEP_1) | instskip(NEXT) | instid1(VALU_DEP_1)
	v_and_b32_e32 v7, 0xff, v2
	v_cmp_ne_u32_e32 vcc_lo, 0, v7
	s_and_b32 s16, vcc_lo, exec_lo
	s_delay_alu instid0(SALU_CYCLE_1)
	s_or_b32 s12, s12, s16
	s_or_b32 exec_lo, exec_lo, s13
	v_mov_b32_e32 v2, s15
	s_and_saveexec_b32 s13, s12
	s_cbranch_execnz .LBB28_67
	s_branch .LBB28_68
.LBB28_158:                             ;   in Loop: Header=BB28_57 Depth=1
	v_bfe_u32 v4, v7, 20, 1
	s_mov_b32 s12, exec_lo
	s_delay_alu instid0(VALU_DEP_1) | instskip(NEXT) | instid1(VALU_DEP_1)
	v_add3_u32 v4, v7, v4, 0x487ffff
	v_lshrrev_b32_e32 v8, 20, v4
	s_or_saveexec_b32 s13, s13
                                        ; implicit-def: $sgpr15
	s_delay_alu instid0(SALU_CYCLE_1)
	s_xor_b32 exec_lo, exec_lo, s13
	s_cbranch_execz .LBB28_72
.LBB28_159:                             ;   in Loop: Header=BB28_57 Depth=1
	v_add_f32_e64 v4, 0x46000000, |v7|
	s_and_not1_b32 s12, s12, exec_lo
	s_mov_b32 s15, 0
	s_delay_alu instid0(VALU_DEP_1) | instskip(NEXT) | instid1(VALU_DEP_1)
	v_and_b32_e32 v8, 0xff, v4
	v_cmp_ne_u32_e32 vcc_lo, 0, v8
	s_and_b32 s16, vcc_lo, exec_lo
	s_delay_alu instid0(SALU_CYCLE_1)
	s_or_b32 s12, s12, s16
	s_or_b32 exec_lo, exec_lo, s13
	v_mov_b32_e32 v4, s15
	s_and_saveexec_b32 s13, s12
	s_cbranch_execnz .LBB28_73
	s_branch .LBB28_74
.LBB28_160:                             ;   in Loop: Header=BB28_57 Depth=1
	v_bfe_u32 v3, v5, 20, 1
	s_mov_b32 s12, exec_lo
	s_delay_alu instid0(VALU_DEP_1) | instskip(NEXT) | instid1(VALU_DEP_1)
	v_add3_u32 v3, v5, v3, 0x487ffff
	v_lshrrev_b32_e32 v7, 20, v3
	s_or_saveexec_b32 s13, s13
                                        ; implicit-def: $sgpr15
	s_delay_alu instid0(SALU_CYCLE_1)
	s_xor_b32 exec_lo, exec_lo, s13
	s_cbranch_execz .LBB28_78
.LBB28_161:                             ;   in Loop: Header=BB28_57 Depth=1
	v_add_f32_e64 v3, 0x46000000, |v5|
	s_and_not1_b32 s12, s12, exec_lo
	s_mov_b32 s15, 0
	s_delay_alu instid0(VALU_DEP_1) | instskip(NEXT) | instid1(VALU_DEP_1)
	v_and_b32_e32 v7, 0xff, v3
	v_cmp_ne_u32_e32 vcc_lo, 0, v7
	s_and_b32 s16, vcc_lo, exec_lo
	s_delay_alu instid0(SALU_CYCLE_1)
	s_or_b32 s12, s12, s16
	s_or_b32 exec_lo, exec_lo, s13
	v_mov_b32_e32 v3, s15
	s_and_saveexec_b32 s13, s12
	s_cbranch_execnz .LBB28_79
	s_branch .LBB28_80
.LBB28_162:                             ;   in Loop: Header=BB28_57 Depth=1
	v_bfe_u32 v2, v13, 20, 1
	s_mov_b32 s13, exec_lo
	s_delay_alu instid0(VALU_DEP_1) | instskip(NEXT) | instid1(VALU_DEP_1)
	v_add3_u32 v2, v13, v2, 0x487ffff
	v_lshrrev_b32_e32 v14, 20, v2
	s_or_saveexec_b32 s15, s15
                                        ; implicit-def: $sgpr16
	s_delay_alu instid0(SALU_CYCLE_1)
	s_xor_b32 exec_lo, exec_lo, s15
	s_cbranch_execz .LBB28_85
.LBB28_163:                             ;   in Loop: Header=BB28_57 Depth=1
	v_add_f32_e64 v2, 0x46000000, |v13|
	s_and_not1_b32 s13, s13, exec_lo
	s_mov_b32 s16, 0
	s_delay_alu instid0(VALU_DEP_1) | instskip(NEXT) | instid1(VALU_DEP_1)
	v_and_b32_e32 v14, 0xff, v2
	v_cmp_ne_u32_e32 vcc_lo, 0, v14
	s_and_b32 s17, vcc_lo, exec_lo
	s_delay_alu instid0(SALU_CYCLE_1)
	s_or_b32 s13, s13, s17
	s_or_b32 exec_lo, exec_lo, s15
	v_mov_b32_e32 v2, s16
	s_and_saveexec_b32 s15, s13
	s_cbranch_execnz .LBB28_86
	s_branch .LBB28_87
.LBB28_164:                             ;   in Loop: Header=BB28_57 Depth=1
	v_bfe_u32 v6, v3, 20, 1
	s_mov_b32 s13, exec_lo
	s_delay_alu instid0(VALU_DEP_1) | instskip(NEXT) | instid1(VALU_DEP_1)
	v_add3_u32 v6, v3, v6, 0x487ffff
	v_lshrrev_b32_e32 v7, 20, v6
	s_or_saveexec_b32 s15, s15
                                        ; implicit-def: $sgpr16
	s_delay_alu instid0(SALU_CYCLE_1)
	s_xor_b32 exec_lo, exec_lo, s15
	s_cbranch_execz .LBB28_91
.LBB28_165:                             ;   in Loop: Header=BB28_57 Depth=1
	v_add_f32_e64 v6, 0x46000000, |v3|
	s_and_not1_b32 s13, s13, exec_lo
	s_mov_b32 s16, 0
	s_delay_alu instid0(VALU_DEP_1) | instskip(NEXT) | instid1(VALU_DEP_1)
	v_and_b32_e32 v7, 0xff, v6
	v_cmp_ne_u32_e32 vcc_lo, 0, v7
	s_and_b32 s17, vcc_lo, exec_lo
	s_delay_alu instid0(SALU_CYCLE_1)
	s_or_b32 s13, s13, s17
	s_or_b32 exec_lo, exec_lo, s15
	v_mov_b32_e32 v6, s16
	s_and_saveexec_b32 s15, s13
	s_cbranch_execnz .LBB28_92
	s_branch .LBB28_93
.LBB28_166:                             ;   in Loop: Header=BB28_57 Depth=1
	v_bfe_u32 v4, v7, 20, 1
	s_mov_b32 s13, exec_lo
	s_delay_alu instid0(VALU_DEP_1) | instskip(NEXT) | instid1(VALU_DEP_1)
	v_add3_u32 v4, v7, v4, 0x487ffff
	v_lshrrev_b32_e32 v8, 20, v4
	s_or_saveexec_b32 s15, s15
                                        ; implicit-def: $sgpr16
	s_delay_alu instid0(SALU_CYCLE_1)
	s_xor_b32 exec_lo, exec_lo, s15
	s_cbranch_execz .LBB28_97
.LBB28_167:                             ;   in Loop: Header=BB28_57 Depth=1
	v_add_f32_e64 v4, 0x46000000, |v7|
	s_and_not1_b32 s13, s13, exec_lo
	s_mov_b32 s16, 0
	s_delay_alu instid0(VALU_DEP_1) | instskip(NEXT) | instid1(VALU_DEP_1)
	v_and_b32_e32 v8, 0xff, v4
	v_cmp_ne_u32_e32 vcc_lo, 0, v8
	s_and_b32 s17, vcc_lo, exec_lo
	s_delay_alu instid0(SALU_CYCLE_1)
	s_or_b32 s13, s13, s17
	s_or_b32 exec_lo, exec_lo, s15
	v_mov_b32_e32 v4, s16
	s_and_saveexec_b32 s15, s13
	s_cbranch_execnz .LBB28_98
	s_branch .LBB28_99
.LBB28_168:                             ;   in Loop: Header=BB28_57 Depth=1
	v_bfe_u32 v3, v5, 20, 1
	s_mov_b32 s13, exec_lo
	s_delay_alu instid0(VALU_DEP_1) | instskip(NEXT) | instid1(VALU_DEP_1)
	v_add3_u32 v3, v5, v3, 0x487ffff
	v_lshrrev_b32_e32 v7, 20, v3
	s_or_saveexec_b32 s15, s15
                                        ; implicit-def: $sgpr16
	s_delay_alu instid0(SALU_CYCLE_1)
	s_xor_b32 exec_lo, exec_lo, s15
	s_cbranch_execz .LBB28_103
.LBB28_169:                             ;   in Loop: Header=BB28_57 Depth=1
	v_add_f32_e64 v3, 0x46000000, |v5|
	s_and_not1_b32 s13, s13, exec_lo
	s_mov_b32 s16, 0
	s_delay_alu instid0(VALU_DEP_1) | instskip(NEXT) | instid1(VALU_DEP_1)
	v_and_b32_e32 v7, 0xff, v3
	v_cmp_ne_u32_e32 vcc_lo, 0, v7
	s_and_b32 s17, vcc_lo, exec_lo
	s_delay_alu instid0(SALU_CYCLE_1)
	s_or_b32 s13, s13, s17
	s_or_b32 exec_lo, exec_lo, s15
	v_mov_b32_e32 v3, s16
	s_and_saveexec_b32 s15, s13
	s_cbranch_execnz .LBB28_104
	s_branch .LBB28_105
.LBB28_170:                             ;   in Loop: Header=BB28_57 Depth=1
	v_bfe_u32 v2, v14, 20, 1
	s_mov_b32 s15, exec_lo
	s_delay_alu instid0(VALU_DEP_1) | instskip(NEXT) | instid1(VALU_DEP_1)
	v_add3_u32 v2, v14, v2, 0x487ffff
	v_lshrrev_b32_e32 v15, 20, v2
	s_or_saveexec_b32 s16, s16
                                        ; implicit-def: $sgpr17
	s_delay_alu instid0(SALU_CYCLE_1)
	s_xor_b32 exec_lo, exec_lo, s16
	s_cbranch_execz .LBB28_110
.LBB28_171:                             ;   in Loop: Header=BB28_57 Depth=1
	v_add_f32_e64 v2, 0x46000000, |v14|
	s_and_not1_b32 s15, s15, exec_lo
	s_mov_b32 s17, 0
	s_delay_alu instid0(VALU_DEP_1) | instskip(NEXT) | instid1(VALU_DEP_1)
	v_and_b32_e32 v15, 0xff, v2
	v_cmp_ne_u32_e32 vcc_lo, 0, v15
	s_and_b32 s18, vcc_lo, exec_lo
	s_delay_alu instid0(SALU_CYCLE_1)
	s_or_b32 s15, s15, s18
	s_or_b32 exec_lo, exec_lo, s16
	v_mov_b32_e32 v2, s17
	s_and_saveexec_b32 s16, s15
	s_cbranch_execnz .LBB28_111
	s_branch .LBB28_112
.LBB28_172:                             ;   in Loop: Header=BB28_57 Depth=1
	v_bfe_u32 v6, v3, 20, 1
	s_mov_b32 s15, exec_lo
	s_delay_alu instid0(VALU_DEP_1) | instskip(NEXT) | instid1(VALU_DEP_1)
	v_add3_u32 v6, v3, v6, 0x487ffff
	v_lshrrev_b32_e32 v7, 20, v6
	s_or_saveexec_b32 s16, s16
                                        ; implicit-def: $sgpr17
	s_delay_alu instid0(SALU_CYCLE_1)
	s_xor_b32 exec_lo, exec_lo, s16
	s_cbranch_execz .LBB28_116
.LBB28_173:                             ;   in Loop: Header=BB28_57 Depth=1
	v_add_f32_e64 v6, 0x46000000, |v3|
	s_and_not1_b32 s15, s15, exec_lo
	s_mov_b32 s17, 0
	s_delay_alu instid0(VALU_DEP_1) | instskip(NEXT) | instid1(VALU_DEP_1)
	v_and_b32_e32 v7, 0xff, v6
	v_cmp_ne_u32_e32 vcc_lo, 0, v7
	s_and_b32 s18, vcc_lo, exec_lo
	s_delay_alu instid0(SALU_CYCLE_1)
	s_or_b32 s15, s15, s18
	s_or_b32 exec_lo, exec_lo, s16
	v_mov_b32_e32 v6, s17
	s_and_saveexec_b32 s16, s15
	s_cbranch_execnz .LBB28_117
	s_branch .LBB28_118
.LBB28_174:                             ;   in Loop: Header=BB28_57 Depth=1
	v_bfe_u32 v4, v7, 20, 1
	s_mov_b32 s15, exec_lo
	s_delay_alu instid0(VALU_DEP_1) | instskip(NEXT) | instid1(VALU_DEP_1)
	v_add3_u32 v4, v7, v4, 0x487ffff
	v_lshrrev_b32_e32 v8, 20, v4
	s_or_saveexec_b32 s16, s16
                                        ; implicit-def: $sgpr17
	s_delay_alu instid0(SALU_CYCLE_1)
	s_xor_b32 exec_lo, exec_lo, s16
	s_cbranch_execz .LBB28_122
.LBB28_175:                             ;   in Loop: Header=BB28_57 Depth=1
	v_add_f32_e64 v4, 0x46000000, |v7|
	s_and_not1_b32 s15, s15, exec_lo
	s_mov_b32 s17, 0
	s_delay_alu instid0(VALU_DEP_1) | instskip(NEXT) | instid1(VALU_DEP_1)
	v_and_b32_e32 v8, 0xff, v4
	v_cmp_ne_u32_e32 vcc_lo, 0, v8
	s_and_b32 s18, vcc_lo, exec_lo
	s_delay_alu instid0(SALU_CYCLE_1)
	s_or_b32 s15, s15, s18
	s_or_b32 exec_lo, exec_lo, s16
	v_mov_b32_e32 v4, s17
	s_and_saveexec_b32 s16, s15
	s_cbranch_execnz .LBB28_123
	s_branch .LBB28_124
.LBB28_176:                             ;   in Loop: Header=BB28_57 Depth=1
	v_bfe_u32 v3, v5, 20, 1
	s_mov_b32 s15, exec_lo
	s_delay_alu instid0(VALU_DEP_1) | instskip(NEXT) | instid1(VALU_DEP_1)
	v_add3_u32 v3, v5, v3, 0x487ffff
	v_lshrrev_b32_e32 v7, 20, v3
	s_or_saveexec_b32 s16, s16
                                        ; implicit-def: $sgpr17
	s_delay_alu instid0(SALU_CYCLE_1)
	s_xor_b32 exec_lo, exec_lo, s16
	s_cbranch_execz .LBB28_128
.LBB28_177:                             ;   in Loop: Header=BB28_57 Depth=1
	v_add_f32_e64 v3, 0x46000000, |v5|
	s_and_not1_b32 s15, s15, exec_lo
	s_mov_b32 s17, 0
	s_delay_alu instid0(VALU_DEP_1) | instskip(NEXT) | instid1(VALU_DEP_1)
	v_and_b32_e32 v7, 0xff, v3
	v_cmp_ne_u32_e32 vcc_lo, 0, v7
	s_and_b32 s18, vcc_lo, exec_lo
	s_delay_alu instid0(SALU_CYCLE_1)
	s_or_b32 s15, s15, s18
	s_or_b32 exec_lo, exec_lo, s16
	v_mov_b32_e32 v3, s17
	s_and_saveexec_b32 s16, s15
	s_cbranch_execnz .LBB28_129
	s_branch .LBB28_130
.LBB28_178:                             ;   in Loop: Header=BB28_57 Depth=1
	v_bfe_u32 v2, v12, 20, 1
	s_mov_b32 s16, exec_lo
	s_delay_alu instid0(VALU_DEP_1) | instskip(NEXT) | instid1(VALU_DEP_1)
	v_add3_u32 v2, v12, v2, 0x487ffff
	v_lshrrev_b32_e32 v13, 20, v2
	s_or_saveexec_b32 s17, s17
                                        ; implicit-def: $sgpr18
	s_delay_alu instid0(SALU_CYCLE_1)
	s_xor_b32 exec_lo, exec_lo, s17
	s_cbranch_execz .LBB28_135
.LBB28_179:                             ;   in Loop: Header=BB28_57 Depth=1
	v_add_f32_e64 v2, 0x46000000, |v12|
	s_and_not1_b32 s16, s16, exec_lo
	s_mov_b32 s18, 0
	s_delay_alu instid0(VALU_DEP_1) | instskip(NEXT) | instid1(VALU_DEP_1)
	v_and_b32_e32 v13, 0xff, v2
	v_cmp_ne_u32_e32 vcc_lo, 0, v13
	s_and_b32 s19, vcc_lo, exec_lo
	s_delay_alu instid0(SALU_CYCLE_1)
	s_or_b32 s16, s16, s19
	s_or_b32 exec_lo, exec_lo, s17
	v_mov_b32_e32 v2, s18
	s_and_saveexec_b32 s17, s16
	s_cbranch_execnz .LBB28_136
	s_branch .LBB28_137
.LBB28_180:                             ;   in Loop: Header=BB28_57 Depth=1
	v_bfe_u32 v6, v3, 20, 1
	s_mov_b32 s16, exec_lo
	s_delay_alu instid0(VALU_DEP_1) | instskip(NEXT) | instid1(VALU_DEP_1)
	v_add3_u32 v6, v3, v6, 0x487ffff
	v_lshrrev_b32_e32 v7, 20, v6
	s_or_saveexec_b32 s17, s17
                                        ; implicit-def: $sgpr18
	s_delay_alu instid0(SALU_CYCLE_1)
	s_xor_b32 exec_lo, exec_lo, s17
	s_cbranch_execz .LBB28_141
.LBB28_181:                             ;   in Loop: Header=BB28_57 Depth=1
	v_add_f32_e64 v6, 0x46000000, |v3|
	s_and_not1_b32 s16, s16, exec_lo
	s_mov_b32 s18, 0
	s_delay_alu instid0(VALU_DEP_1) | instskip(NEXT) | instid1(VALU_DEP_1)
	v_and_b32_e32 v7, 0xff, v6
	v_cmp_ne_u32_e32 vcc_lo, 0, v7
	s_and_b32 s19, vcc_lo, exec_lo
	s_delay_alu instid0(SALU_CYCLE_1)
	s_or_b32 s16, s16, s19
	s_or_b32 exec_lo, exec_lo, s17
	v_mov_b32_e32 v6, s18
	s_and_saveexec_b32 s17, s16
	s_cbranch_execnz .LBB28_142
	s_branch .LBB28_143
.LBB28_182:                             ;   in Loop: Header=BB28_57 Depth=1
	v_bfe_u32 v4, v7, 20, 1
	s_mov_b32 s16, exec_lo
	s_delay_alu instid0(VALU_DEP_1) | instskip(NEXT) | instid1(VALU_DEP_1)
	v_add3_u32 v4, v7, v4, 0x487ffff
	v_lshrrev_b32_e32 v8, 20, v4
	s_or_saveexec_b32 s17, s17
                                        ; implicit-def: $sgpr18
	s_delay_alu instid0(SALU_CYCLE_1)
	s_xor_b32 exec_lo, exec_lo, s17
	s_cbranch_execz .LBB28_147
.LBB28_183:                             ;   in Loop: Header=BB28_57 Depth=1
	v_add_f32_e64 v4, 0x46000000, |v7|
	s_and_not1_b32 s16, s16, exec_lo
	s_mov_b32 s18, 0
	s_delay_alu instid0(VALU_DEP_1) | instskip(NEXT) | instid1(VALU_DEP_1)
	v_and_b32_e32 v8, 0xff, v4
	v_cmp_ne_u32_e32 vcc_lo, 0, v8
	s_and_b32 s19, vcc_lo, exec_lo
	s_delay_alu instid0(SALU_CYCLE_1)
	s_or_b32 s16, s16, s19
	s_or_b32 exec_lo, exec_lo, s17
	v_mov_b32_e32 v4, s18
	s_and_saveexec_b32 s17, s16
	s_cbranch_execnz .LBB28_148
	s_branch .LBB28_149
.LBB28_184:                             ;   in Loop: Header=BB28_57 Depth=1
	v_bfe_u32 v3, v5, 20, 1
	s_mov_b32 s16, exec_lo
	s_delay_alu instid0(VALU_DEP_1) | instskip(NEXT) | instid1(VALU_DEP_1)
	v_add3_u32 v3, v5, v3, 0x487ffff
	v_lshrrev_b32_e32 v7, 20, v3
	s_or_saveexec_b32 s17, s17
                                        ; implicit-def: $sgpr18
	s_delay_alu instid0(SALU_CYCLE_1)
	s_xor_b32 exec_lo, exec_lo, s17
	s_cbranch_execz .LBB28_153
.LBB28_185:                             ;   in Loop: Header=BB28_57 Depth=1
	v_add_f32_e64 v3, 0x46000000, |v5|
	s_and_not1_b32 s16, s16, exec_lo
	s_mov_b32 s18, 0
	s_delay_alu instid0(VALU_DEP_1) | instskip(NEXT) | instid1(VALU_DEP_1)
	v_and_b32_e32 v7, 0xff, v3
	v_cmp_ne_u32_e32 vcc_lo, 0, v7
	s_and_b32 s19, vcc_lo, exec_lo
	s_delay_alu instid0(SALU_CYCLE_1)
	s_or_b32 s16, s16, s19
	s_or_b32 exec_lo, exec_lo, s17
	v_mov_b32_e32 v3, s18
	s_and_saveexec_b32 s17, s16
	s_cbranch_execz .LBB28_52
.LBB28_186:                             ;   in Loop: Header=BB28_57 Depth=1
	v_lshrrev_b32_e32 v3, 24, v5
	s_delay_alu instid0(VALU_DEP_1)
	v_and_or_b32 v3, 0x80, v3, v7
	s_branch .LBB28_52
.LBB28_187:
	s_nop 0
	s_sendmsg sendmsg(MSG_DEALLOC_VGPRS)
	s_endpgm
	.section	.rodata,"a",@progbits
	.p2align	6, 0x0
	.amdhsa_kernel _ZN4vllm31rms_norm_per_block_quant_kernelIfN3c1015Float8_e4m3fnuzELb0ELb0ELi128EEEvPT0_PfPKT_S8_PKffiiPS6_l
		.amdhsa_group_segment_fixed_size 4228
		.amdhsa_private_segment_fixed_size 0
		.amdhsa_kernarg_size 328
		.amdhsa_user_sgpr_count 15
		.amdhsa_user_sgpr_dispatch_ptr 0
		.amdhsa_user_sgpr_queue_ptr 0
		.amdhsa_user_sgpr_kernarg_segment_ptr 1
		.amdhsa_user_sgpr_dispatch_id 0
		.amdhsa_user_sgpr_private_segment_size 0
		.amdhsa_wavefront_size32 1
		.amdhsa_uses_dynamic_stack 0
		.amdhsa_enable_private_segment 0
		.amdhsa_system_sgpr_workgroup_id_x 1
		.amdhsa_system_sgpr_workgroup_id_y 0
		.amdhsa_system_sgpr_workgroup_id_z 0
		.amdhsa_system_sgpr_workgroup_info 0
		.amdhsa_system_vgpr_workitem_id 0
		.amdhsa_next_free_vgpr 35
		.amdhsa_next_free_sgpr 36
		.amdhsa_reserve_vcc 1
		.amdhsa_float_round_mode_32 0
		.amdhsa_float_round_mode_16_64 0
		.amdhsa_float_denorm_mode_32 3
		.amdhsa_float_denorm_mode_16_64 3
		.amdhsa_dx10_clamp 1
		.amdhsa_ieee_mode 1
		.amdhsa_fp16_overflow 0
		.amdhsa_workgroup_processor_mode 1
		.amdhsa_memory_ordered 1
		.amdhsa_forward_progress 0
		.amdhsa_shared_vgpr_count 0
		.amdhsa_exception_fp_ieee_invalid_op 0
		.amdhsa_exception_fp_denorm_src 0
		.amdhsa_exception_fp_ieee_div_zero 0
		.amdhsa_exception_fp_ieee_overflow 0
		.amdhsa_exception_fp_ieee_underflow 0
		.amdhsa_exception_fp_ieee_inexact 0
		.amdhsa_exception_int_div_zero 0
	.end_amdhsa_kernel
	.section	.text._ZN4vllm31rms_norm_per_block_quant_kernelIfN3c1015Float8_e4m3fnuzELb0ELb0ELi128EEEvPT0_PfPKT_S8_PKffiiPS6_l,"axG",@progbits,_ZN4vllm31rms_norm_per_block_quant_kernelIfN3c1015Float8_e4m3fnuzELb0ELb0ELi128EEEvPT0_PfPKT_S8_PKffiiPS6_l,comdat
.Lfunc_end28:
	.size	_ZN4vllm31rms_norm_per_block_quant_kernelIfN3c1015Float8_e4m3fnuzELb0ELb0ELi128EEEvPT0_PfPKT_S8_PKffiiPS6_l, .Lfunc_end28-_ZN4vllm31rms_norm_per_block_quant_kernelIfN3c1015Float8_e4m3fnuzELb0ELb0ELi128EEEvPT0_PfPKT_S8_PKffiiPS6_l
                                        ; -- End function
	.section	.AMDGPU.csdata,"",@progbits
; Kernel info:
; codeLenInByte = 10532
; NumSgprs: 38
; NumVgprs: 35
; ScratchSize: 0
; MemoryBound: 0
; FloatMode: 240
; IeeeMode: 1
; LDSByteSize: 4228 bytes/workgroup (compile time only)
; SGPRBlocks: 4
; VGPRBlocks: 4
; NumSGPRsForWavesPerEU: 38
; NumVGPRsForWavesPerEU: 35
; Occupancy: 16
; WaveLimiterHint : 0
; COMPUTE_PGM_RSRC2:SCRATCH_EN: 0
; COMPUTE_PGM_RSRC2:USER_SGPR: 15
; COMPUTE_PGM_RSRC2:TRAP_HANDLER: 0
; COMPUTE_PGM_RSRC2:TGID_X_EN: 1
; COMPUTE_PGM_RSRC2:TGID_Y_EN: 0
; COMPUTE_PGM_RSRC2:TGID_Z_EN: 0
; COMPUTE_PGM_RSRC2:TIDIG_COMP_CNT: 0
	.section	.text._ZN4vllm31rms_norm_per_block_quant_kernelIfaLb0ELb0ELi128EEEvPT0_PfPKT_S6_PKffiiPS4_l,"axG",@progbits,_ZN4vllm31rms_norm_per_block_quant_kernelIfaLb0ELb0ELi128EEEvPT0_PfPKT_S6_PKffiiPS4_l,comdat
	.protected	_ZN4vllm31rms_norm_per_block_quant_kernelIfaLb0ELb0ELi128EEEvPT0_PfPKT_S6_PKffiiPS4_l ; -- Begin function _ZN4vllm31rms_norm_per_block_quant_kernelIfaLb0ELb0ELi128EEEvPT0_PfPKT_S6_PKffiiPS4_l
	.globl	_ZN4vllm31rms_norm_per_block_quant_kernelIfaLb0ELb0ELi128EEEvPT0_PfPKT_S6_PKffiiPS4_l
	.p2align	8
	.type	_ZN4vllm31rms_norm_per_block_quant_kernelIfaLb0ELb0ELi128EEEvPT0_PfPKT_S6_PKffiiPS4_l,@function
_ZN4vllm31rms_norm_per_block_quant_kernelIfaLb0ELb0ELi128EEEvPT0_PfPKT_S6_PKffiiPS4_l: ; @_ZN4vllm31rms_norm_per_block_quant_kernelIfaLb0ELb0ELi128EEEvPT0_PfPKT_S6_PKffiiPS4_l
; %bb.0:
	s_clause 0x1
	s_load_b128 s[16:19], s[0:1], 0x28
	s_load_b256 s[4:11], s[0:1], 0x0
	v_mov_b32_e32 v6, 0
	s_waitcnt lgkmcnt(0)
	s_ashr_i32 s2, s18, 31
	s_mul_hi_u32 s3, s18, s15
	s_mul_i32 s12, s2, s15
	s_mul_i32 s2, s18, s15
	s_add_i32 s3, s3, s12
	s_mov_b32 s12, s17
	s_lshl_b64 s[2:3], s[2:3], 2
	s_delay_alu instid0(SALU_CYCLE_1)
	s_add_u32 s14, s8, s2
	s_addc_u32 s26, s9, s3
	s_ashr_i32 s8, s17, 2
	s_add_u32 s18, s0, 0x48
	v_cmp_gt_u32_e64 s2, s8, v0
	s_mov_b32 s9, 0
	s_addc_u32 s19, s1, 0
	s_delay_alu instid0(VALU_DEP_1)
	s_and_saveexec_b32 s3, s2
	s_cbranch_execz .LBB29_10
; %bb.1:
	s_load_b32 s13, s[18:19], 0x0
	v_dual_mov_b32 v2, 0 :: v_dual_mov_b32 v1, v0
	s_waitcnt lgkmcnt(0)
	s_cmp_lt_u32 s15, s13
	s_cselect_b32 s13, 12, 18
	s_delay_alu instid0(SALU_CYCLE_1)
	s_add_u32 s20, s18, s13
	s_addc_u32 s21, s19, 0
                                        ; implicit-def: $sgpr13
	global_load_u16 v7, v2, s[20:21]
	s_waitcnt vmcnt(0)
	v_lshlrev_b32_e32 v9, 1, v7
	v_mul_lo_u32 v8, v7, 3
	v_add_nc_u32_e32 v10, v7, v7
	v_mov_b32_e32 v6, v2
	s_branch .LBB29_5
.LBB29_2:                               ;   in Loop: Header=BB29_5 Depth=1
	s_or_b32 exec_lo, exec_lo, s22
	s_delay_alu instid0(SALU_CYCLE_1)
	s_or_not1_b32 s22, s23, exec_lo
.LBB29_3:                               ;   in Loop: Header=BB29_5 Depth=1
	s_or_b32 exec_lo, exec_lo, s21
	s_delay_alu instid0(SALU_CYCLE_1) | instskip(SKIP_1) | instid1(SALU_CYCLE_1)
	s_and_not1_b32 s13, s13, exec_lo
	s_and_b32 s21, s22, exec_lo
	s_or_b32 s13, s13, s21
.LBB29_4:                               ;   in Loop: Header=BB29_5 Depth=1
	s_or_b32 exec_lo, exec_lo, s20
	s_delay_alu instid0(SALU_CYCLE_1) | instskip(NEXT) | instid1(SALU_CYCLE_1)
	s_and_b32 s20, exec_lo, s13
	s_or_b32 s9, s20, s9
	s_delay_alu instid0(SALU_CYCLE_1)
	s_and_not1_b32 exec_lo, exec_lo, s9
	s_cbranch_execz .LBB29_9
.LBB29_5:                               ; =>This Inner Loop Header: Depth=1
	v_lshlrev_b64 v[3:4], 4, v[1:2]
	s_or_b32 s13, s13, exec_lo
	s_mov_b32 s20, exec_lo
	s_delay_alu instid0(VALU_DEP_1) | instskip(NEXT) | instid1(VALU_DEP_2)
	v_add_co_u32 v3, vcc_lo, s14, v3
	v_add_co_ci_u32_e32 v4, vcc_lo, s26, v4, vcc_lo
	global_load_b128 v[11:14], v[3:4], off
	v_add_nc_u32_e32 v3, v1, v7
	s_waitcnt vmcnt(0)
	v_fmac_f32_e32 v6, v11, v11
	s_delay_alu instid0(VALU_DEP_1) | instskip(NEXT) | instid1(VALU_DEP_1)
	v_fmac_f32_e32 v6, v12, v12
	v_fmac_f32_e32 v6, v13, v13
	s_delay_alu instid0(VALU_DEP_1)
	v_fmac_f32_e32 v6, v14, v14
	v_cmpx_gt_u32_e64 s8, v3
	s_cbranch_execz .LBB29_4
; %bb.6:                                ;   in Loop: Header=BB29_5 Depth=1
	v_mov_b32_e32 v4, v2
	s_mov_b32 s22, -1
	s_mov_b32 s21, exec_lo
	s_delay_alu instid0(VALU_DEP_1) | instskip(NEXT) | instid1(VALU_DEP_1)
	v_lshlrev_b64 v[4:5], 4, v[3:4]
	v_add_co_u32 v4, vcc_lo, s14, v4
	s_delay_alu instid0(VALU_DEP_2) | instskip(SKIP_4) | instid1(VALU_DEP_1)
	v_add_co_ci_u32_e32 v5, vcc_lo, s26, v5, vcc_lo
	global_load_b128 v[11:14], v[4:5], off
	v_add_nc_u32_e32 v4, v9, v1
	s_waitcnt vmcnt(0)
	v_fmac_f32_e32 v6, v11, v11
	v_fmac_f32_e32 v6, v12, v12
	s_delay_alu instid0(VALU_DEP_1) | instskip(NEXT) | instid1(VALU_DEP_1)
	v_fmac_f32_e32 v6, v13, v13
	v_fmac_f32_e32 v6, v14, v14
	v_cmpx_gt_u32_e64 s8, v4
	s_cbranch_execz .LBB29_3
; %bb.7:                                ;   in Loop: Header=BB29_5 Depth=1
	v_mov_b32_e32 v5, v2
	s_mov_b32 s23, -1
	s_mov_b32 s22, exec_lo
	s_delay_alu instid0(VALU_DEP_1) | instskip(NEXT) | instid1(VALU_DEP_1)
	v_lshlrev_b64 v[4:5], 4, v[4:5]
	v_add_co_u32 v4, vcc_lo, s14, v4
	s_delay_alu instid0(VALU_DEP_2) | instskip(SKIP_3) | instid1(VALU_DEP_1)
	v_add_co_ci_u32_e32 v5, vcc_lo, s26, v5, vcc_lo
	global_load_b128 v[11:14], v[4:5], off
	s_waitcnt vmcnt(0)
	v_fmac_f32_e32 v6, v11, v11
	v_fmac_f32_e32 v6, v12, v12
	s_delay_alu instid0(VALU_DEP_1) | instskip(NEXT) | instid1(VALU_DEP_1)
	v_fmac_f32_e32 v6, v13, v13
	v_dual_fmac_f32 v6, v14, v14 :: v_dual_add_nc_u32 v1, v8, v1
	s_delay_alu instid0(VALU_DEP_1)
	v_cmpx_gt_u32_e64 s8, v1
	s_xor_b32 s22, exec_lo, s22
	s_cbranch_execz .LBB29_2
; %bb.8:                                ;   in Loop: Header=BB29_5 Depth=1
	v_lshlrev_b64 v[4:5], 4, v[1:2]
	v_add3_u32 v1, v10, v7, v3
	s_delay_alu instid0(VALU_DEP_2) | instskip(NEXT) | instid1(VALU_DEP_3)
	v_add_co_u32 v4, vcc_lo, s14, v4
	v_add_co_ci_u32_e32 v5, vcc_lo, s26, v5, vcc_lo
	s_delay_alu instid0(VALU_DEP_3) | instskip(SKIP_4) | instid1(VALU_DEP_1)
	v_cmp_le_u32_e32 vcc_lo, s8, v1
	global_load_b128 v[11:14], v[4:5], off
	s_or_not1_b32 s23, vcc_lo, exec_lo
	s_waitcnt vmcnt(0)
	v_fmac_f32_e32 v6, v11, v11
	v_fmac_f32_e32 v6, v12, v12
	s_delay_alu instid0(VALU_DEP_1) | instskip(NEXT) | instid1(VALU_DEP_1)
	v_fmac_f32_e32 v6, v13, v13
	v_fmac_f32_e32 v6, v14, v14
	s_branch .LBB29_2
.LBB29_9:
	s_or_b32 exec_lo, exec_lo, s9
.LBB29_10:
	s_delay_alu instid0(SALU_CYCLE_1) | instskip(SKIP_3) | instid1(VALU_DEP_2)
	s_or_b32 exec_lo, exec_lo, s3
	v_mbcnt_lo_u32_b32 v1, -1, 0
	s_load_b32 s3, s[18:19], 0xc
	v_and_b32_e32 v7, 0x3e0, v0
	v_cmp_ne_u32_e32 vcc_lo, 31, v1
	v_add_nc_u32_e32 v3, 1, v1
	v_add_co_ci_u32_e32 v2, vcc_lo, 0, v1, vcc_lo
	v_cmp_gt_u32_e32 vcc_lo, 30, v1
	s_delay_alu instid0(VALU_DEP_2)
	v_lshlrev_b32_e32 v2, 2, v2
	v_cndmask_b32_e64 v5, 0, 1, vcc_lo
	ds_bpermute_b32 v4, v2, v6
	s_waitcnt lgkmcnt(0)
	s_and_b32 s27, s3, 0xffff
	v_lshlrev_b32_e32 v5, 1, v5
	v_sub_nc_u32_e64 v12, s27, v7 clamp
	s_mov_b32 s3, exec_lo
	s_delay_alu instid0(VALU_DEP_1) | instskip(SKIP_2) | instid1(VALU_DEP_2)
	v_cmp_lt_u32_e32 vcc_lo, v3, v12
	v_add_f32_e32 v7, v6, v4
	v_add_lshl_u32 v4, v5, v1, 2
	v_cndmask_b32_e32 v7, v6, v7, vcc_lo
	v_cmp_gt_u32_e32 vcc_lo, 28, v1
	v_cndmask_b32_e64 v5, 0, 1, vcc_lo
	s_delay_alu instid0(VALU_DEP_1) | instskip(SKIP_2) | instid1(VALU_DEP_1)
	v_lshlrev_b32_e32 v8, 2, v5
	ds_bpermute_b32 v6, v4, v7
	v_add_nc_u32_e32 v5, 2, v1
	v_cmp_lt_u32_e32 vcc_lo, v5, v12
	s_waitcnt lgkmcnt(0)
	v_add_f32_e32 v9, v7, v6
	v_add_lshl_u32 v6, v8, v1, 2
	s_delay_alu instid0(VALU_DEP_2) | instskip(SKIP_3) | instid1(VALU_DEP_1)
	v_cndmask_b32_e32 v9, v7, v9, vcc_lo
	v_cmp_gt_u32_e32 vcc_lo, 24, v1
	ds_bpermute_b32 v8, v6, v9
	v_cndmask_b32_e64 v7, 0, 1, vcc_lo
	v_lshlrev_b32_e32 v10, 3, v7
	v_add_nc_u32_e32 v7, 4, v1
	s_delay_alu instid0(VALU_DEP_1) | instskip(SKIP_3) | instid1(VALU_DEP_2)
	v_cmp_lt_u32_e32 vcc_lo, v7, v12
	s_waitcnt lgkmcnt(0)
	v_add_f32_e32 v11, v9, v8
	v_add_lshl_u32 v8, v10, v1, 2
	v_cndmask_b32_e32 v11, v9, v11, vcc_lo
	v_cmp_gt_u32_e32 vcc_lo, 16, v1
	ds_bpermute_b32 v10, v8, v11
	v_cndmask_b32_e64 v9, 0, 1, vcc_lo
	s_delay_alu instid0(VALU_DEP_1) | instskip(SKIP_1) | instid1(VALU_DEP_1)
	v_lshlrev_b32_e32 v13, 4, v9
	v_add_nc_u32_e32 v9, 8, v1
	v_cmp_lt_u32_e32 vcc_lo, v9, v12
	s_waitcnt lgkmcnt(0)
	v_add_f32_e32 v14, v11, v10
	v_add_lshl_u32 v10, v13, v1, 2
	s_delay_alu instid0(VALU_DEP_2)
	v_cndmask_b32_e32 v13, v11, v14, vcc_lo
	v_add_nc_u32_e32 v11, 16, v1
	ds_bpermute_b32 v14, v10, v13
	v_cmp_lt_u32_e32 vcc_lo, v11, v12
	s_waitcnt lgkmcnt(0)
	v_add_f32_e32 v14, v13, v14
	s_delay_alu instid0(VALU_DEP_1)
	v_cndmask_b32_e32 v12, v13, v14, vcc_lo
	v_cmpx_eq_u32_e32 0, v1
	s_cbranch_execz .LBB29_12
; %bb.11:
	v_lshrrev_b32_e32 v13, 3, v0
	s_delay_alu instid0(VALU_DEP_1)
	v_and_b32_e32 v13, 0x7c, v13
	ds_store_b32 v13, v12 offset:4096
.LBB29_12:
	s_or_b32 exec_lo, exec_lo, s3
	s_delay_alu instid0(SALU_CYCLE_1)
	s_mov_b32 s3, exec_lo
	s_waitcnt lgkmcnt(0)
	s_barrier
	buffer_gl0_inv
	v_cmpx_gt_u32_e32 32, v0
	s_cbranch_execz .LBB29_14
; %bb.13:
	v_lshlrev_b32_e32 v1, 2, v1
	s_add_i32 s9, s27, 31
	s_delay_alu instid0(SALU_CYCLE_1) | instskip(NEXT) | instid1(SALU_CYCLE_1)
	s_lshr_b32 s9, s9, 5
	v_cmp_gt_u32_e32 vcc_lo, s9, v3
	ds_load_b32 v1, v1 offset:4096
	s_waitcnt lgkmcnt(0)
	ds_bpermute_b32 v2, v2, v1
	s_waitcnt lgkmcnt(0)
	v_add_f32_e32 v2, v1, v2
	s_delay_alu instid0(VALU_DEP_1) | instskip(SKIP_4) | instid1(VALU_DEP_1)
	v_cndmask_b32_e32 v1, v1, v2, vcc_lo
	v_cmp_gt_u32_e32 vcc_lo, s9, v5
	ds_bpermute_b32 v2, v4, v1
	s_waitcnt lgkmcnt(0)
	v_add_f32_e32 v2, v1, v2
	v_cndmask_b32_e32 v1, v1, v2, vcc_lo
	v_cmp_gt_u32_e32 vcc_lo, s9, v7
	ds_bpermute_b32 v2, v6, v1
	s_waitcnt lgkmcnt(0)
	v_add_f32_e32 v2, v1, v2
	s_delay_alu instid0(VALU_DEP_1) | instskip(SKIP_4) | instid1(VALU_DEP_1)
	v_cndmask_b32_e32 v1, v1, v2, vcc_lo
	v_cmp_gt_u32_e32 vcc_lo, s9, v9
	ds_bpermute_b32 v2, v8, v1
	s_waitcnt lgkmcnt(0)
	v_add_f32_e32 v2, v1, v2
	v_cndmask_b32_e32 v1, v1, v2, vcc_lo
	v_cmp_gt_u32_e32 vcc_lo, s9, v11
	ds_bpermute_b32 v2, v10, v1
	s_waitcnt lgkmcnt(0)
	v_add_f32_e32 v2, v1, v2
	s_delay_alu instid0(VALU_DEP_1)
	v_cndmask_b32_e32 v12, v1, v2, vcc_lo
.LBB29_14:
	s_or_b32 exec_lo, exec_lo, s3
	s_delay_alu instid0(SALU_CYCLE_1)
	s_mov_b32 s3, exec_lo
	v_cmpx_eq_u32_e32 0, v0
	s_cbranch_execz .LBB29_16
; %bb.15:
	v_cvt_f32_i32_e32 v1, s17
	s_delay_alu instid0(VALU_DEP_1) | instskip(SKIP_1) | instid1(VALU_DEP_2)
	v_div_scale_f32 v2, null, v1, v1, v12
	v_div_scale_f32 v5, vcc_lo, v12, v1, v12
	v_rcp_f32_e32 v3, v2
	s_waitcnt_depctr 0xfff
	v_fma_f32 v4, -v2, v3, 1.0
	s_delay_alu instid0(VALU_DEP_1) | instskip(NEXT) | instid1(VALU_DEP_1)
	v_fmac_f32_e32 v3, v4, v3
	v_mul_f32_e32 v4, v5, v3
	s_delay_alu instid0(VALU_DEP_1) | instskip(NEXT) | instid1(VALU_DEP_1)
	v_fma_f32 v6, -v2, v4, v5
	v_fmac_f32_e32 v4, v6, v3
	s_delay_alu instid0(VALU_DEP_1) | instskip(NEXT) | instid1(VALU_DEP_1)
	v_fma_f32 v2, -v2, v4, v5
	v_div_fmas_f32 v2, v2, v3, v4
	s_delay_alu instid0(VALU_DEP_1) | instskip(NEXT) | instid1(VALU_DEP_1)
	v_div_fixup_f32 v1, v2, v1, v12
	v_add_f32_e32 v1, s16, v1
	s_delay_alu instid0(VALU_DEP_1) | instskip(SKIP_1) | instid1(VALU_DEP_2)
	v_mul_f32_e32 v2, 0x4b800000, v1
	v_cmp_gt_f32_e32 vcc_lo, 0x800000, v1
	v_cndmask_b32_e32 v1, v1, v2, vcc_lo
	s_delay_alu instid0(VALU_DEP_1) | instskip(SKIP_2) | instid1(VALU_DEP_1)
	v_rsq_f32_e32 v1, v1
	s_waitcnt_depctr 0xfff
	v_mul_f32_e32 v2, 0x45800000, v1
	v_dual_cndmask_b32 v1, v1, v2 :: v_dual_mov_b32 v2, 0
	ds_store_b32 v2, v1 offset:4224
.LBB29_16:
	s_or_b32 exec_lo, exec_lo, s3
	s_ashr_i32 s13, s17, 31
	s_waitcnt lgkmcnt(0)
	s_lshr_b32 s3, s13, 25
	s_barrier
	s_add_i32 s3, s17, s3
	buffer_gl0_inv
	s_ashr_i32 s16, s3, 7
	s_ashr_i32 s3, s3, 31
	s_abs_i32 s9, s16
	s_delay_alu instid0(SALU_CYCLE_1) | instskip(SKIP_1) | instid1(VALU_DEP_1)
	v_cvt_f32_u32_e32 v1, s9
	s_sub_i32 s18, 0, s9
	v_rcp_iflag_f32_e32 v1, v1
	s_waitcnt_depctr 0xfff
	v_mul_f32_e32 v1, 0x4f7ffffe, v1
	s_delay_alu instid0(VALU_DEP_1) | instskip(NEXT) | instid1(VALU_DEP_1)
	v_cvt_u32_f32_e32 v1, v1
	v_readfirstlane_b32 s17, v1
	s_delay_alu instid0(VALU_DEP_1) | instskip(NEXT) | instid1(SALU_CYCLE_1)
	s_mul_i32 s18, s18, s17
	s_mul_hi_u32 s18, s17, s18
	s_delay_alu instid0(SALU_CYCLE_1) | instskip(NEXT) | instid1(SALU_CYCLE_1)
	s_add_i32 s17, s17, s18
	s_mul_hi_u32 s17, s27, s17
	s_delay_alu instid0(SALU_CYCLE_1) | instskip(SKIP_2) | instid1(SALU_CYCLE_1)
	s_mul_i32 s18, s17, s9
	s_add_i32 s19, s17, 1
	s_sub_i32 s18, s27, s18
	s_sub_i32 s20, s18, s9
	s_cmp_ge_u32 s18, s9
	s_cselect_b32 s17, s19, s17
	s_cselect_b32 s18, s20, s18
	s_add_i32 s19, s17, 1
	s_cmp_ge_u32 s18, s9
	s_cselect_b32 s9, s19, s17
	s_delay_alu instid0(SALU_CYCLE_1) | instskip(NEXT) | instid1(SALU_CYCLE_1)
	s_xor_b32 s9, s9, s3
	s_sub_i32 s18, s9, s3
	s_delay_alu instid0(SALU_CYCLE_1) | instskip(SKIP_3) | instid1(VALU_DEP_1)
	s_abs_i32 s3, s18
	s_ashr_i32 s19, s18, 31
	v_cvt_f32_u32_e32 v1, s3
	s_sub_i32 s9, 0, s3
	v_rcp_iflag_f32_e32 v1, v1
	s_waitcnt_depctr 0xfff
	v_mul_f32_e32 v1, 0x4f7ffffe, v1
	s_delay_alu instid0(VALU_DEP_1) | instskip(NEXT) | instid1(VALU_DEP_1)
	v_cvt_u32_f32_e32 v1, v1
	v_mul_lo_u32 v2, s9, v1
	s_ashr_i32 s9, s8, 31
	s_delay_alu instid0(VALU_DEP_1) | instskip(NEXT) | instid1(VALU_DEP_1)
	v_mul_hi_u32 v2, v1, v2
	v_add_nc_u32_e32 v1, v1, v2
	s_delay_alu instid0(VALU_DEP_1) | instskip(NEXT) | instid1(VALU_DEP_1)
	v_mul_hi_u32 v1, v0, v1
	v_mul_lo_u32 v2, v1, s3
	v_add_nc_u32_e32 v3, 1, v1
	s_delay_alu instid0(VALU_DEP_2) | instskip(NEXT) | instid1(VALU_DEP_1)
	v_sub_nc_u32_e32 v2, v0, v2
	v_subrev_nc_u32_e32 v4, s3, v2
	v_cmp_le_u32_e32 vcc_lo, s3, v2
	s_delay_alu instid0(VALU_DEP_2) | instskip(NEXT) | instid1(VALU_DEP_1)
	v_dual_cndmask_b32 v1, v1, v3 :: v_dual_cndmask_b32 v2, v2, v4
	v_dual_mov_b32 v4, 0 :: v_dual_add_nc_u32 v3, 1, v1
	s_delay_alu instid0(VALU_DEP_2) | instskip(SKIP_2) | instid1(VALU_DEP_1)
	v_cmp_le_u32_e32 vcc_lo, s3, v2
	ds_load_b32 v28, v4 offset:4224
	v_cndmask_b32_e32 v1, v1, v3, vcc_lo
	v_xor_b32_e32 v1, s19, v1
	s_delay_alu instid0(VALU_DEP_1) | instskip(NEXT) | instid1(VALU_DEP_1)
	v_subrev_nc_u32_e32 v1, s19, v1
	v_ashrrev_i32_e32 v2, 31, v1
	v_mul_lo_u32 v3, v1, s18
	s_delay_alu instid0(VALU_DEP_2) | instskip(NEXT) | instid1(VALU_DEP_2)
	v_lshlrev_b64 v[7:8], 5, v[1:2]
	v_sub_nc_u32_e32 v3, v0, v3
	s_delay_alu instid0(VALU_DEP_2) | instskip(NEXT) | instid1(VALU_DEP_3)
	v_add_co_u32 v5, vcc_lo, v7, 32
	v_add_co_ci_u32_e32 v6, vcc_lo, 0, v8, vcc_lo
	s_delay_alu instid0(VALU_DEP_1) | instskip(SKIP_4) | instid1(VALU_DEP_3)
	v_cmp_gt_i64_e32 vcc_lo, s[8:9], v[5:6]
	v_cndmask_b32_e32 v6, s9, v6, vcc_lo
	v_cndmask_b32_e32 v5, s8, v5, vcc_lo
	v_add_co_u32 v7, vcc_lo, v7, v3
	v_add_co_ci_u32_e32 v8, vcc_lo, 0, v8, vcc_lo
	v_ashrrev_i32_e32 v10, 31, v5
	v_mov_b32_e32 v9, v5
	s_mov_b32 s9, exec_lo
	s_delay_alu instid0(VALU_DEP_1)
	v_cmpx_lt_i64_e64 v[7:8], v[9:10]
	s_cbranch_execz .LBB29_26
; %bb.17:
	v_lshlrev_b64 v[11:12], 9, v[1:2]
	v_lshlrev_b64 v[13:14], 4, v[3:4]
	v_mov_b32_e32 v4, 0
	s_lshl_b64 s[20:21], s[18:19], 6
	s_mul_hi_i32 s17, s18, 3
	s_mul_i32 s28, s18, 3
	s_lshl_b64 s[22:23], s[18:19], 1
	v_add_co_u32 v19, vcc_lo, v11, v13
	v_add_co_ci_u32_e32 v20, vcc_lo, v12, v14, vcc_lo
	v_dual_mov_b32 v12, v8 :: v_dual_mov_b32 v11, v7
	s_lshl_b64 s[24:25], s[18:19], 4
	s_mov_b32 s29, 0
                                        ; implicit-def: $sgpr30
	s_branch .LBB29_21
.LBB29_18:                              ;   in Loop: Header=BB29_21 Depth=1
	s_or_b32 exec_lo, exec_lo, s34
	s_delay_alu instid0(SALU_CYCLE_1)
	s_or_not1_b32 s3, s3, exec_lo
.LBB29_19:                              ;   in Loop: Header=BB29_21 Depth=1
	s_or_b32 exec_lo, exec_lo, s33
	s_delay_alu instid0(SALU_CYCLE_1) | instskip(SKIP_1) | instid1(SALU_CYCLE_1)
	s_and_not1_b32 s30, s30, exec_lo
	s_and_b32 s3, s3, exec_lo
	s_or_b32 s30, s30, s3
.LBB29_20:                              ;   in Loop: Header=BB29_21 Depth=1
	s_or_b32 exec_lo, exec_lo, s31
	s_delay_alu instid0(SALU_CYCLE_1) | instskip(NEXT) | instid1(SALU_CYCLE_1)
	s_and_b32 s3, exec_lo, s30
	s_or_b32 s29, s3, s29
	s_delay_alu instid0(SALU_CYCLE_1)
	s_and_not1_b32 exec_lo, exec_lo, s29
	s_cbranch_execz .LBB29_25
.LBB29_21:                              ; =>This Inner Loop Header: Depth=1
	v_add_co_u32 v15, vcc_lo, s14, v19
	v_add_co_ci_u32_e32 v16, vcc_lo, s26, v20, vcc_lo
	v_add_co_u32 v17, vcc_lo, s10, v19
	v_add_co_ci_u32_e32 v18, vcc_lo, s11, v20, vcc_lo
	s_or_b32 s30, s30, exec_lo
	global_load_b128 v[21:24], v[15:16], off
	global_load_b128 v[29:32], v[17:18], off
	s_mov_b32 s31, exec_lo
	s_waitcnt vmcnt(1) lgkmcnt(0)
	v_mul_f32_e32 v14, v28, v22
	v_mul_f32_e32 v13, v28, v21
	;; [unrolled: 1-line block ×3, first 2 shown]
	s_waitcnt vmcnt(0)
	s_delay_alu instid0(VALU_DEP_3) | instskip(NEXT) | instid1(VALU_DEP_2)
	v_dual_mul_f32 v21, v28, v23 :: v_dual_mul_f32 v24, v14, v30
	v_dual_mul_f32 v23, v13, v29 :: v_dual_mul_f32 v22, v22, v32
	s_delay_alu instid0(VALU_DEP_2) | instskip(SKIP_1) | instid1(VALU_DEP_3)
	v_mul_f32_e32 v21, v21, v31
	v_add_co_u32 v13, vcc_lo, v11, s18
	v_max3_f32 v4, v4, |v23|, |v24|
	v_add_co_ci_u32_e32 v14, vcc_lo, s19, v12, vcc_lo
	s_delay_alu instid0(VALU_DEP_2) | instskip(NEXT) | instid1(VALU_DEP_2)
	v_max3_f32 v4, v4, |v21|, |v22|
	v_cmpx_lt_i64_e64 v[13:14], v[9:10]
	s_cbranch_execz .LBB29_20
; %bb.22:                               ;   in Loop: Header=BB29_21 Depth=1
	v_add_co_u32 v15, vcc_lo, v15, s24
	v_add_co_ci_u32_e32 v16, vcc_lo, s25, v16, vcc_lo
	v_add_co_u32 v17, vcc_lo, v17, s24
	v_add_co_ci_u32_e32 v18, vcc_lo, s25, v18, vcc_lo
	s_mov_b32 s3, -1
	global_load_b128 v[21:24], v[15:16], off
	global_load_b128 v[29:32], v[17:18], off
	s_mov_b32 s33, exec_lo
	s_waitcnt vmcnt(1)
	v_mul_f32_e32 v22, v28, v22
	v_mul_f32_e32 v21, v28, v21
	;; [unrolled: 1-line block ×4, first 2 shown]
	s_waitcnt vmcnt(0)
	s_delay_alu instid0(VALU_DEP_3) | instskip(NEXT) | instid1(VALU_DEP_2)
	v_dual_mul_f32 v26, v22, v30 :: v_dual_mul_f32 v25, v21, v29
	v_dual_mul_f32 v23, v23, v31 :: v_dual_mul_f32 v24, v24, v32
	v_add_co_u32 v21, vcc_lo, s22, v11
	s_delay_alu instid0(VALU_DEP_3) | instskip(SKIP_1) | instid1(VALU_DEP_2)
	v_max3_f32 v4, v4, |v25|, |v26|
	v_add_co_ci_u32_e32 v22, vcc_lo, s23, v12, vcc_lo
	v_max3_f32 v4, v4, |v23|, |v24|
	s_delay_alu instid0(VALU_DEP_2)
	v_cmpx_lt_i64_e64 v[21:22], v[9:10]
	s_cbranch_execz .LBB29_19
; %bb.23:                               ;   in Loop: Header=BB29_21 Depth=1
	v_add_co_u32 v15, vcc_lo, v15, s24
	v_add_co_ci_u32_e32 v16, vcc_lo, s25, v16, vcc_lo
	v_add_co_u32 v17, vcc_lo, v17, s24
	v_add_co_ci_u32_e32 v18, vcc_lo, s25, v18, vcc_lo
	v_add_co_u32 v11, vcc_lo, s28, v11
	global_load_b128 v[21:24], v[15:16], off
	global_load_b128 v[29:32], v[17:18], off
	v_add_co_ci_u32_e32 v12, vcc_lo, s17, v12, vcc_lo
	s_delay_alu instid0(VALU_DEP_1)
	v_cmp_lt_i64_e32 vcc_lo, v[11:12], v[9:10]
                                        ; implicit-def: $vgpr11_vgpr12
	s_waitcnt vmcnt(1)
	v_mul_f32_e32 v22, v28, v22
	v_mul_f32_e32 v21, v28, v21
	;; [unrolled: 1-line block ×4, first 2 shown]
	s_waitcnt vmcnt(0)
	s_delay_alu instid0(VALU_DEP_3) | instskip(NEXT) | instid1(VALU_DEP_3)
	v_dual_mul_f32 v22, v22, v30 :: v_dual_mul_f32 v21, v21, v29
	v_mul_f32_e32 v23, v23, v31
	s_delay_alu instid0(VALU_DEP_2) | instskip(SKIP_1) | instid1(VALU_DEP_1)
	v_max3_f32 v4, v4, |v21|, |v22|
	v_mul_f32_e32 v21, v24, v32
	v_max3_f32 v4, v4, |v23|, |v21|
	s_and_saveexec_b32 s34, vcc_lo
	s_delay_alu instid0(SALU_CYCLE_1)
	s_xor_b32 s34, exec_lo, s34
	s_cbranch_execz .LBB29_18
; %bb.24:                               ;   in Loop: Header=BB29_21 Depth=1
	v_add_co_u32 v11, vcc_lo, v15, s24
	v_add_co_ci_u32_e32 v12, vcc_lo, s25, v16, vcc_lo
	v_add_co_u32 v21, vcc_lo, v17, s24
	v_add_co_ci_u32_e32 v22, vcc_lo, s25, v18, vcc_lo
	s_add_u32 s3, s18, s18
	global_load_b128 v[15:18], v[11:12], off
	global_load_b128 v[21:24], v[21:22], off
	s_addc_u32 s35, s19, s19
	s_add_u32 s3, s3, s18
	s_addc_u32 s35, s35, s19
	s_waitcnt vmcnt(1)
	v_mul_f32_e32 v11, v28, v15
	v_mul_f32_e32 v12, v28, v16
	;; [unrolled: 1-line block ×3, first 2 shown]
	s_waitcnt vmcnt(0)
	s_delay_alu instid0(VALU_DEP_3) | instskip(NEXT) | instid1(VALU_DEP_3)
	v_dual_mul_f32 v16, v28, v18 :: v_dual_mul_f32 v17, v11, v21
	v_mul_f32_e32 v18, v12, v22
	v_add_co_u32 v11, vcc_lo, s3, v13
	v_mul_f32_e32 v13, v15, v23
	v_add_co_ci_u32_e32 v12, vcc_lo, s35, v14, vcc_lo
	v_mul_f32_e32 v14, v16, v24
	v_max3_f32 v4, v4, |v17|, |v18|
	v_add_co_u32 v19, s3, v19, s20
	s_delay_alu instid0(VALU_DEP_4) | instskip(SKIP_1) | instid1(VALU_DEP_4)
	v_cmp_ge_i64_e32 vcc_lo, v[11:12], v[9:10]
	v_add_co_ci_u32_e64 v20, s3, s21, v20, s3
	v_max3_f32 v4, v4, |v13|, |v14|
	s_or_not1_b32 s3, vcc_lo, exec_lo
	s_branch .LBB29_18
.LBB29_25:
	s_or_b32 exec_lo, exec_lo, s29
.LBB29_26:
	s_delay_alu instid0(SALU_CYCLE_1)
	s_or_b32 exec_lo, exec_lo, s9
	s_lshr_b32 s9, s27, 5
	v_lshlrev_b32_e32 v29, 2, v0
	v_cvt_f32_u32_e32 v9, s9
	s_sub_i32 s17, 0, s9
	s_add_i32 s20, s16, s9
	s_delay_alu instid0(SALU_CYCLE_1) | instskip(NEXT) | instid1(VALU_DEP_1)
	s_add_i32 s20, s20, -1
	v_rcp_iflag_f32_e32 v9, v9
	s_abs_i32 s21, s20
	s_ashr_i32 s20, s20, 31
	ds_store_b32 v29, v4
	s_waitcnt lgkmcnt(0)
	s_barrier
	buffer_gl0_inv
	v_mul_f32_e32 v9, 0x4f7ffffe, v9
	s_delay_alu instid0(VALU_DEP_1) | instskip(NEXT) | instid1(VALU_DEP_1)
	v_cvt_u32_f32_e32 v9, v9
	v_readfirstlane_b32 s3, v9
	s_delay_alu instid0(VALU_DEP_1) | instskip(NEXT) | instid1(SALU_CYCLE_1)
	s_mul_i32 s17, s17, s3
	s_mul_hi_u32 s17, s3, s17
	s_delay_alu instid0(SALU_CYCLE_1) | instskip(SKIP_2) | instid1(SALU_CYCLE_1)
	s_add_i32 s3, s3, s17
	s_ashr_i32 s17, s16, 31
	s_mul_hi_u32 s3, s21, s3
	s_mul_i32 s22, s3, s9
	s_delay_alu instid0(SALU_CYCLE_1)
	s_sub_i32 s21, s21, s22
	s_add_i32 s22, s3, 1
	s_sub_i32 s23, s21, s9
	s_cmp_ge_u32 s21, s9
	s_cselect_b32 s3, s22, s3
	s_cselect_b32 s21, s23, s21
	s_add_i32 s22, s3, 1
	s_cmp_ge_u32 s21, s9
	s_cselect_b32 s3, s22, s3
	s_delay_alu instid0(SALU_CYCLE_1) | instskip(NEXT) | instid1(SALU_CYCLE_1)
	s_xor_b32 s3, s3, s20
	s_sub_i32 s20, s3, s20
	s_delay_alu instid0(SALU_CYCLE_1) | instskip(NEXT) | instid1(SALU_CYCLE_1)
	s_ashr_i32 s21, s20, 31
	v_cmp_lt_i64_e64 s3, s[20:21], 1
	s_delay_alu instid0(VALU_DEP_1)
	s_and_b32 vcc_lo, exec_lo, s3
	s_cbranch_vccnz .LBB29_46
; %bb.27:
	v_lshrrev_b32_e32 v9, 5, v0
	v_and_b32_e32 v4, 31, v0
	s_mov_b64 s[22:23], 0
	s_mov_b64 s[24:25], src_shared_base
	s_delay_alu instid0(VALU_DEP_2) | instskip(NEXT) | instid1(VALU_DEP_2)
	v_mul_lo_u32 v19, s18, v9
	v_add_co_u32 v11, s3, v4, 16
	s_delay_alu instid0(VALU_DEP_1) | instskip(SKIP_1) | instid1(VALU_DEP_1)
	v_add_co_ci_u32_e64 v12, null, 0, 0, s3
	v_add_co_u32 v13, s3, v4, 8
	v_add_co_ci_u32_e64 v14, null, 0, 0, s3
	v_add_co_u32 v15, s3, v4, 4
	v_dual_mov_b32 v10, 0 :: v_dual_lshlrev_b32 v21, 2, v19
	v_lshlrev_b32_e32 v22, 2, v4
	v_add_co_ci_u32_e64 v16, null, 0, 0, s3
	v_add_co_u32 v17, s3, v4, 2
	s_delay_alu instid0(VALU_DEP_1) | instskip(SKIP_1) | instid1(VALU_DEP_1)
	v_add_co_ci_u32_e64 v18, null, 0, 0, s3
	v_add_co_u32 v19, s3, v4, 1
	v_add_co_ci_u32_e64 v20, null, 0, 0, s3
	v_add3_u32 v30, v21, v22, 0x80
	s_mul_i32 s3, s18, s9
	s_delay_alu instid0(SALU_CYCLE_1)
	s_lshl_b32 s28, s3, 2
	s_branch .LBB29_30
.LBB29_28:                              ;   in Loop: Header=BB29_30 Depth=1
	s_or_b32 exec_lo, exec_lo, s3
	v_mov_b32_e32 v22, s25
	flat_load_b32 v21, v[21:22] glc dlc
	s_waitcnt vmcnt(0)
.LBB29_29:                              ;   in Loop: Header=BB29_30 Depth=1
	s_or_b32 exec_lo, exec_lo, s24
	s_add_u32 s22, s22, 1
	v_add_nc_u32_e32 v30, s28, v30
	s_addc_u32 s23, s23, 0
	s_delay_alu instid0(SALU_CYCLE_1)
	s_cmp_eq_u64 s[22:23], s[20:21]
	s_cbranch_scc1 .LBB29_46
.LBB29_30:                              ; =>This Loop Header: Depth=1
                                        ;     Child Loop BB29_33 Depth 2
	s_waitcnt lgkmcnt(0)
	v_mad_u64_u32 v[21:22], null, s22, s9, v[9:10]
	s_mov_b32 s24, exec_lo
	s_delay_alu instid0(VALU_DEP_1) | instskip(NEXT) | instid1(VALU_DEP_1)
	v_mad_u64_u32 v[23:24], null, s23, s9, v[22:23]
	v_mov_b32_e32 v22, v23
	s_delay_alu instid0(VALU_DEP_1)
	v_cmpx_gt_i64_e64 s[16:17], v[21:22]
	s_cbranch_execz .LBB29_29
; %bb.31:                               ;   in Loop: Header=BB29_30 Depth=1
	v_mul_lo_u32 v24, v22, s18
	v_mul_lo_u32 v25, v21, s19
	v_mad_u64_u32 v[22:23], null, v21, s18, 0
	s_delay_alu instid0(VALU_DEP_1) | instskip(NEXT) | instid1(VALU_DEP_2)
	v_add3_u32 v23, v23, v25, v24
	v_add_co_u32 v24, vcc_lo, v22, s18
	v_add_co_u32 v31, s3, v22, v4
	s_delay_alu instid0(VALU_DEP_3) | instskip(SKIP_2) | instid1(VALU_DEP_2)
	v_add_co_ci_u32_e32 v25, vcc_lo, s19, v23, vcc_lo
	v_add_co_ci_u32_e64 v21, s3, 0, v23, s3
	s_mov_b32 s3, exec_lo
	v_cmp_gt_i64_e32 vcc_lo, s[12:13], v[24:25]
	v_cndmask_b32_e32 v25, s13, v25, vcc_lo
	v_cndmask_b32_e32 v24, s12, v24, vcc_lo
	v_add_co_u32 v26, vcc_lo, v31, 32
	v_add_co_ci_u32_e32 v27, vcc_lo, 0, v21, vcc_lo
	v_lshlrev_b32_e32 v21, 2, v31
	s_delay_alu instid0(VALU_DEP_2)
	v_cmpx_lt_i64_e64 v[26:27], v[24:25]
	s_cbranch_execz .LBB29_34
; %bb.32:                               ;   in Loop: Header=BB29_30 Depth=1
	ds_load_b32 v33, v21
	v_mov_b32_e32 v32, v30
	s_mov_b32 s29, 0
.LBB29_33:                              ;   Parent Loop BB29_30 Depth=1
                                        ; =>  This Inner Loop Header: Depth=2
	ds_load_b32 v34, v32
	v_add_co_u32 v26, vcc_lo, v26, 32
	v_add_co_ci_u32_e32 v27, vcc_lo, 0, v27, vcc_lo
	s_waitcnt lgkmcnt(1)
	v_dual_max_f32 v33, v33, v33 :: v_dual_add_nc_u32 v32, 0x80, v32
	s_delay_alu instid0(VALU_DEP_2) | instskip(SKIP_3) | instid1(VALU_DEP_1)
	v_cmp_ge_i64_e32 vcc_lo, v[26:27], v[24:25]
	s_or_b32 s29, vcc_lo, s29
	s_waitcnt lgkmcnt(0)
	v_max_f32_e32 v34, v34, v34
	v_max_f32_e32 v33, v33, v34
	ds_store_b32 v21, v33
	s_and_not1_b32 exec_lo, exec_lo, s29
	s_cbranch_execnz .LBB29_33
.LBB29_34:                              ;   in Loop: Header=BB29_30 Depth=1
	s_or_b32 exec_lo, exec_lo, s3
	v_sub_co_u32 v22, vcc_lo, v24, v22
	v_sub_co_ci_u32_e32 v23, vcc_lo, v25, v23, vcc_lo
	s_mov_b32 s3, exec_lo
	s_delay_alu instid0(VALU_DEP_1) | instskip(SKIP_1) | instid1(VALU_DEP_1)
	v_cmp_gt_i64_e32 vcc_lo, 32, v[22:23]
	v_dual_cndmask_b32 v24, 0, v23 :: v_dual_cndmask_b32 v23, 32, v22
	v_cmpx_lt_i64_e64 v[11:12], v[23:24]
	s_cbranch_execz .LBB29_36
; %bb.35:                               ;   in Loop: Header=BB29_30 Depth=1
	v_dual_mov_b32 v22, s25 :: v_dual_add_nc_u32 v25, 64, v21
	v_mov_b32_e32 v26, s25
	flat_load_b32 v27, v[21:22] glc dlc
	s_waitcnt vmcnt(0)
	flat_load_b32 v25, v[25:26] glc dlc
	s_waitcnt vmcnt(0) lgkmcnt(0)
	v_dual_max_f32 v26, v27, v27 :: v_dual_max_f32 v25, v25, v25
	s_delay_alu instid0(VALU_DEP_1)
	v_max_f32_e32 v25, v26, v25
	flat_store_b32 v[21:22], v25 dlc
	s_waitcnt_vscnt null, 0x0
.LBB29_36:                              ;   in Loop: Header=BB29_30 Depth=1
	s_or_b32 exec_lo, exec_lo, s3
	s_delay_alu instid0(SALU_CYCLE_1)
	s_mov_b32 s3, exec_lo
	v_cmpx_lt_i64_e64 v[13:14], v[23:24]
	s_cbranch_execz .LBB29_38
; %bb.37:                               ;   in Loop: Header=BB29_30 Depth=1
	v_dual_mov_b32 v22, s25 :: v_dual_add_nc_u32 v25, 32, v21
	v_mov_b32_e32 v26, s25
	flat_load_b32 v27, v[21:22] glc dlc
	s_waitcnt vmcnt(0)
	flat_load_b32 v25, v[25:26] glc dlc
	s_waitcnt vmcnt(0) lgkmcnt(0)
	v_dual_max_f32 v26, v27, v27 :: v_dual_max_f32 v25, v25, v25
	s_delay_alu instid0(VALU_DEP_1)
	v_max_f32_e32 v25, v26, v25
	flat_store_b32 v[21:22], v25 dlc
	s_waitcnt_vscnt null, 0x0
.LBB29_38:                              ;   in Loop: Header=BB29_30 Depth=1
	s_or_b32 exec_lo, exec_lo, s3
	s_delay_alu instid0(SALU_CYCLE_1)
	s_mov_b32 s3, exec_lo
	v_cmpx_ge_i64_e64 v[15:16], v[23:24]
	s_xor_b32 s3, exec_lo, s3
; %bb.39:                               ;   in Loop: Header=BB29_30 Depth=1
                                        ; implicit-def: $vgpr21
; %bb.40:                               ;   in Loop: Header=BB29_30 Depth=1
	s_delay_alu instid0(SALU_CYCLE_1)
	s_and_not1_saveexec_b32 s3, s3
	s_cbranch_execz .LBB29_42
; %bb.41:                               ;   in Loop: Header=BB29_30 Depth=1
	v_dual_mov_b32 v22, s25 :: v_dual_add_nc_u32 v25, 16, v21
	v_mov_b32_e32 v26, s25
	flat_load_b32 v27, v[21:22] glc dlc
	s_waitcnt vmcnt(0)
	flat_load_b32 v25, v[25:26] glc dlc
	s_waitcnt vmcnt(0) lgkmcnt(0)
	v_dual_max_f32 v26, v27, v27 :: v_dual_max_f32 v25, v25, v25
	s_delay_alu instid0(VALU_DEP_1)
	v_max_f32_e32 v25, v26, v25
	flat_store_b32 v[21:22], v25 dlc
	s_waitcnt_vscnt null, 0x0
.LBB29_42:                              ;   in Loop: Header=BB29_30 Depth=1
	s_or_b32 exec_lo, exec_lo, s3
	v_lshlrev_b32_e32 v21, 2, v31
	s_mov_b32 s3, exec_lo
	v_cmpx_lt_i64_e64 v[17:18], v[23:24]
	s_cbranch_execz .LBB29_44
; %bb.43:                               ;   in Loop: Header=BB29_30 Depth=1
	s_delay_alu instid0(VALU_DEP_2)
	v_dual_mov_b32 v22, s25 :: v_dual_add_nc_u32 v25, 8, v21
	v_mov_b32_e32 v26, s25
	flat_load_b32 v27, v[21:22] glc dlc
	s_waitcnt vmcnt(0)
	flat_load_b32 v25, v[25:26] glc dlc
	s_waitcnt vmcnt(0) lgkmcnt(0)
	v_dual_max_f32 v26, v27, v27 :: v_dual_max_f32 v25, v25, v25
	s_delay_alu instid0(VALU_DEP_1)
	v_max_f32_e32 v25, v26, v25
	flat_store_b32 v[21:22], v25 dlc
	s_waitcnt_vscnt null, 0x0
.LBB29_44:                              ;   in Loop: Header=BB29_30 Depth=1
	s_or_b32 exec_lo, exec_lo, s3
	s_delay_alu instid0(SALU_CYCLE_1)
	s_mov_b32 s3, exec_lo
	v_cmpx_lt_i64_e64 v[19:20], v[23:24]
	s_cbranch_execz .LBB29_28
; %bb.45:                               ;   in Loop: Header=BB29_30 Depth=1
	v_dual_mov_b32 v22, s25 :: v_dual_add_nc_u32 v23, 4, v21
	v_mov_b32_e32 v24, s25
	flat_load_b32 v25, v[21:22] glc dlc
	s_waitcnt vmcnt(0)
	flat_load_b32 v23, v[23:24] glc dlc
	s_waitcnt vmcnt(0) lgkmcnt(0)
	v_dual_max_f32 v24, v25, v25 :: v_dual_max_f32 v23, v23, v23
	s_delay_alu instid0(VALU_DEP_1)
	v_max_f32_e32 v23, v24, v23
	flat_store_b32 v[21:22], v23 dlc
	s_waitcnt_vscnt null, 0x0
	s_branch .LBB29_28
.LBB29_46:
	v_cmp_lt_i64_e32 vcc_lo, v[7:8], v[5:6]
	v_cmp_eq_u32_e64 s3, 0, v3
	s_mul_i32 s9, s17, s15
	s_mul_hi_u32 s18, s16, s15
	s_mul_i32 s16, s16, s15
	s_waitcnt lgkmcnt(0)
	s_and_b32 s17, s3, vcc_lo
	s_barrier
	buffer_gl0_inv
	s_and_saveexec_b32 s3, s17
	s_cbranch_execz .LBB29_50
; %bb.47:
	s_load_b64 s[0:1], s[0:1], 0x20
	ds_load_b32 v3, v29
	s_waitcnt lgkmcnt(0)
	s_cmp_eq_u64 s[0:1], 0
	s_cbranch_scc1 .LBB29_49
; %bb.48:
	s_load_b32 s0, s[0:1], 0x0
	v_max_f32_e32 v3, v3, v3
	s_waitcnt lgkmcnt(0)
	v_max_f32_e64 v4, s0, s0
	s_delay_alu instid0(VALU_DEP_1)
	v_min_f32_e32 v3, v3, v4
.LBB29_49:
	s_delay_alu instid0(VALU_DEP_1) | instskip(SKIP_2) | instid1(VALU_DEP_2)
	v_div_scale_f32 v4, null, 0x42fe0000, 0x42fe0000, v3
	v_div_scale_f32 v7, vcc_lo, v3, 0x42fe0000, v3
	s_add_i32 s17, s18, s9
	v_rcp_f32_e32 v5, v4
	v_lshlrev_b64 v[1:2], 2, v[1:2]
	s_lshl_b64 s[0:1], s[16:17], 2
	s_delay_alu instid0(SALU_CYCLE_1) | instskip(SKIP_3) | instid1(VALU_DEP_1)
	s_add_u32 s0, s6, s0
	s_addc_u32 s1, s7, s1
	s_waitcnt_depctr 0xfff
	v_fma_f32 v6, -v4, v5, 1.0
	v_fmac_f32_e32 v5, v6, v5
	s_delay_alu instid0(VALU_DEP_1) | instskip(NEXT) | instid1(VALU_DEP_1)
	v_mul_f32_e32 v6, v7, v5
	v_fma_f32 v8, -v4, v6, v7
	s_delay_alu instid0(VALU_DEP_1) | instskip(NEXT) | instid1(VALU_DEP_1)
	v_fmac_f32_e32 v6, v8, v5
	v_fma_f32 v4, -v4, v6, v7
	s_delay_alu instid0(VALU_DEP_1) | instskip(SKIP_2) | instid1(VALU_DEP_3)
	v_div_fmas_f32 v4, v4, v5, v6
	v_add_co_u32 v1, vcc_lo, s0, v1
	v_add_co_ci_u32_e32 v2, vcc_lo, s1, v2, vcc_lo
	v_div_fixup_f32 v3, v4, 0x42fe0000, v3
	s_delay_alu instid0(VALU_DEP_1)
	v_max_f32_e32 v3, 0x34000000, v3
	global_store_b32 v[1:2], v3, off
.LBB29_50:
	s_or_b32 exec_lo, exec_lo, s3
	s_waitcnt_vscnt null, 0x0
	s_barrier
	buffer_gl0_inv
	s_and_saveexec_b32 s0, s2
	s_cbranch_execz .LBB29_59
; %bb.51:
	s_mul_i32 s0, s13, s15
	s_mul_hi_u32 s1, s12, s15
	s_mul_i32 s2, s12, s15
	s_add_i32 s1, s1, s0
	s_add_u32 s2, s4, s2
	s_addc_u32 s3, s5, s1
	s_add_i32 s17, s18, s9
	v_mov_b32_e32 v1, 0
	s_lshl_b64 s[0:1], s[16:17], 2
	s_mul_i32 s4, s27, 3
	s_add_u32 s0, s6, s0
	s_addc_u32 s1, s7, s1
	s_lshl_b32 s5, s27, 1
	s_mov_b32 s6, 0
	s_add_i32 s7, s27, s27
                                        ; implicit-def: $sgpr9
	s_branch .LBB29_55
.LBB29_52:                              ;   in Loop: Header=BB29_55 Depth=1
	s_or_b32 exec_lo, exec_lo, s15
	s_delay_alu instid0(SALU_CYCLE_1)
	s_or_not1_b32 s15, s16, exec_lo
.LBB29_53:                              ;   in Loop: Header=BB29_55 Depth=1
	s_or_b32 exec_lo, exec_lo, s13
	s_delay_alu instid0(SALU_CYCLE_1) | instskip(SKIP_1) | instid1(SALU_CYCLE_1)
	s_and_not1_b32 s9, s9, exec_lo
	s_and_b32 s13, s15, exec_lo
	s_or_b32 s9, s9, s13
.LBB29_54:                              ;   in Loop: Header=BB29_55 Depth=1
	s_or_b32 exec_lo, exec_lo, s12
	s_delay_alu instid0(SALU_CYCLE_1) | instskip(NEXT) | instid1(SALU_CYCLE_1)
	s_and_b32 s12, exec_lo, s9
	s_or_b32 s6, s12, s6
	s_delay_alu instid0(SALU_CYCLE_1)
	s_and_not1_b32 exec_lo, exec_lo, s6
	s_cbranch_execz .LBB29_59
.LBB29_55:                              ; =>This Inner Loop Header: Depth=1
	v_lshrrev_b32_e32 v2, 3, v0
	v_lshlrev_b64 v[6:7], 4, v[0:1]
	s_or_b32 s9, s9, exec_lo
	s_mov_b32 s12, exec_lo
	s_delay_alu instid0(VALU_DEP_2)
	v_and_b32_e32 v2, 0x7fffffc, v2
	global_load_b32 v10, v2, s[0:1]
	v_add_co_u32 v2, vcc_lo, s14, v6
	v_add_co_ci_u32_e32 v3, vcc_lo, s26, v7, vcc_lo
	v_add_co_u32 v6, vcc_lo, s10, v6
	v_add_co_ci_u32_e32 v7, vcc_lo, s11, v7, vcc_lo
	global_load_b128 v[2:5], v[2:3], off
	global_load_b128 v[6:9], v[6:7], off
	s_waitcnt vmcnt(2)
	v_div_scale_f32 v11, null, v10, v10, 1.0
	v_div_scale_f32 v14, vcc_lo, 1.0, v10, 1.0
	s_delay_alu instid0(VALU_DEP_2)
	v_rcp_f32_e32 v12, v11
	s_waitcnt vmcnt(1)
	v_mul_f32_e32 v3, v28, v3
	v_mul_f32_e32 v4, v28, v4
	v_mul_f32_e32 v2, v28, v2
	v_mul_f32_e32 v5, v28, v5
	s_waitcnt vmcnt(0)
	v_mul_f32_e32 v3, v3, v7
	s_waitcnt_depctr 0xfff
	v_fma_f32 v13, -v11, v12, 1.0
	v_mul_f32_e32 v2, v2, v6
	v_dual_mul_f32 v4, v4, v8 :: v_dual_mul_f32 v5, v5, v9
	s_delay_alu instid0(VALU_DEP_3) | instskip(NEXT) | instid1(VALU_DEP_1)
	v_fmac_f32_e32 v12, v13, v12
	v_mul_f32_e32 v13, v14, v12
	s_delay_alu instid0(VALU_DEP_1) | instskip(NEXT) | instid1(VALU_DEP_1)
	v_fma_f32 v15, -v11, v13, v14
	v_fmac_f32_e32 v13, v15, v12
	s_delay_alu instid0(VALU_DEP_1) | instskip(NEXT) | instid1(VALU_DEP_1)
	v_fma_f32 v11, -v11, v13, v14
	v_div_fmas_f32 v11, v11, v12, v13
	s_delay_alu instid0(VALU_DEP_1) | instskip(NEXT) | instid1(VALU_DEP_1)
	v_div_fixup_f32 v8, v11, v10, 1.0
	v_mul_f32_e32 v2, v2, v8
	s_delay_alu instid0(VALU_DEP_1) | instskip(SKIP_1) | instid1(VALU_DEP_1)
	v_rndne_f32_e32 v2, v2
	v_mul_f32_e32 v4, v4, v8
	v_rndne_f32_e32 v4, v4
	s_delay_alu instid0(VALU_DEP_1) | instskip(SKIP_3) | instid1(VALU_DEP_2)
	v_cmp_nlt_f32_e32 vcc_lo, 0x42fe0000, v4
	v_cndmask_b32_e32 v6, 0x42fe0000, v4, vcc_lo
	v_mul_f32_e32 v3, v3, v8
	v_cmp_nlt_f32_e32 vcc_lo, 0x42fe0000, v2
	v_rndne_f32_e32 v3, v3
	v_cndmask_b32_e32 v7, 0x42fe0000, v2, vcc_lo
	s_delay_alu instid0(VALU_DEP_2) | instskip(SKIP_2) | instid1(VALU_DEP_2)
	v_cmp_nlt_f32_e32 vcc_lo, 0x42fe0000, v3
	v_dual_mul_f32 v5, v5, v8 :: v_dual_cndmask_b32 v8, 0x42fe0000, v3
	v_cmp_ngt_f32_e32 vcc_lo, 0xc3000000, v4
	v_rndne_f32_e32 v5, v5
	v_cndmask_b32_e32 v4, 0xc3000000, v6, vcc_lo
	s_delay_alu instid0(VALU_DEP_2) | instskip(NEXT) | instid1(VALU_DEP_2)
	v_cmp_nlt_f32_e32 vcc_lo, 0x42fe0000, v5
	v_cvt_i32_f32_e32 v4, v4
	s_delay_alu instid0(VALU_DEP_1) | instskip(SKIP_4) | instid1(VALU_DEP_2)
	v_and_b32_e32 v4, 0xff, v4
	v_cndmask_b32_e32 v6, 0x42fe0000, v5, vcc_lo
	v_cmp_ngt_f32_e32 vcc_lo, 0xc3000000, v3
	v_cndmask_b32_e32 v3, 0xc3000000, v8, vcc_lo
	v_cmp_ngt_f32_e32 vcc_lo, 0xc3000000, v2
	v_cvt_i32_f32_e32 v3, v3
	v_cndmask_b32_e32 v2, 0xc3000000, v7, vcc_lo
	v_cmp_ngt_f32_e32 vcc_lo, 0xc3000000, v5
	v_lshlrev_b32_e32 v7, 16, v4
	s_delay_alu instid0(VALU_DEP_3) | instskip(SKIP_3) | instid1(VALU_DEP_4)
	v_cvt_i32_f32_e32 v2, v2
	v_cndmask_b32_e32 v5, 0xc3000000, v6, vcc_lo
	v_and_b32_e32 v6, 0xff, v3
	v_lshlrev_b64 v[3:4], 2, v[0:1]
	v_and_b32_e32 v8, 0xff, v2
	s_delay_alu instid0(VALU_DEP_4) | instskip(NEXT) | instid1(VALU_DEP_4)
	v_cvt_i32_f32_e32 v5, v5
	v_lshlrev_b32_e32 v6, 8, v6
	v_add_nc_u32_e32 v2, s27, v0
	v_add_co_u32 v3, vcc_lo, s2, v3
	s_delay_alu instid0(VALU_DEP_4) | instskip(SKIP_1) | instid1(VALU_DEP_2)
	v_lshl_or_b32 v5, v5, 24, v7
	v_add_co_ci_u32_e32 v4, vcc_lo, s3, v4, vcc_lo
	v_or3_b32 v5, v5, v6, v8
	global_store_b32 v[3:4], v5, off
	v_cmpx_gt_u32_e64 s8, v2
	s_cbranch_execz .LBB29_54
; %bb.56:                               ;   in Loop: Header=BB29_55 Depth=1
	v_lshrrev_b32_e32 v3, 3, v2
	s_mov_b32 s15, -1
	s_mov_b32 s13, exec_lo
	s_delay_alu instid0(VALU_DEP_1) | instskip(SKIP_2) | instid1(VALU_DEP_1)
	v_and_b32_e32 v3, 0x7fffffc, v3
	global_load_b32 v12, v3, s[0:1]
	v_mov_b32_e32 v3, v1
	v_lshlrev_b64 v[8:9], 4, v[2:3]
	s_delay_alu instid0(VALU_DEP_1) | instskip(NEXT) | instid1(VALU_DEP_2)
	v_add_co_u32 v4, vcc_lo, s14, v8
	v_add_co_ci_u32_e32 v5, vcc_lo, s26, v9, vcc_lo
	v_add_co_u32 v8, vcc_lo, s10, v8
	v_add_co_ci_u32_e32 v9, vcc_lo, s11, v9, vcc_lo
	global_load_b128 v[4:7], v[4:5], off
	global_load_b128 v[8:11], v[8:9], off
	s_waitcnt vmcnt(2)
	v_div_scale_f32 v13, null, v12, v12, 1.0
	v_div_scale_f32 v16, vcc_lo, 1.0, v12, 1.0
	s_delay_alu instid0(VALU_DEP_2) | instskip(SKIP_4) | instid1(VALU_DEP_2)
	v_rcp_f32_e32 v14, v13
	s_waitcnt_depctr 0xfff
	v_fma_f32 v15, -v13, v14, 1.0
	s_waitcnt vmcnt(1)
	v_mul_f32_e32 v6, v28, v6
	v_dual_fmac_f32 v14, v15, v14 :: v_dual_mul_f32 v5, v28, v5
	v_mul_f32_e32 v4, v28, v4
	s_waitcnt vmcnt(0)
	s_delay_alu instid0(VALU_DEP_3) | instskip(NEXT) | instid1(VALU_DEP_3)
	v_mul_f32_e32 v6, v6, v10
	v_mul_f32_e32 v15, v16, v14
	s_delay_alu instid0(VALU_DEP_3) | instskip(NEXT) | instid1(VALU_DEP_2)
	v_dual_mul_f32 v5, v5, v9 :: v_dual_mul_f32 v4, v4, v8
	v_fma_f32 v17, -v13, v15, v16
	s_delay_alu instid0(VALU_DEP_1) | instskip(NEXT) | instid1(VALU_DEP_1)
	v_fmac_f32_e32 v15, v17, v14
	v_fma_f32 v13, -v13, v15, v16
	s_delay_alu instid0(VALU_DEP_1) | instskip(NEXT) | instid1(VALU_DEP_1)
	v_div_fmas_f32 v13, v13, v14, v15
	v_div_fixup_f32 v10, v13, v12, 1.0
	s_delay_alu instid0(VALU_DEP_1) | instskip(NEXT) | instid1(VALU_DEP_1)
	v_dual_mul_f32 v7, v28, v7 :: v_dual_mul_f32 v6, v6, v10
	v_dual_mul_f32 v7, v7, v11 :: v_dual_mul_f32 v4, v4, v10
	s_delay_alu instid0(VALU_DEP_2) | instskip(NEXT) | instid1(VALU_DEP_2)
	v_rndne_f32_e32 v6, v6
	v_rndne_f32_e32 v4, v4
	s_delay_alu instid0(VALU_DEP_2) | instskip(SKIP_2) | instid1(VALU_DEP_4)
	v_cmp_nlt_f32_e32 vcc_lo, 0x42fe0000, v6
	v_cndmask_b32_e32 v8, 0x42fe0000, v6, vcc_lo
	v_mul_f32_e32 v5, v5, v10
	v_cmp_nlt_f32_e32 vcc_lo, 0x42fe0000, v4
	s_delay_alu instid0(VALU_DEP_2) | instskip(SKIP_2) | instid1(VALU_DEP_3)
	v_rndne_f32_e32 v5, v5
	v_cndmask_b32_e32 v9, 0x42fe0000, v4, vcc_lo
	v_mul_f32_e32 v7, v7, v10
	v_cmp_nlt_f32_e32 vcc_lo, 0x42fe0000, v5
	s_delay_alu instid0(VALU_DEP_2) | instskip(SKIP_3) | instid1(VALU_DEP_4)
	v_rndne_f32_e32 v7, v7
	v_cndmask_b32_e32 v10, 0x42fe0000, v5, vcc_lo
	v_cmp_ngt_f32_e32 vcc_lo, 0xc3000000, v6
	v_cndmask_b32_e32 v6, 0xc3000000, v8, vcc_lo
	v_cmp_nlt_f32_e32 vcc_lo, 0x42fe0000, v7
	s_delay_alu instid0(VALU_DEP_2) | instskip(SKIP_2) | instid1(VALU_DEP_3)
	v_cvt_i32_f32_e32 v6, v6
	v_cndmask_b32_e32 v8, 0x42fe0000, v7, vcc_lo
	v_cmp_ngt_f32_e32 vcc_lo, 0xc3000000, v5
	v_and_b32_e32 v6, 0xff, v6
	v_cndmask_b32_e32 v5, 0xc3000000, v10, vcc_lo
	v_cmp_ngt_f32_e32 vcc_lo, 0xc3000000, v4
	s_delay_alu instid0(VALU_DEP_3) | instskip(NEXT) | instid1(VALU_DEP_3)
	v_lshlrev_b32_e32 v6, 16, v6
	v_cvt_i32_f32_e32 v5, v5
	v_cndmask_b32_e32 v4, 0xc3000000, v9, vcc_lo
	v_cmp_ngt_f32_e32 vcc_lo, 0xc3000000, v7
	s_delay_alu instid0(VALU_DEP_3) | instskip(SKIP_1) | instid1(VALU_DEP_4)
	v_and_b32_e32 v9, 0xff, v5
	v_cndmask_b32_e32 v7, 0xc3000000, v8, vcc_lo
	v_cvt_i32_f32_e32 v8, v4
	v_lshlrev_b64 v[4:5], 2, v[2:3]
	s_delay_alu instid0(VALU_DEP_4) | instskip(SKIP_4) | instid1(VALU_DEP_3)
	v_lshlrev_b32_e32 v9, 8, v9
	v_add_nc_u32_e32 v3, s5, v0
	v_cvt_i32_f32_e32 v7, v7
	v_and_b32_e32 v8, 0xff, v8
	v_add_co_u32 v4, vcc_lo, s2, v4
	v_lshl_or_b32 v6, v7, 24, v6
	v_add_co_ci_u32_e32 v5, vcc_lo, s3, v5, vcc_lo
	s_delay_alu instid0(VALU_DEP_2)
	v_or3_b32 v6, v6, v9, v8
	global_store_b32 v[4:5], v6, off
	v_cmpx_gt_u32_e64 s8, v3
	s_cbranch_execz .LBB29_53
; %bb.57:                               ;   in Loop: Header=BB29_55 Depth=1
	v_lshrrev_b32_e32 v4, 3, v3
	v_add_nc_u32_e32 v0, s4, v0
	s_mov_b32 s16, -1
	s_mov_b32 s15, exec_lo
	s_delay_alu instid0(VALU_DEP_2) | instskip(SKIP_2) | instid1(VALU_DEP_1)
	v_and_b32_e32 v4, 0x7fffffc, v4
	global_load_b32 v13, v4, s[0:1]
	v_mov_b32_e32 v4, v1
	v_lshlrev_b64 v[9:10], 4, v[3:4]
	s_delay_alu instid0(VALU_DEP_1) | instskip(NEXT) | instid1(VALU_DEP_2)
	v_add_co_u32 v5, vcc_lo, s14, v9
	v_add_co_ci_u32_e32 v6, vcc_lo, s26, v10, vcc_lo
	v_add_co_u32 v9, vcc_lo, s10, v9
	v_add_co_ci_u32_e32 v10, vcc_lo, s11, v10, vcc_lo
	global_load_b128 v[5:8], v[5:6], off
	global_load_b128 v[9:12], v[9:10], off
	s_waitcnt vmcnt(2)
	v_div_scale_f32 v14, null, v13, v13, 1.0
	v_div_scale_f32 v17, vcc_lo, 1.0, v13, 1.0
	s_delay_alu instid0(VALU_DEP_2) | instskip(SKIP_4) | instid1(VALU_DEP_2)
	v_rcp_f32_e32 v15, v14
	s_waitcnt_depctr 0xfff
	v_fma_f32 v16, -v14, v15, 1.0
	s_waitcnt vmcnt(1)
	v_mul_f32_e32 v7, v28, v7
	v_fmac_f32_e32 v15, v16, v15
	v_mul_f32_e32 v6, v28, v6
	v_lshlrev_b64 v[3:4], 2, v[3:4]
	v_mul_f32_e32 v5, v28, v5
	s_waitcnt vmcnt(0)
	v_mul_f32_e32 v7, v7, v11
	v_mul_f32_e32 v16, v17, v15
	s_delay_alu instid0(VALU_DEP_3) | instskip(NEXT) | instid1(VALU_DEP_2)
	v_mul_f32_e32 v5, v5, v9
	v_fma_f32 v18, -v14, v16, v17
	s_delay_alu instid0(VALU_DEP_1) | instskip(NEXT) | instid1(VALU_DEP_1)
	v_fmac_f32_e32 v16, v18, v15
	v_fma_f32 v14, -v14, v16, v17
	s_delay_alu instid0(VALU_DEP_1) | instskip(NEXT) | instid1(VALU_DEP_1)
	v_div_fmas_f32 v14, v14, v15, v16
	v_div_fixup_f32 v11, v14, v13, 1.0
	v_mul_f32_e32 v8, v28, v8
	s_delay_alu instid0(VALU_DEP_2) | instskip(SKIP_1) | instid1(VALU_DEP_2)
	v_dual_mul_f32 v6, v6, v10 :: v_dual_mul_f32 v5, v5, v11
	v_mul_f32_e32 v7, v7, v11
	v_rndne_f32_e32 v5, v5
	s_delay_alu instid0(VALU_DEP_2) | instskip(NEXT) | instid1(VALU_DEP_1)
	v_rndne_f32_e32 v7, v7
	v_cmp_nlt_f32_e32 vcc_lo, 0x42fe0000, v7
	v_dual_mul_f32 v8, v8, v12 :: v_dual_cndmask_b32 v9, 0x42fe0000, v7
	v_mul_f32_e32 v6, v6, v11
	v_cmp_nlt_f32_e32 vcc_lo, 0x42fe0000, v5
	s_delay_alu instid0(VALU_DEP_2) | instskip(SKIP_1) | instid1(VALU_DEP_2)
	v_rndne_f32_e32 v6, v6
	v_cndmask_b32_e32 v10, 0x42fe0000, v5, vcc_lo
	v_cmp_nlt_f32_e32 vcc_lo, 0x42fe0000, v6
	v_dual_mul_f32 v8, v8, v11 :: v_dual_cndmask_b32 v11, 0x42fe0000, v6
	s_delay_alu instid0(VALU_DEP_1) | instskip(SKIP_2) | instid1(VALU_DEP_3)
	v_rndne_f32_e32 v8, v8
	v_cmp_ngt_f32_e32 vcc_lo, 0xc3000000, v7
	v_cndmask_b32_e32 v7, 0xc3000000, v9, vcc_lo
	v_cmp_nlt_f32_e32 vcc_lo, 0x42fe0000, v8
	s_delay_alu instid0(VALU_DEP_2) | instskip(SKIP_2) | instid1(VALU_DEP_3)
	v_cvt_i32_f32_e32 v7, v7
	v_cndmask_b32_e32 v9, 0x42fe0000, v8, vcc_lo
	v_cmp_ngt_f32_e32 vcc_lo, 0xc3000000, v6
	v_and_b32_e32 v7, 0xff, v7
	v_cndmask_b32_e32 v6, 0xc3000000, v11, vcc_lo
	v_cmp_ngt_f32_e32 vcc_lo, 0xc3000000, v5
	s_delay_alu instid0(VALU_DEP_3) | instskip(NEXT) | instid1(VALU_DEP_3)
	v_lshlrev_b32_e32 v7, 16, v7
	v_cvt_i32_f32_e32 v6, v6
	v_cndmask_b32_e32 v5, 0xc3000000, v10, vcc_lo
	v_cmp_ngt_f32_e32 vcc_lo, 0xc3000000, v8
	s_delay_alu instid0(VALU_DEP_3) | instskip(NEXT) | instid1(VALU_DEP_3)
	v_and_b32_e32 v6, 0xff, v6
	v_cvt_i32_f32_e32 v5, v5
	s_delay_alu instid0(VALU_DEP_2) | instskip(SKIP_1) | instid1(VALU_DEP_3)
	v_lshlrev_b32_e32 v6, 8, v6
	v_cndmask_b32_e32 v8, 0xc3000000, v9, vcc_lo
	v_and_b32_e32 v5, 0xff, v5
	v_add_co_u32 v3, vcc_lo, s2, v3
	v_add_co_ci_u32_e32 v4, vcc_lo, s3, v4, vcc_lo
	s_delay_alu instid0(VALU_DEP_4) | instskip(NEXT) | instid1(VALU_DEP_1)
	v_cvt_i32_f32_e32 v8, v8
	v_lshl_or_b32 v7, v8, 24, v7
	s_delay_alu instid0(VALU_DEP_1)
	v_or3_b32 v5, v7, v6, v5
	global_store_b32 v[3:4], v5, off
	v_cmpx_gt_u32_e64 s8, v0
	s_cbranch_execz .LBB29_52
; %bb.58:                               ;   in Loop: Header=BB29_55 Depth=1
	v_lshrrev_b32_e32 v3, 3, v0
	v_lshlrev_b64 v[7:8], 4, v[0:1]
	s_delay_alu instid0(VALU_DEP_2)
	v_and_b32_e32 v3, 0x7fffffc, v3
	global_load_b32 v11, v3, s[0:1]
	v_add_co_u32 v3, vcc_lo, s14, v7
	v_add_co_ci_u32_e32 v4, vcc_lo, s26, v8, vcc_lo
	v_add_co_u32 v7, vcc_lo, s10, v7
	v_add_co_ci_u32_e32 v8, vcc_lo, s11, v8, vcc_lo
	global_load_b128 v[3:6], v[3:4], off
	global_load_b128 v[7:10], v[7:8], off
	s_waitcnt vmcnt(2)
	v_div_scale_f32 v12, null, v11, v11, 1.0
	v_div_scale_f32 v15, vcc_lo, 1.0, v11, 1.0
	s_delay_alu instid0(VALU_DEP_2)
	v_rcp_f32_e32 v13, v12
	s_waitcnt vmcnt(1)
	v_mul_f32_e32 v6, v28, v6
	v_mul_f32_e32 v5, v28, v5
	;; [unrolled: 1-line block ×3, first 2 shown]
	s_waitcnt vmcnt(0)
	s_delay_alu instid0(VALU_DEP_3) | instskip(SKIP_4) | instid1(VALU_DEP_3)
	v_mul_f32_e32 v6, v6, v10
	s_waitcnt_depctr 0xfff
	v_fma_f32 v14, -v12, v13, 1.0
	v_mul_f32_e32 v3, v28, v3
	v_mul_f32_e32 v5, v5, v9
	v_fmac_f32_e32 v13, v14, v13
	s_delay_alu instid0(VALU_DEP_3) | instskip(NEXT) | instid1(VALU_DEP_2)
	v_mul_f32_e32 v3, v3, v7
	v_mul_f32_e32 v14, v15, v13
	s_delay_alu instid0(VALU_DEP_1) | instskip(NEXT) | instid1(VALU_DEP_1)
	v_fma_f32 v16, -v12, v14, v15
	v_fmac_f32_e32 v14, v16, v13
	s_delay_alu instid0(VALU_DEP_1) | instskip(NEXT) | instid1(VALU_DEP_1)
	v_fma_f32 v12, -v12, v14, v15
	v_div_fmas_f32 v12, v12, v13, v14
	s_delay_alu instid0(VALU_DEP_1) | instskip(NEXT) | instid1(VALU_DEP_1)
	v_div_fixup_f32 v9, v12, v11, 1.0
	v_dual_mul_f32 v4, v4, v8 :: v_dual_mul_f32 v5, v5, v9
	v_mul_f32_e32 v3, v3, v9
	v_mul_f32_e32 v6, v6, v9
	s_delay_alu instid0(VALU_DEP_3) | instskip(NEXT) | instid1(VALU_DEP_3)
	v_rndne_f32_e32 v5, v5
	v_rndne_f32_e32 v3, v3
	s_delay_alu instid0(VALU_DEP_3) | instskip(NEXT) | instid1(VALU_DEP_3)
	v_rndne_f32_e32 v6, v6
	v_cmp_nlt_f32_e32 vcc_lo, 0x42fe0000, v5
	v_cndmask_b32_e32 v7, 0x42fe0000, v5, vcc_lo
	v_mul_f32_e32 v4, v4, v9
	v_cmp_nlt_f32_e32 vcc_lo, 0x42fe0000, v3
	s_delay_alu instid0(VALU_DEP_2) | instskip(SKIP_1) | instid1(VALU_DEP_2)
	v_rndne_f32_e32 v4, v4
	v_cndmask_b32_e32 v8, 0x42fe0000, v3, vcc_lo
	v_cmp_nlt_f32_e32 vcc_lo, 0x42fe0000, v4
	v_cndmask_b32_e32 v9, 0x42fe0000, v4, vcc_lo
	v_cmp_ngt_f32_e32 vcc_lo, 0xc3000000, v5
	v_cndmask_b32_e32 v5, 0xc3000000, v7, vcc_lo
	v_cmp_nlt_f32_e32 vcc_lo, 0x42fe0000, v6
	s_delay_alu instid0(VALU_DEP_2) | instskip(SKIP_2) | instid1(VALU_DEP_3)
	v_cvt_i32_f32_e32 v5, v5
	v_cndmask_b32_e32 v7, 0x42fe0000, v6, vcc_lo
	v_cmp_ngt_f32_e32 vcc_lo, 0xc3000000, v4
	v_and_b32_e32 v5, 0xff, v5
	v_cndmask_b32_e32 v4, 0xc3000000, v9, vcc_lo
	v_cmp_ngt_f32_e32 vcc_lo, 0xc3000000, v3
	s_delay_alu instid0(VALU_DEP_3) | instskip(NEXT) | instid1(VALU_DEP_3)
	v_lshlrev_b32_e32 v5, 16, v5
	v_cvt_i32_f32_e32 v4, v4
	v_cndmask_b32_e32 v3, 0xc3000000, v8, vcc_lo
	v_cmp_ngt_f32_e32 vcc_lo, 0xc3000000, v6
	s_delay_alu instid0(VALU_DEP_3) | instskip(SKIP_1) | instid1(VALU_DEP_4)
	v_and_b32_e32 v8, 0xff, v4
	v_cndmask_b32_e32 v6, 0xc3000000, v7, vcc_lo
	v_cvt_i32_f32_e32 v7, v3
	v_lshlrev_b64 v[3:4], 2, v[0:1]
	v_add3_u32 v0, s7, s27, v2
	v_lshlrev_b32_e32 v8, 8, v8
	v_cvt_i32_f32_e32 v6, v6
	v_and_b32_e32 v7, 0xff, v7
	v_add_co_u32 v2, vcc_lo, s2, v3
	s_delay_alu instid0(VALU_DEP_3) | instskip(SKIP_2) | instid1(VALU_DEP_3)
	v_lshl_or_b32 v5, v6, 24, v5
	v_add_co_ci_u32_e32 v3, vcc_lo, s3, v4, vcc_lo
	v_cmp_le_u32_e32 vcc_lo, s8, v0
	v_or3_b32 v4, v5, v8, v7
	s_or_not1_b32 s16, vcc_lo, exec_lo
	global_store_b32 v[2:3], v4, off
	s_branch .LBB29_52
.LBB29_59:
	s_nop 0
	s_sendmsg sendmsg(MSG_DEALLOC_VGPRS)
	s_endpgm
	.section	.rodata,"a",@progbits
	.p2align	6, 0x0
	.amdhsa_kernel _ZN4vllm31rms_norm_per_block_quant_kernelIfaLb0ELb0ELi128EEEvPT0_PfPKT_S6_PKffiiPS4_l
		.amdhsa_group_segment_fixed_size 4228
		.amdhsa_private_segment_fixed_size 0
		.amdhsa_kernarg_size 328
		.amdhsa_user_sgpr_count 15
		.amdhsa_user_sgpr_dispatch_ptr 0
		.amdhsa_user_sgpr_queue_ptr 0
		.amdhsa_user_sgpr_kernarg_segment_ptr 1
		.amdhsa_user_sgpr_dispatch_id 0
		.amdhsa_user_sgpr_private_segment_size 0
		.amdhsa_wavefront_size32 1
		.amdhsa_uses_dynamic_stack 0
		.amdhsa_enable_private_segment 0
		.amdhsa_system_sgpr_workgroup_id_x 1
		.amdhsa_system_sgpr_workgroup_id_y 0
		.amdhsa_system_sgpr_workgroup_id_z 0
		.amdhsa_system_sgpr_workgroup_info 0
		.amdhsa_system_vgpr_workitem_id 0
		.amdhsa_next_free_vgpr 35
		.amdhsa_next_free_sgpr 36
		.amdhsa_reserve_vcc 1
		.amdhsa_float_round_mode_32 0
		.amdhsa_float_round_mode_16_64 0
		.amdhsa_float_denorm_mode_32 3
		.amdhsa_float_denorm_mode_16_64 3
		.amdhsa_dx10_clamp 1
		.amdhsa_ieee_mode 1
		.amdhsa_fp16_overflow 0
		.amdhsa_workgroup_processor_mode 1
		.amdhsa_memory_ordered 1
		.amdhsa_forward_progress 0
		.amdhsa_shared_vgpr_count 0
		.amdhsa_exception_fp_ieee_invalid_op 0
		.amdhsa_exception_fp_denorm_src 0
		.amdhsa_exception_fp_ieee_div_zero 0
		.amdhsa_exception_fp_ieee_overflow 0
		.amdhsa_exception_fp_ieee_underflow 0
		.amdhsa_exception_fp_ieee_inexact 0
		.amdhsa_exception_int_div_zero 0
	.end_amdhsa_kernel
	.section	.text._ZN4vllm31rms_norm_per_block_quant_kernelIfaLb0ELb0ELi128EEEvPT0_PfPKT_S6_PKffiiPS4_l,"axG",@progbits,_ZN4vllm31rms_norm_per_block_quant_kernelIfaLb0ELb0ELi128EEEvPT0_PfPKT_S6_PKffiiPS4_l,comdat
.Lfunc_end29:
	.size	_ZN4vllm31rms_norm_per_block_quant_kernelIfaLb0ELb0ELi128EEEvPT0_PfPKT_S6_PKffiiPS4_l, .Lfunc_end29-_ZN4vllm31rms_norm_per_block_quant_kernelIfaLb0ELb0ELi128EEEvPT0_PfPKT_S6_PKffiiPS4_l
                                        ; -- End function
	.section	.AMDGPU.csdata,"",@progbits
; Kernel info:
; codeLenInByte = 6172
; NumSgprs: 38
; NumVgprs: 35
; ScratchSize: 0
; MemoryBound: 0
; FloatMode: 240
; IeeeMode: 1
; LDSByteSize: 4228 bytes/workgroup (compile time only)
; SGPRBlocks: 4
; VGPRBlocks: 4
; NumSGPRsForWavesPerEU: 38
; NumVGPRsForWavesPerEU: 35
; Occupancy: 16
; WaveLimiterHint : 0
; COMPUTE_PGM_RSRC2:SCRATCH_EN: 0
; COMPUTE_PGM_RSRC2:USER_SGPR: 15
; COMPUTE_PGM_RSRC2:TRAP_HANDLER: 0
; COMPUTE_PGM_RSRC2:TGID_X_EN: 1
; COMPUTE_PGM_RSRC2:TGID_Y_EN: 0
; COMPUTE_PGM_RSRC2:TGID_Z_EN: 0
; COMPUTE_PGM_RSRC2:TIDIG_COMP_CNT: 0
	.section	.text._ZN4vllm31rms_norm_per_block_quant_kernelIfN3c1013Float8_e4m3fnELb1ELb1ELi64EEEvPT0_PfPKT_S8_PKffiiPS6_l,"axG",@progbits,_ZN4vllm31rms_norm_per_block_quant_kernelIfN3c1013Float8_e4m3fnELb1ELb1ELi64EEEvPT0_PfPKT_S8_PKffiiPS6_l,comdat
	.protected	_ZN4vllm31rms_norm_per_block_quant_kernelIfN3c1013Float8_e4m3fnELb1ELb1ELi64EEEvPT0_PfPKT_S8_PKffiiPS6_l ; -- Begin function _ZN4vllm31rms_norm_per_block_quant_kernelIfN3c1013Float8_e4m3fnELb1ELb1ELi64EEEvPT0_PfPKT_S8_PKffiiPS6_l
	.globl	_ZN4vllm31rms_norm_per_block_quant_kernelIfN3c1013Float8_e4m3fnELb1ELb1ELi64EEEvPT0_PfPKT_S8_PKffiiPS6_l
	.p2align	8
	.type	_ZN4vllm31rms_norm_per_block_quant_kernelIfN3c1013Float8_e4m3fnELb1ELb1ELi64EEEvPT0_PfPKT_S8_PKffiiPS6_l,@function
_ZN4vllm31rms_norm_per_block_quant_kernelIfN3c1013Float8_e4m3fnELb1ELb1ELi64EEEvPT0_PfPKT_S8_PKffiiPS6_l: ; @_ZN4vllm31rms_norm_per_block_quant_kernelIfN3c1013Float8_e4m3fnELb1ELb1ELi64EEEvPT0_PfPKT_S8_PKffiiPS6_l
; %bb.0:
	s_mov_b32 s16, s15
	s_clause 0x3
	s_load_b128 s[12:15], s[0:1], 0x28
	s_load_b256 s[4:11], s[0:1], 0x0
	s_load_b64 s[2:3], s[0:1], 0x38
	s_load_b32 s34, s[0:1], 0x48
	v_mov_b32_e32 v6, 0
	s_waitcnt lgkmcnt(0)
	s_ashr_i32 s15, s14, 31
	s_mul_hi_u32 s17, s14, s16
	s_mul_i32 s15, s15, s16
	s_ashr_i32 s19, s13, 31
	s_mul_i32 s20, s14, s16
	s_add_i32 s21, s17, s15
	s_mul_hi_u32 s18, s13, s16
	s_mul_i32 s15, s19, s16
	s_lshl_b64 s[20:21], s[20:21], 2
	s_mul_i32 s14, s13, s16
	s_add_i32 s15, s18, s15
	s_add_u32 s28, s8, s20
	s_addc_u32 s29, s9, s21
	s_lshl_b64 s[8:9], s[14:15], 2
	s_mov_b32 s17, 0
	s_add_u32 s30, s2, s8
	s_addc_u32 s31, s3, s9
	s_ashr_i32 s8, s13, 2
	s_add_u32 s20, s0, 0x48
	v_cmp_gt_u32_e64 s2, s8, v0
	s_mov_b32 s18, s13
	s_addc_u32 s21, s1, 0
	s_delay_alu instid0(VALU_DEP_1)
	s_and_saveexec_b32 s3, s2
	s_cbranch_execz .LBB30_10
; %bb.1:
	s_cmp_lt_u32 s16, s34
	v_mov_b32_e32 v2, 0
	s_cselect_b32 s9, 12, 18
                                        ; implicit-def: $sgpr13
	v_mov_b32_e32 v1, v0
	s_add_u32 s22, s20, s9
	s_addc_u32 s23, s21, 0
	s_mov_b32 s9, s17
	global_load_u16 v7, v2, s[22:23]
	s_waitcnt vmcnt(0)
	v_lshlrev_b32_e32 v9, 1, v7
	v_mul_lo_u32 v8, v7, 3
	v_add_nc_u32_e32 v10, v7, v7
	v_mov_b32_e32 v6, v2
	s_branch .LBB30_5
.LBB30_2:                               ;   in Loop: Header=BB30_5 Depth=1
	s_or_b32 exec_lo, exec_lo, s24
	s_delay_alu instid0(SALU_CYCLE_1)
	s_or_not1_b32 s24, s25, exec_lo
.LBB30_3:                               ;   in Loop: Header=BB30_5 Depth=1
	s_or_b32 exec_lo, exec_lo, s23
	s_delay_alu instid0(SALU_CYCLE_1) | instskip(SKIP_1) | instid1(SALU_CYCLE_1)
	s_and_not1_b32 s13, s13, exec_lo
	s_and_b32 s23, s24, exec_lo
	s_or_b32 s13, s13, s23
.LBB30_4:                               ;   in Loop: Header=BB30_5 Depth=1
	s_or_b32 exec_lo, exec_lo, s22
	s_delay_alu instid0(SALU_CYCLE_1) | instskip(NEXT) | instid1(SALU_CYCLE_1)
	s_and_b32 s22, exec_lo, s13
	s_or_b32 s9, s22, s9
	s_delay_alu instid0(SALU_CYCLE_1)
	s_and_not1_b32 exec_lo, exec_lo, s9
	s_cbranch_execz .LBB30_9
.LBB30_5:                               ; =>This Inner Loop Header: Depth=1
	v_lshlrev_b64 v[3:4], 4, v[1:2]
	s_or_b32 s13, s13, exec_lo
	s_mov_b32 s22, exec_lo
	s_delay_alu instid0(VALU_DEP_1) | instskip(NEXT) | instid1(VALU_DEP_2)
	v_add_co_u32 v11, vcc_lo, s28, v3
	v_add_co_ci_u32_e32 v12, vcc_lo, s29, v4, vcc_lo
	v_add_co_u32 v3, vcc_lo, s30, v3
	v_add_co_ci_u32_e32 v4, vcc_lo, s31, v4, vcc_lo
	global_load_b128 v[11:14], v[11:12], off
	global_load_b128 v[15:18], v[3:4], off
	s_waitcnt vmcnt(0)
	v_dual_add_f32 v3, v11, v15 :: v_dual_add_f32 v4, v12, v16
	s_delay_alu instid0(VALU_DEP_1) | instskip(NEXT) | instid1(VALU_DEP_1)
	v_dual_fmac_f32 v6, v3, v3 :: v_dual_add_f32 v3, v13, v17
	v_fmac_f32_e32 v6, v4, v4
	v_add_f32_e32 v4, v14, v18
	s_delay_alu instid0(VALU_DEP_2) | instskip(NEXT) | instid1(VALU_DEP_1)
	v_fmac_f32_e32 v6, v3, v3
	v_dual_fmac_f32 v6, v4, v4 :: v_dual_add_nc_u32 v3, v1, v7
	s_delay_alu instid0(VALU_DEP_1)
	v_cmpx_gt_u32_e64 s8, v3
	s_cbranch_execz .LBB30_4
; %bb.6:                                ;   in Loop: Header=BB30_5 Depth=1
	v_mov_b32_e32 v4, v2
	s_mov_b32 s24, -1
	s_mov_b32 s23, exec_lo
	s_delay_alu instid0(VALU_DEP_1) | instskip(NEXT) | instid1(VALU_DEP_1)
	v_lshlrev_b64 v[4:5], 4, v[3:4]
	v_add_co_u32 v11, vcc_lo, s28, v4
	s_delay_alu instid0(VALU_DEP_2)
	v_add_co_ci_u32_e32 v12, vcc_lo, s29, v5, vcc_lo
	v_add_co_u32 v4, vcc_lo, s30, v4
	v_add_co_ci_u32_e32 v5, vcc_lo, s31, v5, vcc_lo
	global_load_b128 v[11:14], v[11:12], off
	global_load_b128 v[15:18], v[4:5], off
	s_waitcnt vmcnt(0)
	v_dual_add_f32 v5, v12, v16 :: v_dual_add_f32 v4, v11, v15
	s_delay_alu instid0(VALU_DEP_1) | instskip(SKIP_1) | instid1(VALU_DEP_2)
	v_fmac_f32_e32 v6, v4, v4
	v_add_f32_e32 v4, v13, v17
	v_dual_fmac_f32 v6, v5, v5 :: v_dual_add_f32 v5, v14, v18
	s_delay_alu instid0(VALU_DEP_1) | instskip(SKIP_1) | instid1(VALU_DEP_2)
	v_fmac_f32_e32 v6, v4, v4
	v_add_nc_u32_e32 v4, v9, v1
	v_fmac_f32_e32 v6, v5, v5
	s_delay_alu instid0(VALU_DEP_2)
	v_cmpx_gt_u32_e64 s8, v4
	s_cbranch_execz .LBB30_3
; %bb.7:                                ;   in Loop: Header=BB30_5 Depth=1
	v_mov_b32_e32 v5, v2
	v_add_nc_u32_e32 v1, v8, v1
	s_mov_b32 s25, -1
	s_mov_b32 s24, exec_lo
	s_delay_alu instid0(VALU_DEP_2) | instskip(NEXT) | instid1(VALU_DEP_1)
	v_lshlrev_b64 v[4:5], 4, v[4:5]
	v_add_co_u32 v11, vcc_lo, s28, v4
	s_delay_alu instid0(VALU_DEP_2)
	v_add_co_ci_u32_e32 v12, vcc_lo, s29, v5, vcc_lo
	v_add_co_u32 v4, vcc_lo, s30, v4
	v_add_co_ci_u32_e32 v5, vcc_lo, s31, v5, vcc_lo
	global_load_b128 v[11:14], v[11:12], off
	global_load_b128 v[15:18], v[4:5], off
	s_waitcnt vmcnt(0)
	v_dual_add_f32 v4, v11, v15 :: v_dual_add_f32 v5, v12, v16
	s_delay_alu instid0(VALU_DEP_1) | instskip(SKIP_1) | instid1(VALU_DEP_2)
	v_fmac_f32_e32 v6, v4, v4
	v_add_f32_e32 v4, v13, v17
	v_dual_fmac_f32 v6, v5, v5 :: v_dual_add_f32 v5, v14, v18
	s_delay_alu instid0(VALU_DEP_1) | instskip(NEXT) | instid1(VALU_DEP_1)
	v_fmac_f32_e32 v6, v4, v4
	v_fmac_f32_e32 v6, v5, v5
	v_cmpx_gt_u32_e64 s8, v1
	s_xor_b32 s24, exec_lo, s24
	s_cbranch_execz .LBB30_2
; %bb.8:                                ;   in Loop: Header=BB30_5 Depth=1
	v_lshlrev_b64 v[4:5], 4, v[1:2]
	s_delay_alu instid0(VALU_DEP_1) | instskip(NEXT) | instid1(VALU_DEP_2)
	v_add_co_u32 v11, vcc_lo, s28, v4
	v_add_co_ci_u32_e32 v12, vcc_lo, s29, v5, vcc_lo
	v_add_co_u32 v4, vcc_lo, s30, v4
	v_add_co_ci_u32_e32 v5, vcc_lo, s31, v5, vcc_lo
	global_load_b128 v[11:14], v[11:12], off
	global_load_b128 v[15:18], v[4:5], off
	s_waitcnt vmcnt(0)
	v_dual_add_f32 v1, v11, v15 :: v_dual_add_f32 v4, v12, v16
	s_delay_alu instid0(VALU_DEP_1) | instskip(SKIP_2) | instid1(VALU_DEP_3)
	v_fmac_f32_e32 v6, v1, v1
	v_add3_u32 v1, v10, v7, v3
	v_add_f32_e32 v3, v14, v18
	v_dual_add_f32 v5, v13, v17 :: v_dual_fmac_f32 v6, v4, v4
	s_delay_alu instid0(VALU_DEP_3) | instskip(NEXT) | instid1(VALU_DEP_2)
	v_cmp_le_u32_e32 vcc_lo, s8, v1
	v_fmac_f32_e32 v6, v5, v5
	s_or_not1_b32 s25, vcc_lo, exec_lo
	s_delay_alu instid0(VALU_DEP_1)
	v_fmac_f32_e32 v6, v3, v3
	s_branch .LBB30_2
.LBB30_9:
	s_or_b32 exec_lo, exec_lo, s9
.LBB30_10:
	s_delay_alu instid0(SALU_CYCLE_1) | instskip(SKIP_4) | instid1(VALU_DEP_2)
	s_or_b32 exec_lo, exec_lo, s3
	v_mbcnt_lo_u32_b32 v1, -1, 0
	s_load_b32 s3, s[20:21], 0xc
	v_and_b32_e32 v7, 0x3e0, v0
	s_mov_b32 s9, exec_lo
	v_cmp_ne_u32_e32 vcc_lo, 31, v1
	v_add_nc_u32_e32 v3, 1, v1
	v_add_co_ci_u32_e32 v2, vcc_lo, 0, v1, vcc_lo
	v_cmp_gt_u32_e32 vcc_lo, 30, v1
	s_delay_alu instid0(VALU_DEP_2)
	v_lshlrev_b32_e32 v2, 2, v2
	v_cndmask_b32_e64 v5, 0, 1, vcc_lo
	ds_bpermute_b32 v4, v2, v6
	s_waitcnt lgkmcnt(0)
	s_and_b32 s3, s3, 0xffff
	v_lshlrev_b32_e32 v5, 1, v5
	v_sub_nc_u32_e64 v12, s3, v7 clamp
	s_delay_alu instid0(VALU_DEP_1) | instskip(SKIP_1) | instid1(VALU_DEP_4)
	v_cmp_lt_u32_e32 vcc_lo, v3, v12
	v_add_f32_e32 v7, v6, v4
	v_add_lshl_u32 v4, v5, v1, 2
	s_delay_alu instid0(VALU_DEP_2) | instskip(SKIP_2) | instid1(VALU_DEP_1)
	v_cndmask_b32_e32 v7, v6, v7, vcc_lo
	v_cmp_gt_u32_e32 vcc_lo, 28, v1
	v_cndmask_b32_e64 v5, 0, 1, vcc_lo
	v_lshlrev_b32_e32 v8, 2, v5
	ds_bpermute_b32 v6, v4, v7
	v_add_nc_u32_e32 v5, 2, v1
	s_delay_alu instid0(VALU_DEP_1) | instskip(SKIP_3) | instid1(VALU_DEP_2)
	v_cmp_lt_u32_e32 vcc_lo, v5, v12
	s_waitcnt lgkmcnt(0)
	v_add_f32_e32 v9, v7, v6
	v_add_lshl_u32 v6, v8, v1, 2
	v_cndmask_b32_e32 v9, v7, v9, vcc_lo
	v_cmp_gt_u32_e32 vcc_lo, 24, v1
	ds_bpermute_b32 v8, v6, v9
	v_cndmask_b32_e64 v7, 0, 1, vcc_lo
	s_delay_alu instid0(VALU_DEP_1) | instskip(SKIP_1) | instid1(VALU_DEP_1)
	v_lshlrev_b32_e32 v10, 3, v7
	v_add_nc_u32_e32 v7, 4, v1
	v_cmp_lt_u32_e32 vcc_lo, v7, v12
	s_waitcnt lgkmcnt(0)
	v_add_f32_e32 v11, v9, v8
	v_add_lshl_u32 v8, v10, v1, 2
	s_delay_alu instid0(VALU_DEP_2) | instskip(SKIP_3) | instid1(VALU_DEP_1)
	v_cndmask_b32_e32 v11, v9, v11, vcc_lo
	v_cmp_gt_u32_e32 vcc_lo, 16, v1
	ds_bpermute_b32 v10, v8, v11
	v_cndmask_b32_e64 v9, 0, 1, vcc_lo
	v_lshlrev_b32_e32 v13, 4, v9
	v_add_nc_u32_e32 v9, 8, v1
	s_delay_alu instid0(VALU_DEP_1) | instskip(SKIP_3) | instid1(VALU_DEP_2)
	v_cmp_lt_u32_e32 vcc_lo, v9, v12
	s_waitcnt lgkmcnt(0)
	v_add_f32_e32 v14, v11, v10
	v_add_lshl_u32 v10, v13, v1, 2
	v_cndmask_b32_e32 v13, v11, v14, vcc_lo
	v_add_nc_u32_e32 v11, 16, v1
	ds_bpermute_b32 v14, v10, v13
	v_cmp_lt_u32_e32 vcc_lo, v11, v12
	s_waitcnt lgkmcnt(0)
	v_add_f32_e32 v14, v13, v14
	s_delay_alu instid0(VALU_DEP_1)
	v_cndmask_b32_e32 v12, v13, v14, vcc_lo
	v_cmpx_eq_u32_e32 0, v1
	s_cbranch_execz .LBB30_12
; %bb.11:
	v_lshrrev_b32_e32 v13, 3, v0
	s_delay_alu instid0(VALU_DEP_1)
	v_and_b32_e32 v13, 0x7c, v13
	ds_store_b32 v13, v12 offset:4096
.LBB30_12:
	s_or_b32 exec_lo, exec_lo, s9
	s_delay_alu instid0(SALU_CYCLE_1)
	s_mov_b32 s9, exec_lo
	s_waitcnt lgkmcnt(0)
	s_barrier
	buffer_gl0_inv
	v_cmpx_gt_u32_e32 32, v0
	s_cbranch_execz .LBB30_14
; %bb.13:
	v_lshlrev_b32_e32 v1, 2, v1
	s_add_i32 s3, s3, 31
	s_delay_alu instid0(SALU_CYCLE_1) | instskip(NEXT) | instid1(SALU_CYCLE_1)
	s_lshr_b32 s3, s3, 5
	v_cmp_gt_u32_e32 vcc_lo, s3, v3
	ds_load_b32 v1, v1 offset:4096
	s_waitcnt lgkmcnt(0)
	ds_bpermute_b32 v2, v2, v1
	s_waitcnt lgkmcnt(0)
	v_add_f32_e32 v2, v1, v2
	s_delay_alu instid0(VALU_DEP_1) | instskip(SKIP_4) | instid1(VALU_DEP_1)
	v_cndmask_b32_e32 v1, v1, v2, vcc_lo
	v_cmp_gt_u32_e32 vcc_lo, s3, v5
	ds_bpermute_b32 v2, v4, v1
	s_waitcnt lgkmcnt(0)
	v_add_f32_e32 v2, v1, v2
	v_cndmask_b32_e32 v1, v1, v2, vcc_lo
	v_cmp_gt_u32_e32 vcc_lo, s3, v7
	ds_bpermute_b32 v2, v6, v1
	s_waitcnt lgkmcnt(0)
	v_add_f32_e32 v2, v1, v2
	s_delay_alu instid0(VALU_DEP_1) | instskip(SKIP_4) | instid1(VALU_DEP_1)
	v_cndmask_b32_e32 v1, v1, v2, vcc_lo
	v_cmp_gt_u32_e32 vcc_lo, s3, v9
	ds_bpermute_b32 v2, v8, v1
	s_waitcnt lgkmcnt(0)
	v_add_f32_e32 v2, v1, v2
	v_cndmask_b32_e32 v1, v1, v2, vcc_lo
	v_cmp_gt_u32_e32 vcc_lo, s3, v11
	ds_bpermute_b32 v2, v10, v1
	s_waitcnt lgkmcnt(0)
	v_add_f32_e32 v2, v1, v2
	s_delay_alu instid0(VALU_DEP_1)
	v_cndmask_b32_e32 v12, v1, v2, vcc_lo
.LBB30_14:
	s_or_b32 exec_lo, exec_lo, s9
	s_delay_alu instid0(SALU_CYCLE_1)
	s_mov_b32 s3, exec_lo
	v_cmpx_eq_u32_e32 0, v0
	s_cbranch_execz .LBB30_16
; %bb.15:
	v_cvt_f32_i32_e32 v1, s18
	s_delay_alu instid0(VALU_DEP_1) | instskip(SKIP_1) | instid1(VALU_DEP_2)
	v_div_scale_f32 v2, null, v1, v1, v12
	v_div_scale_f32 v5, vcc_lo, v12, v1, v12
	v_rcp_f32_e32 v3, v2
	s_waitcnt_depctr 0xfff
	v_fma_f32 v4, -v2, v3, 1.0
	s_delay_alu instid0(VALU_DEP_1) | instskip(NEXT) | instid1(VALU_DEP_1)
	v_fmac_f32_e32 v3, v4, v3
	v_mul_f32_e32 v4, v5, v3
	s_delay_alu instid0(VALU_DEP_1) | instskip(NEXT) | instid1(VALU_DEP_1)
	v_fma_f32 v6, -v2, v4, v5
	v_fmac_f32_e32 v4, v6, v3
	s_delay_alu instid0(VALU_DEP_1) | instskip(NEXT) | instid1(VALU_DEP_1)
	v_fma_f32 v2, -v2, v4, v5
	v_div_fmas_f32 v2, v2, v3, v4
	s_delay_alu instid0(VALU_DEP_1) | instskip(NEXT) | instid1(VALU_DEP_1)
	v_div_fixup_f32 v1, v2, v1, v12
	v_add_f32_e32 v1, s12, v1
	s_delay_alu instid0(VALU_DEP_1) | instskip(SKIP_1) | instid1(VALU_DEP_2)
	v_mul_f32_e32 v2, 0x4b800000, v1
	v_cmp_gt_f32_e32 vcc_lo, 0x800000, v1
	v_cndmask_b32_e32 v1, v1, v2, vcc_lo
	s_delay_alu instid0(VALU_DEP_1) | instskip(SKIP_2) | instid1(VALU_DEP_1)
	v_rsq_f32_e32 v1, v1
	s_waitcnt_depctr 0xfff
	v_mul_f32_e32 v2, 0x45800000, v1
	v_dual_cndmask_b32 v1, v1, v2 :: v_dual_mov_b32 v2, 0
	ds_store_b32 v2, v1 offset:4224
.LBB30_16:
	s_or_b32 exec_lo, exec_lo, s3
	s_ashr_i32 s3, s18, 31
	v_mov_b32_e32 v4, 0
	s_lshr_b32 s3, s3, 26
	s_waitcnt lgkmcnt(0)
	s_add_i32 s3, s18, s3
	s_barrier
	s_ashr_i32 s12, s3, 6
	s_cmp_lt_u32 s16, s34
	buffer_gl0_inv
	s_cselect_b32 s9, 12, 18
	ds_load_b32 v28, v4 offset:4224
	s_add_u32 s20, s20, s9
	s_addc_u32 s21, s21, 0
	s_abs_i32 s9, s12
	global_load_u16 v1, v4, s[20:21]
	v_cvt_f32_u32_e32 v2, s9
	s_sub_i32 s20, 0, s9
	s_ashr_i32 s3, s3, 31
	s_delay_alu instid0(VALU_DEP_1) | instskip(SKIP_2) | instid1(VALU_DEP_1)
	v_rcp_iflag_f32_e32 v2, v2
	s_waitcnt_depctr 0xfff
	v_mul_f32_e32 v2, 0x4f7ffffe, v2
	v_cvt_u32_f32_e32 v2, v2
	s_delay_alu instid0(VALU_DEP_1) | instskip(NEXT) | instid1(VALU_DEP_1)
	v_readfirstlane_b32 s13, v2
	s_mul_i32 s20, s20, s13
	s_delay_alu instid0(SALU_CYCLE_1) | instskip(NEXT) | instid1(SALU_CYCLE_1)
	s_mul_hi_u32 s20, s13, s20
	s_add_i32 s13, s13, s20
	s_waitcnt vmcnt(0)
	v_readfirstlane_b32 s33, v1
	s_delay_alu instid0(VALU_DEP_1) | instskip(NEXT) | instid1(SALU_CYCLE_1)
	s_mul_hi_u32 s13, s33, s13
	s_mul_i32 s20, s13, s9
	s_add_i32 s21, s13, 1
	s_sub_i32 s20, s33, s20
	s_delay_alu instid0(SALU_CYCLE_1)
	s_sub_i32 s22, s20, s9
	s_cmp_ge_u32 s20, s9
	s_cselect_b32 s13, s21, s13
	s_cselect_b32 s20, s22, s20
	s_add_i32 s21, s13, 1
	s_cmp_ge_u32 s20, s9
	s_cselect_b32 s9, s21, s13
	s_delay_alu instid0(SALU_CYCLE_1) | instskip(NEXT) | instid1(SALU_CYCLE_1)
	s_xor_b32 s9, s9, s3
	s_sub_i32 s20, s9, s3
	s_delay_alu instid0(SALU_CYCLE_1) | instskip(SKIP_3) | instid1(VALU_DEP_1)
	s_abs_i32 s3, s20
	s_ashr_i32 s21, s20, 31
	v_cvt_f32_u32_e32 v1, s3
	s_sub_i32 s9, 0, s3
	v_rcp_iflag_f32_e32 v1, v1
	s_waitcnt_depctr 0xfff
	v_mul_f32_e32 v1, 0x4f7ffffe, v1
	s_delay_alu instid0(VALU_DEP_1) | instskip(NEXT) | instid1(VALU_DEP_1)
	v_cvt_u32_f32_e32 v1, v1
	v_mul_lo_u32 v2, s9, v1
	s_ashr_i32 s9, s8, 31
	s_delay_alu instid0(VALU_DEP_1) | instskip(NEXT) | instid1(VALU_DEP_1)
	v_mul_hi_u32 v2, v1, v2
	v_add_nc_u32_e32 v1, v1, v2
	s_delay_alu instid0(VALU_DEP_1) | instskip(NEXT) | instid1(VALU_DEP_1)
	v_mul_hi_u32 v1, v0, v1
	v_mul_lo_u32 v2, v1, s3
	v_add_nc_u32_e32 v3, 1, v1
	s_delay_alu instid0(VALU_DEP_2) | instskip(NEXT) | instid1(VALU_DEP_1)
	v_sub_nc_u32_e32 v2, v0, v2
	v_subrev_nc_u32_e32 v5, s3, v2
	v_cmp_le_u32_e32 vcc_lo, s3, v2
	s_delay_alu instid0(VALU_DEP_2) | instskip(NEXT) | instid1(VALU_DEP_1)
	v_dual_cndmask_b32 v2, v2, v5 :: v_dual_cndmask_b32 v1, v1, v3
	v_cmp_le_u32_e32 vcc_lo, s3, v2
	s_delay_alu instid0(VALU_DEP_2) | instskip(NEXT) | instid1(VALU_DEP_1)
	v_add_nc_u32_e32 v3, 1, v1
	v_cndmask_b32_e32 v1, v1, v3, vcc_lo
	s_delay_alu instid0(VALU_DEP_1) | instskip(NEXT) | instid1(VALU_DEP_1)
	v_xor_b32_e32 v1, s21, v1
	v_subrev_nc_u32_e32 v1, s21, v1
	s_delay_alu instid0(VALU_DEP_1) | instskip(SKIP_1) | instid1(VALU_DEP_2)
	v_ashrrev_i32_e32 v2, 31, v1
	v_mul_lo_u32 v3, v1, s20
	v_lshlrev_b64 v[7:8], 4, v[1:2]
	s_delay_alu instid0(VALU_DEP_2) | instskip(NEXT) | instid1(VALU_DEP_2)
	v_sub_nc_u32_e32 v3, v0, v3
	v_add_co_u32 v5, vcc_lo, v7, 16
	s_delay_alu instid0(VALU_DEP_3) | instskip(NEXT) | instid1(VALU_DEP_1)
	v_add_co_ci_u32_e32 v6, vcc_lo, 0, v8, vcc_lo
	v_cmp_gt_i64_e32 vcc_lo, s[8:9], v[5:6]
	v_cndmask_b32_e32 v6, s9, v6, vcc_lo
	v_cndmask_b32_e32 v5, s8, v5, vcc_lo
	v_add_co_u32 v7, vcc_lo, v7, v3
	v_add_co_ci_u32_e32 v8, vcc_lo, 0, v8, vcc_lo
	s_delay_alu instid0(VALU_DEP_3) | instskip(SKIP_2) | instid1(VALU_DEP_1)
	v_ashrrev_i32_e32 v10, 31, v5
	v_mov_b32_e32 v9, v5
	s_mov_b32 s9, exec_lo
	v_cmpx_lt_i64_e64 v[7:8], v[9:10]
	s_cbranch_execz .LBB30_26
; %bb.17:
	v_lshlrev_b64 v[11:12], 8, v[1:2]
	v_lshlrev_b64 v[13:14], 4, v[3:4]
	v_mov_b32_e32 v4, 0
	s_lshl_b64 s[22:23], s[20:21], 6
	s_mul_hi_i32 s13, s20, 3
	s_mul_i32 s35, s20, 3
	s_lshl_b64 s[24:25], s[20:21], 1
	v_add_co_u32 v21, vcc_lo, v11, v13
	v_add_co_ci_u32_e32 v22, vcc_lo, v12, v14, vcc_lo
	v_dual_mov_b32 v12, v8 :: v_dual_mov_b32 v11, v7
	s_lshl_b64 s[26:27], s[20:21], 4
	s_mov_b32 s36, 0
                                        ; implicit-def: $sgpr37
	s_branch .LBB30_21
.LBB30_18:                              ;   in Loop: Header=BB30_21 Depth=1
	s_or_b32 exec_lo, exec_lo, s40
	s_delay_alu instid0(SALU_CYCLE_1)
	s_or_not1_b32 s3, s3, exec_lo
.LBB30_19:                              ;   in Loop: Header=BB30_21 Depth=1
	s_or_b32 exec_lo, exec_lo, s39
	s_delay_alu instid0(SALU_CYCLE_1) | instskip(SKIP_1) | instid1(SALU_CYCLE_1)
	s_and_not1_b32 s37, s37, exec_lo
	s_and_b32 s3, s3, exec_lo
	s_or_b32 s37, s37, s3
.LBB30_20:                              ;   in Loop: Header=BB30_21 Depth=1
	s_or_b32 exec_lo, exec_lo, s38
	s_delay_alu instid0(SALU_CYCLE_1) | instskip(NEXT) | instid1(SALU_CYCLE_1)
	s_and_b32 s3, exec_lo, s37
	s_or_b32 s36, s3, s36
	s_delay_alu instid0(SALU_CYCLE_1)
	s_and_not1_b32 exec_lo, exec_lo, s36
	s_cbranch_execz .LBB30_25
.LBB30_21:                              ; =>This Inner Loop Header: Depth=1
	v_add_co_u32 v15, vcc_lo, s28, v21
	v_add_co_ci_u32_e32 v16, vcc_lo, s29, v22, vcc_lo
	v_add_co_u32 v19, vcc_lo, s30, v21
	v_add_co_ci_u32_e32 v20, vcc_lo, s31, v22, vcc_lo
	v_add_co_u32 v17, vcc_lo, s10, v21
	global_load_b128 v[23:26], v[15:16], off
	global_load_b128 v[29:32], v[19:20], off
	v_add_co_ci_u32_e32 v18, vcc_lo, s11, v22, vcc_lo
	s_or_b32 s37, s37, exec_lo
	s_mov_b32 s38, exec_lo
	global_load_b128 v[33:36], v[17:18], off
	s_waitcnt vmcnt(1)
	v_dual_add_f32 v13, v23, v29 :: v_dual_add_f32 v14, v24, v30
	v_dual_add_f32 v23, v25, v31 :: v_dual_add_f32 v24, v26, v32
	s_waitcnt lgkmcnt(0)
	s_delay_alu instid0(VALU_DEP_2) | instskip(NEXT) | instid1(VALU_DEP_3)
	v_mul_f32_e32 v14, v28, v14
	v_mul_f32_e32 v13, v28, v13
	s_delay_alu instid0(VALU_DEP_3) | instskip(SKIP_2) | instid1(VALU_DEP_3)
	v_mul_f32_e32 v23, v28, v23
	v_mul_f32_e32 v24, v28, v24
	s_waitcnt vmcnt(0)
	v_dual_mul_f32 v26, v34, v14 :: v_dual_mul_f32 v25, v33, v13
	s_delay_alu instid0(VALU_DEP_2) | instskip(SKIP_1) | instid1(VALU_DEP_3)
	v_dual_mul_f32 v23, v35, v23 :: v_dual_mul_f32 v24, v36, v24
	v_add_co_u32 v13, vcc_lo, v11, s20
	v_max3_f32 v4, v4, |v25|, |v26|
	v_add_co_ci_u32_e32 v14, vcc_lo, s21, v12, vcc_lo
	s_delay_alu instid0(VALU_DEP_2) | instskip(NEXT) | instid1(VALU_DEP_2)
	v_max3_f32 v4, v4, |v23|, |v24|
	v_cmpx_lt_i64_e64 v[13:14], v[9:10]
	s_cbranch_execz .LBB30_20
; %bb.22:                               ;   in Loop: Header=BB30_21 Depth=1
	v_add_co_u32 v15, vcc_lo, v15, s26
	v_add_co_ci_u32_e32 v16, vcc_lo, s27, v16, vcc_lo
	v_add_co_u32 v19, vcc_lo, v19, s26
	v_add_co_ci_u32_e32 v20, vcc_lo, s27, v20, vcc_lo
	v_add_co_u32 v17, vcc_lo, v17, s26
	global_load_b128 v[23:26], v[15:16], off
	global_load_b128 v[29:32], v[19:20], off
	v_add_co_ci_u32_e32 v18, vcc_lo, s27, v18, vcc_lo
	s_mov_b32 s3, -1
	s_mov_b32 s39, exec_lo
	global_load_b128 v[33:36], v[17:18], off
	s_waitcnt vmcnt(1)
	v_dual_add_f32 v23, v23, v29 :: v_dual_add_f32 v24, v24, v30
	v_dual_add_f32 v25, v25, v31 :: v_dual_add_f32 v26, v26, v32
	s_delay_alu instid0(VALU_DEP_2) | instskip(NEXT) | instid1(VALU_DEP_3)
	v_mul_f32_e32 v23, v28, v23
	v_mul_f32_e32 v24, v28, v24
	s_delay_alu instid0(VALU_DEP_3) | instskip(SKIP_1) | instid1(VALU_DEP_3)
	v_mul_f32_e32 v25, v28, v25
	s_waitcnt vmcnt(0)
	v_dual_mul_f32 v27, v33, v23 :: v_dual_mul_f32 v26, v28, v26
	s_delay_alu instid0(VALU_DEP_3) | instskip(NEXT) | instid1(VALU_DEP_3)
	v_mul_f32_e32 v29, v34, v24
	v_mul_f32_e32 v25, v35, v25
	v_add_co_u32 v23, vcc_lo, s24, v11
	s_delay_alu instid0(VALU_DEP_4) | instskip(NEXT) | instid1(VALU_DEP_4)
	v_mul_f32_e32 v26, v36, v26
	v_max3_f32 v4, v4, |v27|, |v29|
	v_add_co_ci_u32_e32 v24, vcc_lo, s25, v12, vcc_lo
	s_delay_alu instid0(VALU_DEP_2) | instskip(NEXT) | instid1(VALU_DEP_2)
	v_max3_f32 v4, v4, |v25|, |v26|
	v_cmpx_lt_i64_e64 v[23:24], v[9:10]
	s_cbranch_execz .LBB30_19
; %bb.23:                               ;   in Loop: Header=BB30_21 Depth=1
	v_add_co_u32 v15, vcc_lo, v15, s26
	v_add_co_ci_u32_e32 v16, vcc_lo, s27, v16, vcc_lo
	v_add_co_u32 v19, vcc_lo, v19, s26
	v_add_co_ci_u32_e32 v20, vcc_lo, s27, v20, vcc_lo
	v_add_co_u32 v17, vcc_lo, v17, s26
	global_load_b128 v[23:26], v[15:16], off
	global_load_b128 v[29:32], v[19:20], off
	v_add_co_ci_u32_e32 v18, vcc_lo, s27, v18, vcc_lo
	v_add_co_u32 v11, vcc_lo, s35, v11
	v_add_co_ci_u32_e32 v12, vcc_lo, s13, v12, vcc_lo
	global_load_b128 v[33:36], v[17:18], off
	v_cmp_lt_i64_e32 vcc_lo, v[11:12], v[9:10]
                                        ; implicit-def: $vgpr11_vgpr12
	s_waitcnt vmcnt(1)
	v_dual_add_f32 v23, v23, v29 :: v_dual_add_f32 v24, v24, v30
	v_dual_add_f32 v25, v25, v31 :: v_dual_add_f32 v26, v26, v32
	s_delay_alu instid0(VALU_DEP_2) | instskip(NEXT) | instid1(VALU_DEP_3)
	v_mul_f32_e32 v24, v28, v24
	v_mul_f32_e32 v23, v28, v23
	s_delay_alu instid0(VALU_DEP_3) | instskip(NEXT) | instid1(VALU_DEP_4)
	v_mul_f32_e32 v25, v28, v25
	v_mul_f32_e32 v26, v28, v26
	s_waitcnt vmcnt(0)
	s_delay_alu instid0(VALU_DEP_3) | instskip(NEXT) | instid1(VALU_DEP_3)
	v_dual_mul_f32 v24, v34, v24 :: v_dual_mul_f32 v23, v33, v23
	v_mul_f32_e32 v25, v35, v25
	s_delay_alu instid0(VALU_DEP_2) | instskip(SKIP_1) | instid1(VALU_DEP_1)
	v_max3_f32 v4, v4, |v23|, |v24|
	v_mul_f32_e32 v23, v36, v26
	v_max3_f32 v4, v4, |v25|, |v23|
	s_and_saveexec_b32 s40, vcc_lo
	s_delay_alu instid0(SALU_CYCLE_1)
	s_xor_b32 s40, exec_lo, s40
	s_cbranch_execz .LBB30_18
; %bb.24:                               ;   in Loop: Header=BB30_21 Depth=1
	v_add_co_u32 v11, vcc_lo, v15, s26
	v_add_co_ci_u32_e32 v12, vcc_lo, s27, v16, vcc_lo
	v_add_co_u32 v15, vcc_lo, v19, s26
	v_add_co_ci_u32_e32 v16, vcc_lo, s27, v20, vcc_lo
	s_add_u32 s3, s20, s20
	global_load_b128 v[23:26], v[11:12], off
	global_load_b128 v[29:32], v[15:16], off
	v_add_co_u32 v11, vcc_lo, v17, s26
	v_add_co_ci_u32_e32 v12, vcc_lo, s27, v18, vcc_lo
	s_addc_u32 s41, s21, s21
	s_add_u32 s3, s3, s20
	s_addc_u32 s41, s41, s21
	global_load_b128 v[15:18], v[11:12], off
	s_waitcnt vmcnt(1)
	v_dual_add_f32 v11, v23, v29 :: v_dual_add_f32 v12, v24, v30
	v_dual_add_f32 v19, v25, v31 :: v_dual_add_f32 v20, v26, v32
	s_delay_alu instid0(VALU_DEP_1) | instskip(NEXT) | instid1(VALU_DEP_2)
	v_mul_f32_e32 v19, v28, v19
	v_mul_f32_e32 v20, v28, v20
	s_delay_alu instid0(VALU_DEP_4) | instskip(SKIP_1) | instid1(VALU_DEP_1)
	v_mul_f32_e32 v11, v28, v11
	s_waitcnt vmcnt(0)
	v_dual_mul_f32 v12, v28, v12 :: v_dual_mul_f32 v15, v15, v11
	s_delay_alu instid0(VALU_DEP_1) | instskip(SKIP_3) | instid1(VALU_DEP_4)
	v_mul_f32_e32 v16, v16, v12
	v_add_co_u32 v11, vcc_lo, s3, v13
	v_add_co_ci_u32_e32 v12, vcc_lo, s41, v14, vcc_lo
	v_dual_mul_f32 v13, v17, v19 :: v_dual_mul_f32 v14, v18, v20
	v_max3_f32 v4, v4, |v15|, |v16|
	s_delay_alu instid0(VALU_DEP_3) | instskip(SKIP_1) | instid1(VALU_DEP_1)
	v_cmp_ge_i64_e32 vcc_lo, v[11:12], v[9:10]
	v_add_co_u32 v21, s3, v21, s22
	v_add_co_ci_u32_e64 v22, s3, s23, v22, s3
	s_delay_alu instid0(VALU_DEP_4)
	v_max3_f32 v4, v4, |v13|, |v14|
	s_or_not1_b32 s3, vcc_lo, exec_lo
	s_branch .LBB30_18
.LBB30_25:
	s_or_b32 exec_lo, exec_lo, s36
.LBB30_26:
	s_delay_alu instid0(SALU_CYCLE_1)
	s_or_b32 exec_lo, exec_lo, s9
	s_lshr_b32 s9, s33, 5
	v_lshlrev_b32_e32 v29, 2, v0
	v_cvt_f32_u32_e32 v9, s9
	s_sub_i32 s13, 0, s9
	s_add_i32 s22, s12, s9
	s_delay_alu instid0(SALU_CYCLE_1) | instskip(NEXT) | instid1(VALU_DEP_1)
	s_add_i32 s22, s22, -1
	v_rcp_iflag_f32_e32 v9, v9
	s_abs_i32 s23, s22
	s_ashr_i32 s22, s22, 31
	ds_store_b32 v29, v4
	s_waitcnt lgkmcnt(0)
	s_barrier
	buffer_gl0_inv
	v_mul_f32_e32 v9, 0x4f7ffffe, v9
	s_delay_alu instid0(VALU_DEP_1) | instskip(NEXT) | instid1(VALU_DEP_1)
	v_cvt_u32_f32_e32 v9, v9
	v_readfirstlane_b32 s3, v9
	s_delay_alu instid0(VALU_DEP_1) | instskip(NEXT) | instid1(SALU_CYCLE_1)
	s_mul_i32 s13, s13, s3
	s_mul_hi_u32 s13, s3, s13
	s_delay_alu instid0(SALU_CYCLE_1) | instskip(NEXT) | instid1(SALU_CYCLE_1)
	s_add_i32 s3, s3, s13
	s_mul_hi_u32 s3, s23, s3
	s_delay_alu instid0(SALU_CYCLE_1) | instskip(NEXT) | instid1(SALU_CYCLE_1)
	s_mul_i32 s13, s3, s9
	s_sub_i32 s13, s23, s13
	s_add_i32 s23, s3, 1
	s_sub_i32 s24, s13, s9
	s_cmp_ge_u32 s13, s9
	s_cselect_b32 s3, s23, s3
	s_cselect_b32 s13, s24, s13
	s_add_i32 s23, s3, 1
	s_cmp_ge_u32 s13, s9
	s_cselect_b32 s3, s23, s3
	s_delay_alu instid0(SALU_CYCLE_1) | instskip(NEXT) | instid1(SALU_CYCLE_1)
	s_xor_b32 s3, s3, s22
	s_sub_i32 s22, s3, s22
	s_delay_alu instid0(SALU_CYCLE_1) | instskip(NEXT) | instid1(SALU_CYCLE_1)
	s_ashr_i32 s23, s22, 31
	v_cmp_lt_i64_e64 s3, s[22:23], 1
	s_delay_alu instid0(VALU_DEP_1)
	s_and_b32 vcc_lo, exec_lo, s3
	s_cbranch_vccnz .LBB30_46
; %bb.27:
	v_lshrrev_b32_e32 v9, 5, v0
	v_and_b32_e32 v4, 31, v0
	s_ashr_i32 s13, s12, 31
	s_mov_b64 s[24:25], 0
	s_mov_b64 s[26:27], src_shared_base
	v_mul_lo_u32 v19, s20, v9
	v_add_co_u32 v11, s3, v4, 16
	s_delay_alu instid0(VALU_DEP_1) | instskip(SKIP_1) | instid1(VALU_DEP_1)
	v_add_co_ci_u32_e64 v12, null, 0, 0, s3
	v_add_co_u32 v13, s3, v4, 8
	v_add_co_ci_u32_e64 v14, null, 0, 0, s3
	v_add_co_u32 v15, s3, v4, 4
	v_dual_mov_b32 v10, 0 :: v_dual_lshlrev_b32 v21, 2, v19
	v_lshlrev_b32_e32 v22, 2, v4
	v_add_co_ci_u32_e64 v16, null, 0, 0, s3
	v_add_co_u32 v17, s3, v4, 2
	s_delay_alu instid0(VALU_DEP_1) | instskip(SKIP_1) | instid1(VALU_DEP_1)
	v_add_co_ci_u32_e64 v18, null, 0, 0, s3
	v_add_co_u32 v19, s3, v4, 1
	v_add_co_ci_u32_e64 v20, null, 0, 0, s3
	v_add3_u32 v30, v21, v22, 0x80
	s_mul_i32 s3, s20, s9
	s_delay_alu instid0(SALU_CYCLE_1)
	s_lshl_b32 s35, s3, 2
	s_branch .LBB30_30
.LBB30_28:                              ;   in Loop: Header=BB30_30 Depth=1
	s_or_b32 exec_lo, exec_lo, s3
	v_mov_b32_e32 v22, s27
	flat_load_b32 v21, v[21:22] glc dlc
	s_waitcnt vmcnt(0)
.LBB30_29:                              ;   in Loop: Header=BB30_30 Depth=1
	s_or_b32 exec_lo, exec_lo, s26
	s_add_u32 s24, s24, 1
	v_add_nc_u32_e32 v30, s35, v30
	s_addc_u32 s25, s25, 0
	s_delay_alu instid0(SALU_CYCLE_1)
	s_cmp_eq_u64 s[24:25], s[22:23]
	s_cbranch_scc1 .LBB30_46
.LBB30_30:                              ; =>This Loop Header: Depth=1
                                        ;     Child Loop BB30_33 Depth 2
	s_waitcnt lgkmcnt(0)
	v_mad_u64_u32 v[21:22], null, s24, s9, v[9:10]
	s_mov_b32 s26, exec_lo
	s_delay_alu instid0(VALU_DEP_1) | instskip(NEXT) | instid1(VALU_DEP_1)
	v_mad_u64_u32 v[23:24], null, s25, s9, v[22:23]
	v_mov_b32_e32 v22, v23
	s_delay_alu instid0(VALU_DEP_1)
	v_cmpx_gt_i64_e64 s[12:13], v[21:22]
	s_cbranch_execz .LBB30_29
; %bb.31:                               ;   in Loop: Header=BB30_30 Depth=1
	v_mul_lo_u32 v24, v22, s20
	v_mul_lo_u32 v25, v21, s21
	v_mad_u64_u32 v[22:23], null, v21, s20, 0
	s_delay_alu instid0(VALU_DEP_1) | instskip(NEXT) | instid1(VALU_DEP_2)
	v_add3_u32 v23, v23, v25, v24
	v_add_co_u32 v24, vcc_lo, v22, s20
	v_add_co_u32 v31, s3, v22, v4
	s_delay_alu instid0(VALU_DEP_3) | instskip(SKIP_2) | instid1(VALU_DEP_2)
	v_add_co_ci_u32_e32 v25, vcc_lo, s21, v23, vcc_lo
	v_add_co_ci_u32_e64 v21, s3, 0, v23, s3
	s_mov_b32 s3, exec_lo
	v_cmp_gt_i64_e32 vcc_lo, s[18:19], v[24:25]
	v_cndmask_b32_e32 v25, s19, v25, vcc_lo
	v_cndmask_b32_e32 v24, s18, v24, vcc_lo
	v_add_co_u32 v26, vcc_lo, v31, 32
	v_add_co_ci_u32_e32 v27, vcc_lo, 0, v21, vcc_lo
	v_lshlrev_b32_e32 v21, 2, v31
	s_delay_alu instid0(VALU_DEP_2)
	v_cmpx_lt_i64_e64 v[26:27], v[24:25]
	s_cbranch_execz .LBB30_34
; %bb.32:                               ;   in Loop: Header=BB30_30 Depth=1
	ds_load_b32 v33, v21
	v_mov_b32_e32 v32, v30
	s_mov_b32 s36, 0
.LBB30_33:                              ;   Parent Loop BB30_30 Depth=1
                                        ; =>  This Inner Loop Header: Depth=2
	ds_load_b32 v34, v32
	v_add_co_u32 v26, vcc_lo, v26, 32
	v_add_co_ci_u32_e32 v27, vcc_lo, 0, v27, vcc_lo
	s_waitcnt lgkmcnt(1)
	v_dual_max_f32 v33, v33, v33 :: v_dual_add_nc_u32 v32, 0x80, v32
	s_delay_alu instid0(VALU_DEP_2) | instskip(SKIP_3) | instid1(VALU_DEP_1)
	v_cmp_ge_i64_e32 vcc_lo, v[26:27], v[24:25]
	s_or_b32 s36, vcc_lo, s36
	s_waitcnt lgkmcnt(0)
	v_max_f32_e32 v34, v34, v34
	v_max_f32_e32 v33, v33, v34
	ds_store_b32 v21, v33
	s_and_not1_b32 exec_lo, exec_lo, s36
	s_cbranch_execnz .LBB30_33
.LBB30_34:                              ;   in Loop: Header=BB30_30 Depth=1
	s_or_b32 exec_lo, exec_lo, s3
	v_sub_co_u32 v22, vcc_lo, v24, v22
	v_sub_co_ci_u32_e32 v23, vcc_lo, v25, v23, vcc_lo
	s_mov_b32 s3, exec_lo
	s_delay_alu instid0(VALU_DEP_1) | instskip(SKIP_1) | instid1(VALU_DEP_1)
	v_cmp_gt_i64_e32 vcc_lo, 32, v[22:23]
	v_dual_cndmask_b32 v24, 0, v23 :: v_dual_cndmask_b32 v23, 32, v22
	v_cmpx_lt_i64_e64 v[11:12], v[23:24]
	s_cbranch_execz .LBB30_36
; %bb.35:                               ;   in Loop: Header=BB30_30 Depth=1
	v_dual_mov_b32 v22, s27 :: v_dual_add_nc_u32 v25, 64, v21
	v_mov_b32_e32 v26, s27
	flat_load_b32 v27, v[21:22] glc dlc
	s_waitcnt vmcnt(0)
	flat_load_b32 v25, v[25:26] glc dlc
	s_waitcnt vmcnt(0) lgkmcnt(0)
	v_dual_max_f32 v26, v27, v27 :: v_dual_max_f32 v25, v25, v25
	s_delay_alu instid0(VALU_DEP_1)
	v_max_f32_e32 v25, v26, v25
	flat_store_b32 v[21:22], v25 dlc
	s_waitcnt_vscnt null, 0x0
.LBB30_36:                              ;   in Loop: Header=BB30_30 Depth=1
	s_or_b32 exec_lo, exec_lo, s3
	s_delay_alu instid0(SALU_CYCLE_1)
	s_mov_b32 s3, exec_lo
	v_cmpx_lt_i64_e64 v[13:14], v[23:24]
	s_cbranch_execz .LBB30_38
; %bb.37:                               ;   in Loop: Header=BB30_30 Depth=1
	v_dual_mov_b32 v22, s27 :: v_dual_add_nc_u32 v25, 32, v21
	v_mov_b32_e32 v26, s27
	flat_load_b32 v27, v[21:22] glc dlc
	s_waitcnt vmcnt(0)
	flat_load_b32 v25, v[25:26] glc dlc
	s_waitcnt vmcnt(0) lgkmcnt(0)
	v_dual_max_f32 v26, v27, v27 :: v_dual_max_f32 v25, v25, v25
	s_delay_alu instid0(VALU_DEP_1)
	v_max_f32_e32 v25, v26, v25
	flat_store_b32 v[21:22], v25 dlc
	s_waitcnt_vscnt null, 0x0
.LBB30_38:                              ;   in Loop: Header=BB30_30 Depth=1
	s_or_b32 exec_lo, exec_lo, s3
	s_delay_alu instid0(SALU_CYCLE_1)
	s_mov_b32 s3, exec_lo
	v_cmpx_ge_i64_e64 v[15:16], v[23:24]
	s_xor_b32 s3, exec_lo, s3
; %bb.39:                               ;   in Loop: Header=BB30_30 Depth=1
                                        ; implicit-def: $vgpr21
; %bb.40:                               ;   in Loop: Header=BB30_30 Depth=1
	s_delay_alu instid0(SALU_CYCLE_1)
	s_and_not1_saveexec_b32 s3, s3
	s_cbranch_execz .LBB30_42
; %bb.41:                               ;   in Loop: Header=BB30_30 Depth=1
	v_dual_mov_b32 v22, s27 :: v_dual_add_nc_u32 v25, 16, v21
	v_mov_b32_e32 v26, s27
	flat_load_b32 v27, v[21:22] glc dlc
	s_waitcnt vmcnt(0)
	flat_load_b32 v25, v[25:26] glc dlc
	s_waitcnt vmcnt(0) lgkmcnt(0)
	v_dual_max_f32 v26, v27, v27 :: v_dual_max_f32 v25, v25, v25
	s_delay_alu instid0(VALU_DEP_1)
	v_max_f32_e32 v25, v26, v25
	flat_store_b32 v[21:22], v25 dlc
	s_waitcnt_vscnt null, 0x0
.LBB30_42:                              ;   in Loop: Header=BB30_30 Depth=1
	s_or_b32 exec_lo, exec_lo, s3
	v_lshlrev_b32_e32 v21, 2, v31
	s_mov_b32 s3, exec_lo
	v_cmpx_lt_i64_e64 v[17:18], v[23:24]
	s_cbranch_execz .LBB30_44
; %bb.43:                               ;   in Loop: Header=BB30_30 Depth=1
	s_delay_alu instid0(VALU_DEP_2)
	v_dual_mov_b32 v22, s27 :: v_dual_add_nc_u32 v25, 8, v21
	v_mov_b32_e32 v26, s27
	flat_load_b32 v27, v[21:22] glc dlc
	s_waitcnt vmcnt(0)
	flat_load_b32 v25, v[25:26] glc dlc
	s_waitcnt vmcnt(0) lgkmcnt(0)
	v_dual_max_f32 v26, v27, v27 :: v_dual_max_f32 v25, v25, v25
	s_delay_alu instid0(VALU_DEP_1)
	v_max_f32_e32 v25, v26, v25
	flat_store_b32 v[21:22], v25 dlc
	s_waitcnt_vscnt null, 0x0
.LBB30_44:                              ;   in Loop: Header=BB30_30 Depth=1
	s_or_b32 exec_lo, exec_lo, s3
	s_delay_alu instid0(SALU_CYCLE_1)
	s_mov_b32 s3, exec_lo
	v_cmpx_lt_i64_e64 v[19:20], v[23:24]
	s_cbranch_execz .LBB30_28
; %bb.45:                               ;   in Loop: Header=BB30_30 Depth=1
	v_dual_mov_b32 v22, s27 :: v_dual_add_nc_u32 v23, 4, v21
	v_mov_b32_e32 v24, s27
	flat_load_b32 v25, v[21:22] glc dlc
	s_waitcnt vmcnt(0)
	flat_load_b32 v23, v[23:24] glc dlc
	s_waitcnt vmcnt(0) lgkmcnt(0)
	v_dual_max_f32 v24, v25, v25 :: v_dual_max_f32 v23, v23, v23
	s_delay_alu instid0(VALU_DEP_1)
	v_max_f32_e32 v23, v24, v23
	flat_store_b32 v[21:22], v23 dlc
	s_waitcnt_vscnt null, 0x0
	s_branch .LBB30_28
.LBB30_46:
	s_load_b64 s[12:13], s[0:1], 0x40
	v_cmp_lt_i64_e32 vcc_lo, v[7:8], v[5:6]
	v_cmp_eq_u32_e64 s3, 0, v3
	s_waitcnt lgkmcnt(0)
	s_barrier
	buffer_gl0_inv
	s_and_b32 s9, s3, vcc_lo
	s_delay_alu instid0(SALU_CYCLE_1)
	s_and_saveexec_b32 s3, s9
	s_cbranch_execz .LBB30_53
; %bb.47:
	s_load_b64 s[0:1], s[0:1], 0x20
	ds_load_b32 v5, v29
	s_waitcnt lgkmcnt(0)
	s_cmp_eq_u64 s[0:1], 0
	s_cbranch_scc1 .LBB30_49
; %bb.48:
	s_load_b32 s0, s[0:1], 0x0
	v_max_f32_e32 v3, v5, v5
	s_waitcnt lgkmcnt(0)
	v_max_f32_e64 v4, s0, s0
	s_delay_alu instid0(VALU_DEP_1)
	v_min_f32_e32 v5, v3, v4
.LBB30_49:
	s_add_u32 s0, s12, s34
	s_addc_u32 s1, s13, 0
	s_add_u32 s18, s0, -1
	s_addc_u32 s19, s1, -1
	s_delay_alu instid0(SALU_CYCLE_1) | instskip(SKIP_1) | instid1(SALU_CYCLE_1)
	s_or_b64 s[20:21], s[18:19], s[12:13]
	s_mov_b32 s20, 0
	s_cmp_lg_u64 s[20:21], 0
	s_cbranch_scc0 .LBB30_162
; %bb.50:
	s_ashr_i32 s0, s13, 31
	s_delay_alu instid0(SALU_CYCLE_1) | instskip(SKIP_2) | instid1(SALU_CYCLE_1)
	s_add_u32 s22, s12, s0
	s_mov_b32 s1, s0
	s_addc_u32 s23, s13, s0
	s_xor_b64 s[0:1], s[22:23], s[0:1]
	s_delay_alu instid0(SALU_CYCLE_1) | instskip(SKIP_3) | instid1(VALU_DEP_1)
	v_cvt_f32_u32_e32 v3, s0
	v_cvt_f32_u32_e32 v4, s1
	s_sub_u32 s22, 0, s0
	s_subb_u32 s23, 0, s1
	v_fmamk_f32 v3, v4, 0x4f800000, v3
	s_delay_alu instid0(VALU_DEP_1) | instskip(SKIP_2) | instid1(VALU_DEP_1)
	v_rcp_f32_e32 v3, v3
	s_waitcnt_depctr 0xfff
	v_mul_f32_e32 v3, 0x5f7ffffc, v3
	v_mul_f32_e32 v4, 0x2f800000, v3
	s_delay_alu instid0(VALU_DEP_1) | instskip(NEXT) | instid1(VALU_DEP_1)
	v_trunc_f32_e32 v4, v4
	v_fmamk_f32 v3, v4, 0xcf800000, v3
	v_cvt_u32_f32_e32 v4, v4
	s_delay_alu instid0(VALU_DEP_2) | instskip(NEXT) | instid1(VALU_DEP_2)
	v_cvt_u32_f32_e32 v3, v3
	v_readfirstlane_b32 s9, v4
	s_delay_alu instid0(VALU_DEP_2) | instskip(NEXT) | instid1(VALU_DEP_2)
	v_readfirstlane_b32 s21, v3
	s_mul_i32 s24, s22, s9
	s_delay_alu instid0(VALU_DEP_1)
	s_mul_hi_u32 s26, s22, s21
	s_mul_i32 s25, s23, s21
	s_add_i32 s24, s26, s24
	s_mul_i32 s27, s22, s21
	s_add_i32 s24, s24, s25
	s_mul_hi_u32 s26, s21, s27
	s_mul_hi_u32 s35, s9, s27
	s_mul_i32 s25, s9, s27
	s_mul_hi_u32 s27, s21, s24
	s_mul_i32 s21, s21, s24
	s_mul_hi_u32 s36, s9, s24
	s_add_u32 s21, s26, s21
	s_addc_u32 s26, 0, s27
	s_add_u32 s21, s21, s25
	s_mul_i32 s24, s9, s24
	s_addc_u32 s21, s26, s35
	s_addc_u32 s25, s36, 0
	s_add_u32 s21, s21, s24
	s_addc_u32 s24, 0, s25
	v_add_co_u32 v3, s21, v3, s21
	s_delay_alu instid0(VALU_DEP_1) | instskip(SKIP_1) | instid1(VALU_DEP_1)
	s_cmp_lg_u32 s21, 0
	s_addc_u32 s9, s9, s24
	v_readfirstlane_b32 s21, v3
	s_mul_i32 s24, s22, s9
	s_delay_alu instid0(VALU_DEP_1)
	s_mul_hi_u32 s25, s22, s21
	s_mul_i32 s23, s23, s21
	s_add_i32 s24, s25, s24
	s_mul_i32 s22, s22, s21
	s_add_i32 s24, s24, s23
	s_mul_hi_u32 s25, s9, s22
	s_mul_i32 s26, s9, s22
	s_mul_hi_u32 s22, s21, s22
	s_mul_hi_u32 s27, s21, s24
	s_mul_i32 s21, s21, s24
	s_mul_hi_u32 s23, s9, s24
	s_add_u32 s21, s22, s21
	s_addc_u32 s22, 0, s27
	s_add_u32 s21, s21, s26
	s_mul_i32 s24, s9, s24
	s_addc_u32 s21, s22, s25
	s_addc_u32 s22, s23, 0
	s_add_u32 s21, s21, s24
	s_addc_u32 s22, 0, s22
	v_add_co_u32 v3, s21, v3, s21
	s_delay_alu instid0(VALU_DEP_1) | instskip(SKIP_2) | instid1(VALU_DEP_1)
	s_cmp_lg_u32 s21, 0
	s_addc_u32 s9, s9, s22
	s_ashr_i32 s22, s19, 31
	v_readfirstlane_b32 s21, v3
	s_add_u32 s24, s18, s22
	s_mov_b32 s23, s22
	s_addc_u32 s25, s19, s22
	s_delay_alu instid0(SALU_CYCLE_1) | instskip(NEXT) | instid1(SALU_CYCLE_1)
	s_xor_b64 s[24:25], s[24:25], s[22:23]
	s_mul_i32 s26, s24, s9
	s_mul_hi_u32 s27, s24, s21
	s_mul_hi_u32 s23, s24, s9
	;; [unrolled: 1-line block ×3, first 2 shown]
	s_mul_i32 s21, s25, s21
	s_add_u32 s26, s27, s26
	s_addc_u32 s23, 0, s23
	s_mul_hi_u32 s35, s25, s9
	s_add_u32 s21, s26, s21
	s_mul_i32 s9, s25, s9
	s_addc_u32 s21, s23, s36
	s_addc_u32 s23, s35, 0
	s_add_u32 s9, s21, s9
	s_addc_u32 s21, 0, s23
	s_mul_hi_u32 s23, s0, s9
	s_mul_i32 s21, s0, s21
	s_mul_i32 s26, s1, s9
	;; [unrolled: 1-line block ×3, first 2 shown]
	s_add_i32 s21, s23, s21
	v_sub_co_u32 v3, s9, s24, s9
	s_add_i32 s21, s21, s26
	s_delay_alu instid0(SALU_CYCLE_1) | instskip(SKIP_1) | instid1(VALU_DEP_1)
	s_sub_i32 s23, s25, s21
	s_cmp_lg_u32 s9, 0
	v_sub_co_u32 v4, s24, v3, s0
	s_subb_u32 s23, s23, s1
	s_cmp_lg_u32 s24, 0
	s_subb_u32 s26, s23, 0
	s_delay_alu instid0(VALU_DEP_1)
	v_cmp_le_u32_e32 vcc_lo, s0, v4
	s_cmp_ge_u32 s26, s1
	s_cselect_b32 s27, -1, 0
	s_cmp_eq_u32 s26, s1
	v_cndmask_b32_e64 v6, 0, -1, vcc_lo
	s_cselect_b32 vcc_lo, -1, 0
	s_cmp_lg_u32 s24, 0
	v_sub_co_u32 v7, s24, v4, s0
	s_subb_u32 s23, s23, s1
	s_cmp_lg_u32 s24, 0
	v_cndmask_b32_e32 v6, s27, v6, vcc_lo
	s_subb_u32 s23, s23, 0
	s_cmp_lg_u32 s9, 0
	v_cmp_le_u32_e32 vcc_lo, s0, v3
	s_subb_u32 s9, s25, s21
	s_delay_alu instid0(SALU_CYCLE_1)
	s_cmp_ge_u32 s9, s1
	v_cndmask_b32_e64 v8, 0, -1, vcc_lo
	s_cselect_b32 s21, -1, 0
	s_cmp_eq_u32 s9, s1
	v_cmp_ne_u32_e32 vcc_lo, 0, v6
	v_mov_b32_e32 v6, s23
	s_cselect_b32 s0, -1, 0
	s_delay_alu instid0(SALU_CYCLE_1) | instskip(SKIP_1) | instid1(VALU_DEP_3)
	v_cndmask_b32_e64 v8, s21, v8, s0
	v_cndmask_b32_e32 v4, v4, v7, vcc_lo
	v_cndmask_b32_e32 v6, s26, v6, vcc_lo
	s_delay_alu instid0(VALU_DEP_3) | instskip(NEXT) | instid1(VALU_DEP_3)
	v_cmp_ne_u32_e32 vcc_lo, 0, v8
	v_cndmask_b32_e32 v3, v3, v4, vcc_lo
	s_delay_alu instid0(VALU_DEP_3) | instskip(NEXT) | instid1(VALU_DEP_2)
	v_cndmask_b32_e32 v6, s9, v6, vcc_lo
	v_xor_b32_e32 v3, s22, v3
	s_delay_alu instid0(VALU_DEP_2) | instskip(NEXT) | instid1(VALU_DEP_2)
	v_xor_b32_e32 v4, s22, v6
	v_sub_co_u32 v3, vcc_lo, v3, s22
	s_delay_alu instid0(VALU_DEP_2)
	v_subrev_co_ci_u32_e32 v4, vcc_lo, s22, v4, vcc_lo
	s_and_not1_b32 vcc_lo, exec_lo, s20
	s_cbranch_vccnz .LBB30_52
.LBB30_51:
	v_cvt_f32_u32_e32 v3, s12
	s_sub_i32 s0, 0, s12
	s_delay_alu instid0(VALU_DEP_1) | instskip(SKIP_2) | instid1(VALU_DEP_1)
	v_rcp_iflag_f32_e32 v3, v3
	s_waitcnt_depctr 0xfff
	v_mul_f32_e32 v3, 0x4f7ffffe, v3
	v_cvt_u32_f32_e32 v3, v3
	s_delay_alu instid0(VALU_DEP_1) | instskip(NEXT) | instid1(VALU_DEP_1)
	v_mul_lo_u32 v4, s0, v3
	v_mul_hi_u32 v4, v3, v4
	s_delay_alu instid0(VALU_DEP_1) | instskip(NEXT) | instid1(VALU_DEP_1)
	v_add_nc_u32_e32 v3, v3, v4
	v_mul_hi_u32 v3, s18, v3
	s_delay_alu instid0(VALU_DEP_1) | instskip(NEXT) | instid1(VALU_DEP_1)
	v_mul_lo_u32 v3, v3, s12
	v_sub_nc_u32_e32 v3, s18, v3
	s_delay_alu instid0(VALU_DEP_1) | instskip(SKIP_1) | instid1(VALU_DEP_2)
	v_subrev_nc_u32_e32 v4, s12, v3
	v_cmp_le_u32_e32 vcc_lo, s12, v3
	v_cndmask_b32_e32 v3, v3, v4, vcc_lo
	s_delay_alu instid0(VALU_DEP_1) | instskip(SKIP_1) | instid1(VALU_DEP_2)
	v_subrev_nc_u32_e32 v4, s12, v3
	v_cmp_le_u32_e32 vcc_lo, s12, v3
	v_dual_cndmask_b32 v3, v3, v4 :: v_dual_mov_b32 v4, 0
.LBB30_52:
	v_div_scale_f32 v6, null, 0x43e00000, 0x43e00000, v5
	v_div_scale_f32 v9, vcc_lo, v5, 0x43e00000, v5
	s_delay_alu instid0(VALU_DEP_3) | instskip(NEXT) | instid1(VALU_DEP_3)
	v_sub_co_u32 v10, s0, s18, v3
	v_rcp_f32_e32 v7, v6
	v_sub_co_ci_u32_e64 v3, s0, s19, v4, s0
	s_lshl_b64 s[0:1], s[16:17], 2
	s_delay_alu instid0(SALU_CYCLE_1) | instskip(NEXT) | instid1(VALU_DEP_1)
	s_add_u32 s0, s0, s6
	v_mul_lo_u32 v11, v3, v1
	s_addc_u32 s1, s1, s7
	s_waitcnt_depctr 0xfff
	v_fma_f32 v8, -v6, v7, 1.0
	s_delay_alu instid0(VALU_DEP_1) | instskip(NEXT) | instid1(VALU_DEP_1)
	v_fmac_f32_e32 v7, v8, v7
	v_mul_f32_e32 v8, v9, v7
	s_delay_alu instid0(VALU_DEP_1) | instskip(NEXT) | instid1(VALU_DEP_1)
	v_fma_f32 v4, -v6, v8, v9
	v_fmac_f32_e32 v8, v4, v7
	v_mul_lo_u32 v4, v10, v2
	v_mad_u64_u32 v[2:3], null, v10, v1, 0
	s_delay_alu instid0(VALU_DEP_3) | instskip(NEXT) | instid1(VALU_DEP_2)
	v_fma_f32 v1, -v6, v8, v9
	v_add3_u32 v3, v3, v4, v11
	s_delay_alu instid0(VALU_DEP_2) | instskip(NEXT) | instid1(VALU_DEP_1)
	v_div_fmas_f32 v1, v1, v7, v8
	v_div_fixup_f32 v4, v1, 0x43e00000, v5
	s_delay_alu instid0(VALU_DEP_3) | instskip(NEXT) | instid1(VALU_DEP_2)
	v_lshlrev_b64 v[1:2], 2, v[2:3]
	v_max_f32_e32 v3, 0x36924925, v4
	s_delay_alu instid0(VALU_DEP_2) | instskip(NEXT) | instid1(VALU_DEP_3)
	v_add_co_u32 v1, vcc_lo, s0, v1
	v_add_co_ci_u32_e32 v2, vcc_lo, s1, v2, vcc_lo
	global_store_b32 v[1:2], v3, off
.LBB30_53:
	s_or_b32 exec_lo, exec_lo, s3
	s_waitcnt_vscnt null, 0x0
	s_barrier
	buffer_gl0_inv
	s_and_saveexec_b32 s0, s2
	s_cbranch_execz .LBB30_161
; %bb.54:
	s_add_u32 s0, s12, s34
	s_addc_u32 s1, s13, 0
	s_add_u32 s2, s0, -1
	s_addc_u32 s3, s1, -1
	s_delay_alu instid0(SALU_CYCLE_1) | instskip(SKIP_1) | instid1(SALU_CYCLE_1)
	s_or_b64 s[18:19], s[2:3], s[12:13]
	s_mov_b32 s18, 0
	s_cmp_lg_u64 s[18:19], 0
	s_cbranch_scc0 .LBB30_163
; %bb.55:
	s_ashr_i32 s0, s13, 31
	s_delay_alu instid0(SALU_CYCLE_1) | instskip(SKIP_2) | instid1(SALU_CYCLE_1)
	s_add_u32 s20, s12, s0
	s_mov_b32 s1, s0
	s_addc_u32 s21, s13, s0
	s_xor_b64 s[0:1], s[20:21], s[0:1]
	s_delay_alu instid0(SALU_CYCLE_1) | instskip(SKIP_3) | instid1(VALU_DEP_1)
	v_cvt_f32_u32_e32 v1, s0
	v_cvt_f32_u32_e32 v2, s1
	s_sub_u32 s19, 0, s0
	s_subb_u32 s20, 0, s1
	v_fmamk_f32 v1, v2, 0x4f800000, v1
	s_delay_alu instid0(VALU_DEP_1) | instskip(SKIP_2) | instid1(VALU_DEP_1)
	v_rcp_f32_e32 v1, v1
	s_waitcnt_depctr 0xfff
	v_mul_f32_e32 v1, 0x5f7ffffc, v1
	v_mul_f32_e32 v2, 0x2f800000, v1
	s_delay_alu instid0(VALU_DEP_1) | instskip(NEXT) | instid1(VALU_DEP_1)
	v_trunc_f32_e32 v2, v2
	v_fmamk_f32 v1, v2, 0xcf800000, v1
	v_cvt_u32_f32_e32 v2, v2
	s_delay_alu instid0(VALU_DEP_2) | instskip(NEXT) | instid1(VALU_DEP_2)
	v_cvt_u32_f32_e32 v1, v1
	v_readfirstlane_b32 s9, v2
	s_delay_alu instid0(VALU_DEP_2) | instskip(NEXT) | instid1(VALU_DEP_2)
	v_readfirstlane_b32 s13, v1
	s_mul_i32 s21, s19, s9
	s_delay_alu instid0(VALU_DEP_1)
	s_mul_hi_u32 s23, s19, s13
	s_mul_i32 s22, s20, s13
	s_add_i32 s21, s23, s21
	s_mul_i32 s24, s19, s13
	s_add_i32 s21, s21, s22
	s_mul_hi_u32 s23, s13, s24
	s_mul_hi_u32 s25, s9, s24
	s_mul_i32 s22, s9, s24
	s_mul_hi_u32 s24, s13, s21
	s_mul_i32 s13, s13, s21
	s_mul_hi_u32 s26, s9, s21
	s_add_u32 s13, s23, s13
	s_addc_u32 s23, 0, s24
	s_add_u32 s13, s13, s22
	s_mul_i32 s21, s9, s21
	s_addc_u32 s13, s23, s25
	s_addc_u32 s22, s26, 0
	s_add_u32 s13, s13, s21
	s_addc_u32 s21, 0, s22
	v_add_co_u32 v1, s13, v1, s13
	s_delay_alu instid0(VALU_DEP_1) | instskip(SKIP_1) | instid1(VALU_DEP_1)
	s_cmp_lg_u32 s13, 0
	s_addc_u32 s9, s9, s21
	v_readfirstlane_b32 s13, v1
	s_mul_i32 s21, s19, s9
	s_delay_alu instid0(VALU_DEP_1)
	s_mul_hi_u32 s22, s19, s13
	s_mul_i32 s20, s20, s13
	s_add_i32 s21, s22, s21
	s_mul_i32 s19, s19, s13
	s_add_i32 s21, s21, s20
	s_mul_hi_u32 s22, s9, s19
	s_mul_i32 s23, s9, s19
	s_mul_hi_u32 s19, s13, s19
	s_mul_hi_u32 s24, s13, s21
	s_mul_i32 s13, s13, s21
	s_mul_hi_u32 s20, s9, s21
	s_add_u32 s13, s19, s13
	s_addc_u32 s19, 0, s24
	s_add_u32 s13, s13, s23
	s_mul_i32 s21, s9, s21
	s_addc_u32 s13, s19, s22
	s_addc_u32 s19, s20, 0
	s_add_u32 s13, s13, s21
	s_addc_u32 s19, 0, s19
	v_add_co_u32 v1, s13, v1, s13
	s_delay_alu instid0(VALU_DEP_1) | instskip(SKIP_2) | instid1(VALU_DEP_1)
	s_cmp_lg_u32 s13, 0
	s_addc_u32 s9, s9, s19
	s_ashr_i32 s20, s3, 31
	v_readfirstlane_b32 s13, v1
	s_add_u32 s22, s2, s20
	s_mov_b32 s21, s20
	s_addc_u32 s23, s3, s20
	s_delay_alu instid0(SALU_CYCLE_1) | instskip(NEXT) | instid1(SALU_CYCLE_1)
	s_xor_b64 s[22:23], s[22:23], s[20:21]
	s_mul_i32 s21, s22, s9
	s_mul_hi_u32 s24, s22, s13
	s_mul_hi_u32 s19, s22, s9
	;; [unrolled: 1-line block ×3, first 2 shown]
	s_mul_i32 s13, s23, s13
	s_add_u32 s21, s24, s21
	s_addc_u32 s19, 0, s19
	s_mul_hi_u32 s25, s23, s9
	s_add_u32 s13, s21, s13
	s_mul_i32 s9, s23, s9
	s_addc_u32 s13, s19, s26
	s_addc_u32 s19, s25, 0
	s_add_u32 s9, s13, s9
	s_addc_u32 s13, 0, s19
	s_mul_hi_u32 s19, s0, s9
	s_mul_i32 s13, s0, s13
	s_mul_i32 s21, s1, s9
	;; [unrolled: 1-line block ×3, first 2 shown]
	s_add_i32 s13, s19, s13
	v_sub_co_u32 v1, s9, s22, s9
	s_add_i32 s13, s13, s21
	s_delay_alu instid0(SALU_CYCLE_1) | instskip(SKIP_1) | instid1(VALU_DEP_1)
	s_sub_i32 s19, s23, s13
	s_cmp_lg_u32 s9, 0
	v_sub_co_u32 v2, s21, v1, s0
	s_subb_u32 s19, s19, s1
	s_cmp_lg_u32 s21, 0
	s_subb_u32 s22, s19, 0
	s_delay_alu instid0(VALU_DEP_1)
	v_cmp_le_u32_e32 vcc_lo, s0, v2
	s_cmp_ge_u32 s22, s1
	s_cselect_b32 s24, -1, 0
	s_cmp_eq_u32 s22, s1
	v_cndmask_b32_e64 v3, 0, -1, vcc_lo
	s_cselect_b32 vcc_lo, -1, 0
	s_cmp_lg_u32 s21, 0
	v_sub_co_u32 v4, s21, v2, s0
	s_subb_u32 s19, s19, s1
	s_cmp_lg_u32 s21, 0
	v_cndmask_b32_e32 v3, s24, v3, vcc_lo
	s_subb_u32 s19, s19, 0
	s_cmp_lg_u32 s9, 0
	v_cmp_le_u32_e32 vcc_lo, s0, v1
	s_subb_u32 s9, s23, s13
	s_delay_alu instid0(SALU_CYCLE_1)
	s_cmp_ge_u32 s9, s1
	v_cndmask_b32_e64 v5, 0, -1, vcc_lo
	s_cselect_b32 s13, -1, 0
	s_cmp_eq_u32 s9, s1
	v_cmp_ne_u32_e32 vcc_lo, 0, v3
	v_mov_b32_e32 v3, s19
	s_cselect_b32 s0, -1, 0
	s_delay_alu instid0(SALU_CYCLE_1) | instskip(SKIP_1) | instid1(VALU_DEP_3)
	v_cndmask_b32_e64 v5, s13, v5, s0
	v_cndmask_b32_e32 v2, v2, v4, vcc_lo
	v_cndmask_b32_e32 v3, s22, v3, vcc_lo
	s_delay_alu instid0(VALU_DEP_3) | instskip(NEXT) | instid1(VALU_DEP_3)
	v_cmp_ne_u32_e32 vcc_lo, 0, v5
	v_cndmask_b32_e32 v1, v1, v2, vcc_lo
	s_delay_alu instid0(VALU_DEP_3) | instskip(NEXT) | instid1(VALU_DEP_2)
	v_cndmask_b32_e32 v3, s9, v3, vcc_lo
	v_xor_b32_e32 v1, s20, v1
	s_delay_alu instid0(VALU_DEP_2) | instskip(NEXT) | instid1(VALU_DEP_2)
	v_xor_b32_e32 v2, s20, v3
	v_sub_co_u32 v1, vcc_lo, v1, s20
	s_delay_alu instid0(VALU_DEP_2)
	v_subrev_co_ci_u32_e32 v2, vcc_lo, s20, v2, vcc_lo
	s_and_not1_b32 vcc_lo, exec_lo, s18
	s_cbranch_vccnz .LBB30_57
.LBB30_56:
	v_cvt_f32_u32_e32 v1, s12
	s_sub_i32 s0, 0, s12
	s_delay_alu instid0(VALU_DEP_1) | instskip(SKIP_2) | instid1(VALU_DEP_1)
	v_rcp_iflag_f32_e32 v1, v1
	s_waitcnt_depctr 0xfff
	v_mul_f32_e32 v1, 0x4f7ffffe, v1
	v_cvt_u32_f32_e32 v1, v1
	s_delay_alu instid0(VALU_DEP_1) | instskip(NEXT) | instid1(VALU_DEP_1)
	v_mul_lo_u32 v2, s0, v1
	v_mul_hi_u32 v2, v1, v2
	s_delay_alu instid0(VALU_DEP_1) | instskip(NEXT) | instid1(VALU_DEP_1)
	v_add_nc_u32_e32 v1, v1, v2
	v_mul_hi_u32 v1, s2, v1
	s_delay_alu instid0(VALU_DEP_1) | instskip(NEXT) | instid1(VALU_DEP_1)
	v_mul_lo_u32 v1, v1, s12
	v_sub_nc_u32_e32 v1, s2, v1
	s_delay_alu instid0(VALU_DEP_1) | instskip(SKIP_1) | instid1(VALU_DEP_2)
	v_subrev_nc_u32_e32 v2, s12, v1
	v_cmp_le_u32_e32 vcc_lo, s12, v1
	v_cndmask_b32_e32 v1, v1, v2, vcc_lo
	s_delay_alu instid0(VALU_DEP_1) | instskip(SKIP_1) | instid1(VALU_DEP_2)
	v_subrev_nc_u32_e32 v2, s12, v1
	v_cmp_le_u32_e32 vcc_lo, s12, v1
	v_dual_cndmask_b32 v1, v1, v2 :: v_dual_mov_b32 v2, 0
.LBB30_57:
	s_delay_alu instid0(VALU_DEP_1)
	v_sub_co_u32 v13, vcc_lo, s2, v1
	s_add_u32 s0, s4, s14
	s_addc_u32 s1, s5, s15
	s_lshl_b64 s[4:5], s[16:17], 2
	v_sub_co_ci_u32_e32 v14, vcc_lo, s3, v2, vcc_lo
	v_mov_b32_e32 v1, 0
	s_add_u32 s4, s6, s4
	s_addc_u32 s5, s7, s5
	s_mul_i32 s2, s33, 3
	s_lshl_b32 s3, s33, 1
	s_mov_b32 s6, 0
	s_mov_b32 s7, 0x43e00000
	s_add_i32 s9, s33, s33
	s_branch .LBB30_63
.LBB30_58:                              ;   in Loop: Header=BB30_63 Depth=1
	s_or_b32 exec_lo, exec_lo, s16
.LBB30_59:                              ;   in Loop: Header=BB30_63 Depth=1
	s_delay_alu instid0(SALU_CYCLE_1)
	s_or_b32 exec_lo, exec_lo, s15
	v_lshrrev_b32_e32 v7, 24, v7
	v_lshrrev_b32_e32 v3, 24, v3
	;; [unrolled: 1-line block ×3, first 2 shown]
	v_lshlrev_b32_e32 v4, 24, v4
	v_and_b32_e32 v5, 0x80000000, v5
	v_and_b32_e32 v7, 0x80, v7
	;; [unrolled: 1-line block ×3, first 2 shown]
	s_delay_alu instid0(VALU_DEP_2) | instskip(NEXT) | instid1(VALU_DEP_2)
	v_and_or_b32 v6, 0xff, v6, v7
	v_and_or_b32 v9, 0xff, v2, v3
	v_lshlrev_b64 v[2:3], 2, v[0:1]
	v_and_b32_e32 v7, 0xff, v11
	v_add3_u32 v0, s9, s33, v10
	v_lshlrev_b32_e32 v6, 16, v6
	s_delay_alu instid0(VALU_DEP_3) | instskip(SKIP_1) | instid1(VALU_DEP_3)
	v_and_or_b32 v7, 0x80, v8, v7
	v_lshlrev_b32_e32 v8, 8, v9
	v_or3_b32 v4, v5, v4, v6
	v_add_co_u32 v2, vcc_lo, s0, v2
	v_add_co_ci_u32_e32 v3, vcc_lo, s1, v3, vcc_lo
	v_cmp_le_u32_e32 vcc_lo, s8, v0
	s_delay_alu instid0(VALU_DEP_4)
	v_or3_b32 v4, v4, v8, v7
	s_or_not1_b32 s15, vcc_lo, exec_lo
	global_store_b32 v[2:3], v4, off
.LBB30_60:                              ;   in Loop: Header=BB30_63 Depth=1
	s_or_b32 exec_lo, exec_lo, s14
	s_delay_alu instid0(SALU_CYCLE_1)
	s_or_not1_b32 s14, s15, exec_lo
.LBB30_61:                              ;   in Loop: Header=BB30_63 Depth=1
	s_or_b32 exec_lo, exec_lo, s13
	s_delay_alu instid0(SALU_CYCLE_1)
	s_or_not1_b32 s13, s14, exec_lo
.LBB30_62:                              ;   in Loop: Header=BB30_63 Depth=1
	s_or_b32 exec_lo, exec_lo, s12
	s_delay_alu instid0(SALU_CYCLE_1) | instskip(NEXT) | instid1(SALU_CYCLE_1)
	s_and_b32 s12, exec_lo, s13
	s_or_b32 s6, s12, s6
	s_delay_alu instid0(SALU_CYCLE_1)
	s_and_not1_b32 exec_lo, exec_lo, s6
	s_cbranch_execz .LBB30_161
.LBB30_63:                              ; =>This Inner Loop Header: Depth=1
	v_lshlrev_b64 v[4:5], 4, v[0:1]
	v_bfe_u32 v8, v0, 4, 26
	s_mov_b32 s12, exec_lo
	s_delay_alu instid0(VALU_DEP_1) | instskip(NEXT) | instid1(VALU_DEP_3)
	v_mad_u64_u32 v[2:3], null, v13, v8, 0
	v_add_co_u32 v6, vcc_lo, s28, v4
	s_delay_alu instid0(VALU_DEP_4)
	v_add_co_ci_u32_e32 v7, vcc_lo, s29, v5, vcc_lo
	v_add_co_u32 v19, vcc_lo, s30, v4
	v_add_co_ci_u32_e32 v20, vcc_lo, s31, v5, vcc_lo
	v_mad_u64_u32 v[10:11], null, v14, v8, v[3:4]
	global_load_b128 v[6:9], v[6:7], off
	global_load_b128 v[15:18], v[19:20], off
	v_add_co_u32 v4, vcc_lo, s10, v4
	v_add_co_ci_u32_e32 v5, vcc_lo, s11, v5, vcc_lo
	s_waitcnt vmcnt(0)
	v_dual_add_f32 v6, v6, v15 :: v_dual_add_f32 v7, v7, v16
	v_mov_b32_e32 v3, v10
	v_dual_add_f32 v9, v9, v18 :: v_dual_add_f32 v8, v8, v17
	s_delay_alu instid0(VALU_DEP_2)
	v_lshlrev_b64 v[10:11], 2, v[2:3]
	global_load_b128 v[2:5], v[4:5], off
	v_add_co_u32 v10, vcc_lo, s4, v10
	v_add_co_ci_u32_e32 v11, vcc_lo, s5, v11, vcc_lo
	global_load_b32 v12, v[10:11], off
	v_mul_f32_e32 v10, v28, v6
	s_waitcnt vmcnt(1)
	s_delay_alu instid0(VALU_DEP_1) | instskip(SKIP_1) | instid1(VALU_DEP_1)
	v_mul_f32_e32 v2, v2, v10
	s_waitcnt vmcnt(0)
	v_div_scale_f32 v10, null, v12, v12, v2
	s_delay_alu instid0(VALU_DEP_1) | instskip(SKIP_2) | instid1(VALU_DEP_1)
	v_rcp_f32_e32 v11, v10
	s_waitcnt_depctr 0xfff
	v_fma_f32 v15, -v10, v11, 1.0
	v_fmac_f32_e32 v11, v15, v11
	v_div_scale_f32 v21, vcc_lo, v2, v12, v2
	s_delay_alu instid0(VALU_DEP_1) | instskip(NEXT) | instid1(VALU_DEP_1)
	v_mul_f32_e32 v15, v21, v11
	v_fma_f32 v22, -v10, v15, v21
	s_delay_alu instid0(VALU_DEP_1) | instskip(NEXT) | instid1(VALU_DEP_1)
	v_fmac_f32_e32 v15, v22, v11
	v_fma_f32 v10, -v10, v15, v21
	s_delay_alu instid0(VALU_DEP_1) | instskip(NEXT) | instid1(VALU_DEP_1)
	v_div_fmas_f32 v10, v10, v11, v15
	v_div_fixup_f32 v2, v10, v12, v2
	v_mov_b32_e32 v10, 0x7f
	global_store_b128 v[19:20], v[6:9], off
	v_minmax_f32 v11, v2, s7, 0xc3e00000
	v_mov_b32_e32 v2, 0x7f
	s_delay_alu instid0(VALU_DEP_2) | instskip(NEXT) | instid1(VALU_DEP_1)
	v_and_b32_e32 v15, 0x7fffffff, v11
	v_cmpx_gt_u32_e32 0x43f00000, v15
	s_cbranch_execz .LBB30_69
; %bb.64:                               ;   in Loop: Header=BB30_63 Depth=1
	s_mov_b32 s13, exec_lo
                                        ; implicit-def: $vgpr10
	v_cmpx_lt_u32_e32 0x3c7fffff, v15
	s_xor_b32 s13, exec_lo, s13
; %bb.65:                               ;   in Loop: Header=BB30_63 Depth=1
	v_bfe_u32 v6, v11, 20, 1
	s_delay_alu instid0(VALU_DEP_1) | instskip(NEXT) | instid1(VALU_DEP_1)
	v_add3_u32 v6, v11, v6, 0x407ffff
	v_lshrrev_b32_e32 v10, 20, v6
; %bb.66:                               ;   in Loop: Header=BB30_63 Depth=1
	s_and_not1_saveexec_b32 s13, s13
; %bb.67:                               ;   in Loop: Header=BB30_63 Depth=1
	v_add_f32_e64 v10, 0x46800000, |v11|
; %bb.68:                               ;   in Loop: Header=BB30_63 Depth=1
	s_or_b32 exec_lo, exec_lo, s13
.LBB30_69:                              ;   in Loop: Header=BB30_63 Depth=1
	s_delay_alu instid0(SALU_CYCLE_1) | instskip(SKIP_2) | instid1(VALU_DEP_1)
	s_or_b32 exec_lo, exec_lo, s12
	v_mul_f32_e32 v6, v28, v7
	s_mov_b32 s12, exec_lo
	v_mul_f32_e32 v3, v3, v6
	s_delay_alu instid0(VALU_DEP_1) | instskip(NEXT) | instid1(VALU_DEP_1)
	v_div_scale_f32 v6, null, v12, v12, v3
	v_rcp_f32_e32 v7, v6
	s_waitcnt_depctr 0xfff
	v_fma_f32 v15, -v6, v7, 1.0
	s_delay_alu instid0(VALU_DEP_1) | instskip(SKIP_1) | instid1(VALU_DEP_1)
	v_fmac_f32_e32 v7, v15, v7
	v_div_scale_f32 v15, vcc_lo, v3, v12, v3
	v_mul_f32_e32 v16, v15, v7
	s_delay_alu instid0(VALU_DEP_1) | instskip(NEXT) | instid1(VALU_DEP_1)
	v_fma_f32 v17, -v6, v16, v15
	v_fmac_f32_e32 v16, v17, v7
	s_delay_alu instid0(VALU_DEP_1) | instskip(NEXT) | instid1(VALU_DEP_1)
	v_fma_f32 v6, -v6, v16, v15
	v_div_fmas_f32 v6, v6, v7, v16
	s_delay_alu instid0(VALU_DEP_1) | instskip(NEXT) | instid1(VALU_DEP_1)
	v_div_fixup_f32 v3, v6, v12, v3
	v_minmax_f32 v3, v3, s7, 0xc3e00000
	s_delay_alu instid0(VALU_DEP_1) | instskip(NEXT) | instid1(VALU_DEP_1)
	v_and_b32_e32 v6, 0x7fffffff, v3
	v_cmpx_gt_u32_e32 0x43f00000, v6
	s_cbranch_execz .LBB30_75
; %bb.70:                               ;   in Loop: Header=BB30_63 Depth=1
	s_mov_b32 s13, exec_lo
                                        ; implicit-def: $vgpr2
	v_cmpx_lt_u32_e32 0x3c7fffff, v6
	s_xor_b32 s13, exec_lo, s13
; %bb.71:                               ;   in Loop: Header=BB30_63 Depth=1
	v_bfe_u32 v2, v3, 20, 1
	s_delay_alu instid0(VALU_DEP_1) | instskip(NEXT) | instid1(VALU_DEP_1)
	v_add3_u32 v2, v3, v2, 0x407ffff
	v_lshrrev_b32_e32 v2, 20, v2
; %bb.72:                               ;   in Loop: Header=BB30_63 Depth=1
	s_and_not1_saveexec_b32 s13, s13
; %bb.73:                               ;   in Loop: Header=BB30_63 Depth=1
	v_add_f32_e64 v2, 0x46800000, |v3|
; %bb.74:                               ;   in Loop: Header=BB30_63 Depth=1
	s_or_b32 exec_lo, exec_lo, s13
.LBB30_75:                              ;   in Loop: Header=BB30_63 Depth=1
	s_delay_alu instid0(SALU_CYCLE_1) | instskip(SKIP_2) | instid1(VALU_DEP_1)
	s_or_b32 exec_lo, exec_lo, s12
	v_mul_f32_e32 v6, v28, v8
	s_mov_b32 s12, exec_lo
	v_mul_f32_e32 v4, v4, v6
	s_delay_alu instid0(VALU_DEP_1) | instskip(SKIP_1) | instid1(VALU_DEP_2)
	v_div_scale_f32 v6, null, v12, v12, v4
	v_div_scale_f32 v15, vcc_lo, v4, v12, v4
	v_rcp_f32_e32 v7, v6
	s_waitcnt_depctr 0xfff
	v_fma_f32 v8, -v6, v7, 1.0
	s_delay_alu instid0(VALU_DEP_1) | instskip(NEXT) | instid1(VALU_DEP_1)
	v_fmac_f32_e32 v7, v8, v7
	v_mul_f32_e32 v8, v15, v7
	s_delay_alu instid0(VALU_DEP_1) | instskip(NEXT) | instid1(VALU_DEP_1)
	v_fma_f32 v16, -v6, v8, v15
	v_fmac_f32_e32 v8, v16, v7
	s_delay_alu instid0(VALU_DEP_1) | instskip(NEXT) | instid1(VALU_DEP_1)
	v_fma_f32 v6, -v6, v8, v15
	v_div_fmas_f32 v6, v6, v7, v8
	s_delay_alu instid0(VALU_DEP_1) | instskip(SKIP_1) | instid1(VALU_DEP_2)
	v_div_fixup_f32 v4, v6, v12, v4
	v_mov_b32_e32 v6, 0x7f
	v_minmax_f32 v7, v4, s7, 0xc3e00000
	v_mov_b32_e32 v4, 0x7f
	s_delay_alu instid0(VALU_DEP_2) | instskip(NEXT) | instid1(VALU_DEP_1)
	v_and_b32_e32 v8, 0x7fffffff, v7
	v_cmpx_gt_u32_e32 0x43f00000, v8
	s_cbranch_execz .LBB30_81
; %bb.76:                               ;   in Loop: Header=BB30_63 Depth=1
	s_mov_b32 s13, exec_lo
                                        ; implicit-def: $vgpr6
	v_cmpx_lt_u32_e32 0x3c7fffff, v8
	s_xor_b32 s13, exec_lo, s13
; %bb.77:                               ;   in Loop: Header=BB30_63 Depth=1
	v_bfe_u32 v6, v7, 20, 1
	s_delay_alu instid0(VALU_DEP_1) | instskip(NEXT) | instid1(VALU_DEP_1)
	v_add3_u32 v6, v7, v6, 0x407ffff
	v_lshrrev_b32_e32 v6, 20, v6
; %bb.78:                               ;   in Loop: Header=BB30_63 Depth=1
	s_and_not1_saveexec_b32 s13, s13
; %bb.79:                               ;   in Loop: Header=BB30_63 Depth=1
	v_add_f32_e64 v6, 0x46800000, |v7|
; %bb.80:                               ;   in Loop: Header=BB30_63 Depth=1
	s_or_b32 exec_lo, exec_lo, s13
.LBB30_81:                              ;   in Loop: Header=BB30_63 Depth=1
	s_delay_alu instid0(SALU_CYCLE_1) | instskip(SKIP_2) | instid1(VALU_DEP_1)
	s_or_b32 exec_lo, exec_lo, s12
	v_mul_f32_e32 v8, v28, v9
	s_mov_b32 s12, exec_lo
	v_mul_f32_e32 v5, v5, v8
	s_delay_alu instid0(VALU_DEP_1) | instskip(NEXT) | instid1(VALU_DEP_1)
	v_div_scale_f32 v8, null, v12, v12, v5
	v_rcp_f32_e32 v9, v8
	s_waitcnt_depctr 0xfff
	v_fma_f32 v15, -v8, v9, 1.0
	s_delay_alu instid0(VALU_DEP_1) | instskip(SKIP_1) | instid1(VALU_DEP_1)
	v_fmac_f32_e32 v9, v15, v9
	v_div_scale_f32 v15, vcc_lo, v5, v12, v5
	v_mul_f32_e32 v16, v15, v9
	s_delay_alu instid0(VALU_DEP_1) | instskip(NEXT) | instid1(VALU_DEP_1)
	v_fma_f32 v17, -v8, v16, v15
	v_fmac_f32_e32 v16, v17, v9
	s_delay_alu instid0(VALU_DEP_1) | instskip(NEXT) | instid1(VALU_DEP_1)
	v_fma_f32 v8, -v8, v16, v15
	v_div_fmas_f32 v8, v8, v9, v16
	s_delay_alu instid0(VALU_DEP_1) | instskip(NEXT) | instid1(VALU_DEP_1)
	v_div_fixup_f32 v5, v8, v12, v5
	v_minmax_f32 v5, v5, s7, 0xc3e00000
	s_delay_alu instid0(VALU_DEP_1) | instskip(NEXT) | instid1(VALU_DEP_1)
	v_and_b32_e32 v8, 0x7fffffff, v5
	v_cmpx_gt_u32_e32 0x43f00000, v8
	s_cbranch_execz .LBB30_87
; %bb.82:                               ;   in Loop: Header=BB30_63 Depth=1
	s_mov_b32 s13, exec_lo
                                        ; implicit-def: $vgpr4
	v_cmpx_lt_u32_e32 0x3c7fffff, v8
	s_xor_b32 s13, exec_lo, s13
; %bb.83:                               ;   in Loop: Header=BB30_63 Depth=1
	v_bfe_u32 v4, v5, 20, 1
	s_delay_alu instid0(VALU_DEP_1) | instskip(NEXT) | instid1(VALU_DEP_1)
	v_add3_u32 v4, v5, v4, 0x407ffff
	v_lshrrev_b32_e32 v4, 20, v4
; %bb.84:                               ;   in Loop: Header=BB30_63 Depth=1
	s_and_not1_saveexec_b32 s13, s13
; %bb.85:                               ;   in Loop: Header=BB30_63 Depth=1
	v_add_f32_e64 v4, 0x46800000, |v5|
; %bb.86:                               ;   in Loop: Header=BB30_63 Depth=1
	s_or_b32 exec_lo, exec_lo, s13
.LBB30_87:                              ;   in Loop: Header=BB30_63 Depth=1
	s_delay_alu instid0(SALU_CYCLE_1)
	s_or_b32 exec_lo, exec_lo, s12
	v_lshrrev_b32_e32 v7, 24, v7
	v_lshrrev_b32_e32 v3, 24, v3
	;; [unrolled: 1-line block ×3, first 2 shown]
	v_lshlrev_b32_e32 v4, 24, v4
	v_and_b32_e32 v5, 0x80000000, v5
	v_and_b32_e32 v7, 0x80, v7
	;; [unrolled: 1-line block ×3, first 2 shown]
	s_mov_b32 s13, -1
	s_mov_b32 s12, exec_lo
	s_delay_alu instid0(VALU_DEP_2)
	v_and_or_b32 v6, 0xff, v6, v7
	v_and_b32_e32 v7, 0xff, v10
	v_and_or_b32 v9, 0xff, v2, v3
	v_lshlrev_b64 v[2:3], 2, v[0:1]
	v_add_nc_u32_e32 v10, s33, v0
	v_lshlrev_b32_e32 v6, 16, v6
	v_and_or_b32 v7, 0x80, v8, v7
	v_lshlrev_b32_e32 v8, 8, v9
	v_add_co_u32 v2, vcc_lo, s0, v2
	s_delay_alu instid0(VALU_DEP_4) | instskip(SKIP_1) | instid1(VALU_DEP_2)
	v_or3_b32 v4, v5, v4, v6
	v_add_co_ci_u32_e32 v3, vcc_lo, s1, v3, vcc_lo
	v_or3_b32 v4, v4, v8, v7
	global_store_b32 v[2:3], v4, off
	v_cmpx_gt_u32_e64 s8, v10
	s_cbranch_execz .LBB30_62
; %bb.88:                               ;   in Loop: Header=BB30_63 Depth=1
	v_mov_b32_e32 v11, v1
	v_bfe_u32 v8, v10, 4, 26
	s_mov_b32 s13, exec_lo
	s_delay_alu instid0(VALU_DEP_2) | instskip(NEXT) | instid1(VALU_DEP_2)
	v_lshlrev_b64 v[4:5], 4, v[10:11]
	v_mad_u64_u32 v[2:3], null, v13, v8, 0
	s_delay_alu instid0(VALU_DEP_2) | instskip(NEXT) | instid1(VALU_DEP_3)
	v_add_co_u32 v6, vcc_lo, s28, v4
	v_add_co_ci_u32_e32 v7, vcc_lo, s29, v5, vcc_lo
	v_add_co_u32 v21, vcc_lo, s30, v4
	v_add_co_ci_u32_e32 v22, vcc_lo, s31, v5, vcc_lo
	v_mad_u64_u32 v[15:16], null, v14, v8, v[3:4]
	global_load_b128 v[6:9], v[6:7], off
	global_load_b128 v[17:20], v[21:22], off
	v_add_co_u32 v4, vcc_lo, s10, v4
	v_add_co_ci_u32_e32 v5, vcc_lo, s11, v5, vcc_lo
	s_waitcnt vmcnt(0)
	v_dual_add_f32 v6, v6, v17 :: v_dual_mov_b32 v3, v15
	v_dual_add_f32 v7, v7, v18 :: v_dual_add_f32 v8, v8, v19
	s_delay_alu instid0(VALU_DEP_2) | instskip(NEXT) | instid1(VALU_DEP_3)
	v_dual_add_f32 v9, v9, v20 :: v_dual_mul_f32 v12, v28, v6
	v_lshlrev_b64 v[15:16], 2, v[2:3]
	global_load_b128 v[2:5], v[4:5], off
	global_store_b128 v[21:22], v[6:9], off
	v_add_co_u32 v15, vcc_lo, s4, v15
	v_add_co_ci_u32_e32 v16, vcc_lo, s5, v16, vcc_lo
	global_load_b32 v16, v[15:16], off
	s_waitcnt vmcnt(1)
	v_mul_f32_e32 v2, v2, v12
	s_waitcnt vmcnt(0)
	s_delay_alu instid0(VALU_DEP_1) | instskip(NEXT) | instid1(VALU_DEP_1)
	v_div_scale_f32 v12, null, v16, v16, v2
	v_rcp_f32_e32 v15, v12
	s_waitcnt_depctr 0xfff
	v_fma_f32 v17, -v12, v15, 1.0
	s_delay_alu instid0(VALU_DEP_1) | instskip(SKIP_1) | instid1(VALU_DEP_1)
	v_fmac_f32_e32 v15, v17, v15
	v_div_scale_f32 v23, vcc_lo, v2, v16, v2
	v_mul_f32_e32 v17, v23, v15
	s_delay_alu instid0(VALU_DEP_1) | instskip(NEXT) | instid1(VALU_DEP_1)
	v_fma_f32 v24, -v12, v17, v23
	v_fmac_f32_e32 v17, v24, v15
	s_delay_alu instid0(VALU_DEP_1) | instskip(NEXT) | instid1(VALU_DEP_1)
	v_fma_f32 v12, -v12, v17, v23
	v_div_fmas_f32 v12, v12, v15, v17
	s_delay_alu instid0(VALU_DEP_1) | instskip(SKIP_1) | instid1(VALU_DEP_2)
	v_div_fixup_f32 v2, v12, v16, v2
	v_mov_b32_e32 v12, 0x7f
	v_minmax_f32 v15, v2, s7, 0xc3e00000
	v_mov_b32_e32 v2, 0x7f
	s_delay_alu instid0(VALU_DEP_2) | instskip(NEXT) | instid1(VALU_DEP_1)
	v_and_b32_e32 v17, 0x7fffffff, v15
	v_cmpx_gt_u32_e32 0x43f00000, v17
	s_cbranch_execz .LBB30_94
; %bb.89:                               ;   in Loop: Header=BB30_63 Depth=1
	s_mov_b32 s14, exec_lo
                                        ; implicit-def: $vgpr12
	v_cmpx_lt_u32_e32 0x3c7fffff, v17
	s_xor_b32 s14, exec_lo, s14
; %bb.90:                               ;   in Loop: Header=BB30_63 Depth=1
	v_bfe_u32 v6, v15, 20, 1
	s_delay_alu instid0(VALU_DEP_1) | instskip(NEXT) | instid1(VALU_DEP_1)
	v_add3_u32 v6, v15, v6, 0x407ffff
	v_lshrrev_b32_e32 v12, 20, v6
; %bb.91:                               ;   in Loop: Header=BB30_63 Depth=1
	s_and_not1_saveexec_b32 s14, s14
; %bb.92:                               ;   in Loop: Header=BB30_63 Depth=1
	v_add_f32_e64 v12, 0x46800000, |v15|
; %bb.93:                               ;   in Loop: Header=BB30_63 Depth=1
	s_or_b32 exec_lo, exec_lo, s14
.LBB30_94:                              ;   in Loop: Header=BB30_63 Depth=1
	s_delay_alu instid0(SALU_CYCLE_1) | instskip(SKIP_2) | instid1(VALU_DEP_1)
	s_or_b32 exec_lo, exec_lo, s13
	v_mul_f32_e32 v6, v28, v7
	s_mov_b32 s13, exec_lo
	v_mul_f32_e32 v3, v3, v6
	s_delay_alu instid0(VALU_DEP_1) | instskip(NEXT) | instid1(VALU_DEP_1)
	v_div_scale_f32 v6, null, v16, v16, v3
	v_rcp_f32_e32 v7, v6
	s_waitcnt_depctr 0xfff
	v_fma_f32 v17, -v6, v7, 1.0
	s_delay_alu instid0(VALU_DEP_1) | instskip(SKIP_1) | instid1(VALU_DEP_1)
	v_fmac_f32_e32 v7, v17, v7
	v_div_scale_f32 v17, vcc_lo, v3, v16, v3
	v_mul_f32_e32 v18, v17, v7
	s_delay_alu instid0(VALU_DEP_1) | instskip(NEXT) | instid1(VALU_DEP_1)
	v_fma_f32 v19, -v6, v18, v17
	v_fmac_f32_e32 v18, v19, v7
	s_delay_alu instid0(VALU_DEP_1) | instskip(NEXT) | instid1(VALU_DEP_1)
	v_fma_f32 v6, -v6, v18, v17
	v_div_fmas_f32 v6, v6, v7, v18
	s_delay_alu instid0(VALU_DEP_1) | instskip(NEXT) | instid1(VALU_DEP_1)
	v_div_fixup_f32 v3, v6, v16, v3
	v_minmax_f32 v3, v3, s7, 0xc3e00000
	s_delay_alu instid0(VALU_DEP_1) | instskip(NEXT) | instid1(VALU_DEP_1)
	v_and_b32_e32 v6, 0x7fffffff, v3
	v_cmpx_gt_u32_e32 0x43f00000, v6
	s_cbranch_execz .LBB30_100
; %bb.95:                               ;   in Loop: Header=BB30_63 Depth=1
	s_mov_b32 s14, exec_lo
                                        ; implicit-def: $vgpr2
	v_cmpx_lt_u32_e32 0x3c7fffff, v6
	s_xor_b32 s14, exec_lo, s14
; %bb.96:                               ;   in Loop: Header=BB30_63 Depth=1
	v_bfe_u32 v2, v3, 20, 1
	s_delay_alu instid0(VALU_DEP_1) | instskip(NEXT) | instid1(VALU_DEP_1)
	v_add3_u32 v2, v3, v2, 0x407ffff
	v_lshrrev_b32_e32 v2, 20, v2
; %bb.97:                               ;   in Loop: Header=BB30_63 Depth=1
	s_and_not1_saveexec_b32 s14, s14
; %bb.98:                               ;   in Loop: Header=BB30_63 Depth=1
	v_add_f32_e64 v2, 0x46800000, |v3|
; %bb.99:                               ;   in Loop: Header=BB30_63 Depth=1
	s_or_b32 exec_lo, exec_lo, s14
.LBB30_100:                             ;   in Loop: Header=BB30_63 Depth=1
	s_delay_alu instid0(SALU_CYCLE_1) | instskip(SKIP_2) | instid1(VALU_DEP_1)
	s_or_b32 exec_lo, exec_lo, s13
	v_mul_f32_e32 v6, v28, v8
	s_mov_b32 s13, exec_lo
	v_mul_f32_e32 v4, v4, v6
	s_delay_alu instid0(VALU_DEP_1) | instskip(SKIP_1) | instid1(VALU_DEP_2)
	v_div_scale_f32 v6, null, v16, v16, v4
	v_div_scale_f32 v17, vcc_lo, v4, v16, v4
	v_rcp_f32_e32 v7, v6
	s_waitcnt_depctr 0xfff
	v_fma_f32 v8, -v6, v7, 1.0
	s_delay_alu instid0(VALU_DEP_1) | instskip(NEXT) | instid1(VALU_DEP_1)
	v_fmac_f32_e32 v7, v8, v7
	v_mul_f32_e32 v8, v17, v7
	s_delay_alu instid0(VALU_DEP_1) | instskip(NEXT) | instid1(VALU_DEP_1)
	v_fma_f32 v18, -v6, v8, v17
	v_fmac_f32_e32 v8, v18, v7
	s_delay_alu instid0(VALU_DEP_1) | instskip(NEXT) | instid1(VALU_DEP_1)
	v_fma_f32 v6, -v6, v8, v17
	v_div_fmas_f32 v6, v6, v7, v8
	s_delay_alu instid0(VALU_DEP_1) | instskip(SKIP_1) | instid1(VALU_DEP_2)
	v_div_fixup_f32 v4, v6, v16, v4
	v_mov_b32_e32 v6, 0x7f
	v_minmax_f32 v7, v4, s7, 0xc3e00000
	v_mov_b32_e32 v4, 0x7f
	s_delay_alu instid0(VALU_DEP_2) | instskip(NEXT) | instid1(VALU_DEP_1)
	v_and_b32_e32 v8, 0x7fffffff, v7
	v_cmpx_gt_u32_e32 0x43f00000, v8
	s_cbranch_execz .LBB30_106
; %bb.101:                              ;   in Loop: Header=BB30_63 Depth=1
	s_mov_b32 s14, exec_lo
                                        ; implicit-def: $vgpr6
	v_cmpx_lt_u32_e32 0x3c7fffff, v8
	s_xor_b32 s14, exec_lo, s14
; %bb.102:                              ;   in Loop: Header=BB30_63 Depth=1
	v_bfe_u32 v6, v7, 20, 1
	s_delay_alu instid0(VALU_DEP_1) | instskip(NEXT) | instid1(VALU_DEP_1)
	v_add3_u32 v6, v7, v6, 0x407ffff
	v_lshrrev_b32_e32 v6, 20, v6
; %bb.103:                              ;   in Loop: Header=BB30_63 Depth=1
	s_and_not1_saveexec_b32 s14, s14
; %bb.104:                              ;   in Loop: Header=BB30_63 Depth=1
	v_add_f32_e64 v6, 0x46800000, |v7|
; %bb.105:                              ;   in Loop: Header=BB30_63 Depth=1
	s_or_b32 exec_lo, exec_lo, s14
.LBB30_106:                             ;   in Loop: Header=BB30_63 Depth=1
	s_delay_alu instid0(SALU_CYCLE_1) | instskip(SKIP_2) | instid1(VALU_DEP_1)
	s_or_b32 exec_lo, exec_lo, s13
	v_mul_f32_e32 v8, v28, v9
	s_mov_b32 s13, exec_lo
	v_mul_f32_e32 v5, v5, v8
	s_delay_alu instid0(VALU_DEP_1) | instskip(NEXT) | instid1(VALU_DEP_1)
	v_div_scale_f32 v8, null, v16, v16, v5
	v_rcp_f32_e32 v9, v8
	s_waitcnt_depctr 0xfff
	v_fma_f32 v17, -v8, v9, 1.0
	s_delay_alu instid0(VALU_DEP_1) | instskip(SKIP_1) | instid1(VALU_DEP_1)
	v_fmac_f32_e32 v9, v17, v9
	v_div_scale_f32 v17, vcc_lo, v5, v16, v5
	v_mul_f32_e32 v18, v17, v9
	s_delay_alu instid0(VALU_DEP_1) | instskip(NEXT) | instid1(VALU_DEP_1)
	v_fma_f32 v19, -v8, v18, v17
	v_fmac_f32_e32 v18, v19, v9
	s_delay_alu instid0(VALU_DEP_1) | instskip(NEXT) | instid1(VALU_DEP_1)
	v_fma_f32 v8, -v8, v18, v17
	v_div_fmas_f32 v8, v8, v9, v18
	s_delay_alu instid0(VALU_DEP_1) | instskip(NEXT) | instid1(VALU_DEP_1)
	v_div_fixup_f32 v5, v8, v16, v5
	v_minmax_f32 v5, v5, s7, 0xc3e00000
	s_delay_alu instid0(VALU_DEP_1) | instskip(NEXT) | instid1(VALU_DEP_1)
	v_and_b32_e32 v8, 0x7fffffff, v5
	v_cmpx_gt_u32_e32 0x43f00000, v8
	s_cbranch_execz .LBB30_112
; %bb.107:                              ;   in Loop: Header=BB30_63 Depth=1
	s_mov_b32 s14, exec_lo
                                        ; implicit-def: $vgpr4
	v_cmpx_lt_u32_e32 0x3c7fffff, v8
	s_xor_b32 s14, exec_lo, s14
; %bb.108:                              ;   in Loop: Header=BB30_63 Depth=1
	v_bfe_u32 v4, v5, 20, 1
	s_delay_alu instid0(VALU_DEP_1) | instskip(NEXT) | instid1(VALU_DEP_1)
	v_add3_u32 v4, v5, v4, 0x407ffff
	v_lshrrev_b32_e32 v4, 20, v4
; %bb.109:                              ;   in Loop: Header=BB30_63 Depth=1
	s_and_not1_saveexec_b32 s14, s14
; %bb.110:                              ;   in Loop: Header=BB30_63 Depth=1
	v_add_f32_e64 v4, 0x46800000, |v5|
; %bb.111:                              ;   in Loop: Header=BB30_63 Depth=1
	s_or_b32 exec_lo, exec_lo, s14
.LBB30_112:                             ;   in Loop: Header=BB30_63 Depth=1
	s_delay_alu instid0(SALU_CYCLE_1)
	s_or_b32 exec_lo, exec_lo, s13
	v_lshrrev_b32_e32 v7, 24, v7
	v_lshrrev_b32_e32 v3, 24, v3
	;; [unrolled: 1-line block ×3, first 2 shown]
	v_lshlrev_b32_e32 v4, 24, v4
	v_and_b32_e32 v5, 0x80000000, v5
	v_and_b32_e32 v7, 0x80, v7
	;; [unrolled: 1-line block ×3, first 2 shown]
	s_mov_b32 s14, -1
	s_mov_b32 s13, exec_lo
	s_delay_alu instid0(VALU_DEP_2)
	v_and_or_b32 v6, 0xff, v6, v7
	v_and_b32_e32 v7, 0xff, v12
	v_and_or_b32 v9, 0xff, v2, v3
	v_lshlrev_b64 v[2:3], 2, v[10:11]
	v_add_nc_u32_e32 v11, s3, v0
	v_lshlrev_b32_e32 v6, 16, v6
	v_and_or_b32 v7, 0x80, v8, v7
	v_lshlrev_b32_e32 v8, 8, v9
	v_add_co_u32 v2, vcc_lo, s0, v2
	s_delay_alu instid0(VALU_DEP_4) | instskip(SKIP_1) | instid1(VALU_DEP_2)
	v_or3_b32 v4, v5, v4, v6
	v_add_co_ci_u32_e32 v3, vcc_lo, s1, v3, vcc_lo
	v_or3_b32 v4, v4, v8, v7
	global_store_b32 v[2:3], v4, off
	v_cmpx_gt_u32_e64 s8, v11
	s_cbranch_execz .LBB30_61
; %bb.113:                              ;   in Loop: Header=BB30_63 Depth=1
	v_bfe_u32 v8, v11, 4, 26
	v_mov_b32_e32 v12, v1
	s_mov_b32 s14, exec_lo
	s_delay_alu instid0(VALU_DEP_2) | instskip(NEXT) | instid1(VALU_DEP_2)
	v_mad_u64_u32 v[2:3], null, v13, v8, 0
	v_lshlrev_b64 v[4:5], 4, v[11:12]
	s_delay_alu instid0(VALU_DEP_1) | instskip(NEXT) | instid1(VALU_DEP_3)
	v_add_co_u32 v6, vcc_lo, s28, v4
	v_mad_u64_u32 v[15:16], null, v14, v8, v[3:4]
	s_delay_alu instid0(VALU_DEP_3) | instskip(SKIP_2) | instid1(VALU_DEP_4)
	v_add_co_ci_u32_e32 v7, vcc_lo, s29, v5, vcc_lo
	v_add_co_u32 v22, vcc_lo, s30, v4
	v_add_co_ci_u32_e32 v23, vcc_lo, s31, v5, vcc_lo
	v_mov_b32_e32 v3, v15
	global_load_b128 v[6:9], v[6:7], off
	global_load_b128 v[18:21], v[22:23], off
	v_add_co_u32 v4, vcc_lo, s10, v4
	v_lshlrev_b64 v[15:16], 2, v[2:3]
	v_add_co_ci_u32_e32 v5, vcc_lo, s11, v5, vcc_lo
	global_load_b128 v[2:5], v[4:5], off
	v_add_co_u32 v15, vcc_lo, s4, v15
	v_add_co_ci_u32_e32 v16, vcc_lo, s5, v16, vcc_lo
	global_load_b32 v17, v[15:16], off
	s_waitcnt vmcnt(2)
	v_dual_add_f32 v6, v6, v18 :: v_dual_add_f32 v7, v7, v19
	v_dual_add_f32 v8, v8, v20 :: v_dual_add_f32 v9, v9, v21
	s_delay_alu instid0(VALU_DEP_2) | instskip(SKIP_4) | instid1(VALU_DEP_1)
	v_mul_f32_e32 v15, v28, v6
	global_store_b128 v[22:23], v[6:9], off
	s_waitcnt vmcnt(1)
	v_mul_f32_e32 v2, v2, v15
	s_waitcnt vmcnt(0)
	v_div_scale_f32 v15, null, v17, v17, v2
	v_div_scale_f32 v24, vcc_lo, v2, v17, v2
	s_delay_alu instid0(VALU_DEP_2) | instskip(SKIP_2) | instid1(VALU_DEP_1)
	v_rcp_f32_e32 v16, v15
	s_waitcnt_depctr 0xfff
	v_fma_f32 v18, -v15, v16, 1.0
	v_fmac_f32_e32 v16, v18, v16
	s_delay_alu instid0(VALU_DEP_1) | instskip(NEXT) | instid1(VALU_DEP_1)
	v_mul_f32_e32 v18, v24, v16
	v_fma_f32 v25, -v15, v18, v24
	s_delay_alu instid0(VALU_DEP_1) | instskip(NEXT) | instid1(VALU_DEP_1)
	v_fmac_f32_e32 v18, v25, v16
	v_fma_f32 v15, -v15, v18, v24
	s_delay_alu instid0(VALU_DEP_1) | instskip(NEXT) | instid1(VALU_DEP_1)
	v_div_fmas_f32 v15, v15, v16, v18
	v_div_fixup_f32 v2, v15, v17, v2
	v_mov_b32_e32 v15, 0x7f
	s_delay_alu instid0(VALU_DEP_2) | instskip(SKIP_1) | instid1(VALU_DEP_2)
	v_minmax_f32 v16, v2, s7, 0xc3e00000
	v_mov_b32_e32 v2, 0x7f
	v_and_b32_e32 v18, 0x7fffffff, v16
	s_delay_alu instid0(VALU_DEP_1)
	v_cmpx_gt_u32_e32 0x43f00000, v18
	s_cbranch_execz .LBB30_119
; %bb.114:                              ;   in Loop: Header=BB30_63 Depth=1
	s_mov_b32 s15, exec_lo
                                        ; implicit-def: $vgpr15
	v_cmpx_lt_u32_e32 0x3c7fffff, v18
	s_xor_b32 s15, exec_lo, s15
; %bb.115:                              ;   in Loop: Header=BB30_63 Depth=1
	v_bfe_u32 v6, v16, 20, 1
	s_delay_alu instid0(VALU_DEP_1) | instskip(NEXT) | instid1(VALU_DEP_1)
	v_add3_u32 v6, v16, v6, 0x407ffff
	v_lshrrev_b32_e32 v15, 20, v6
; %bb.116:                              ;   in Loop: Header=BB30_63 Depth=1
	s_and_not1_saveexec_b32 s15, s15
; %bb.117:                              ;   in Loop: Header=BB30_63 Depth=1
	v_add_f32_e64 v15, 0x46800000, |v16|
; %bb.118:                              ;   in Loop: Header=BB30_63 Depth=1
	s_or_b32 exec_lo, exec_lo, s15
.LBB30_119:                             ;   in Loop: Header=BB30_63 Depth=1
	s_delay_alu instid0(SALU_CYCLE_1) | instskip(SKIP_2) | instid1(VALU_DEP_1)
	s_or_b32 exec_lo, exec_lo, s14
	v_mul_f32_e32 v6, v28, v7
	s_mov_b32 s14, exec_lo
	v_mul_f32_e32 v3, v3, v6
	s_delay_alu instid0(VALU_DEP_1) | instskip(NEXT) | instid1(VALU_DEP_1)
	v_div_scale_f32 v6, null, v17, v17, v3
	v_rcp_f32_e32 v7, v6
	s_waitcnt_depctr 0xfff
	v_fma_f32 v18, -v6, v7, 1.0
	s_delay_alu instid0(VALU_DEP_1) | instskip(SKIP_1) | instid1(VALU_DEP_1)
	v_fmac_f32_e32 v7, v18, v7
	v_div_scale_f32 v18, vcc_lo, v3, v17, v3
	v_mul_f32_e32 v19, v18, v7
	s_delay_alu instid0(VALU_DEP_1) | instskip(NEXT) | instid1(VALU_DEP_1)
	v_fma_f32 v20, -v6, v19, v18
	v_fmac_f32_e32 v19, v20, v7
	s_delay_alu instid0(VALU_DEP_1) | instskip(NEXT) | instid1(VALU_DEP_1)
	v_fma_f32 v6, -v6, v19, v18
	v_div_fmas_f32 v6, v6, v7, v19
	s_delay_alu instid0(VALU_DEP_1) | instskip(NEXT) | instid1(VALU_DEP_1)
	v_div_fixup_f32 v3, v6, v17, v3
	v_minmax_f32 v3, v3, s7, 0xc3e00000
	s_delay_alu instid0(VALU_DEP_1) | instskip(NEXT) | instid1(VALU_DEP_1)
	v_and_b32_e32 v6, 0x7fffffff, v3
	v_cmpx_gt_u32_e32 0x43f00000, v6
	s_cbranch_execz .LBB30_125
; %bb.120:                              ;   in Loop: Header=BB30_63 Depth=1
	s_mov_b32 s15, exec_lo
                                        ; implicit-def: $vgpr2
	v_cmpx_lt_u32_e32 0x3c7fffff, v6
	s_xor_b32 s15, exec_lo, s15
; %bb.121:                              ;   in Loop: Header=BB30_63 Depth=1
	v_bfe_u32 v2, v3, 20, 1
	s_delay_alu instid0(VALU_DEP_1) | instskip(NEXT) | instid1(VALU_DEP_1)
	v_add3_u32 v2, v3, v2, 0x407ffff
	v_lshrrev_b32_e32 v2, 20, v2
; %bb.122:                              ;   in Loop: Header=BB30_63 Depth=1
	s_and_not1_saveexec_b32 s15, s15
; %bb.123:                              ;   in Loop: Header=BB30_63 Depth=1
	v_add_f32_e64 v2, 0x46800000, |v3|
; %bb.124:                              ;   in Loop: Header=BB30_63 Depth=1
	s_or_b32 exec_lo, exec_lo, s15
.LBB30_125:                             ;   in Loop: Header=BB30_63 Depth=1
	s_delay_alu instid0(SALU_CYCLE_1) | instskip(SKIP_2) | instid1(VALU_DEP_1)
	s_or_b32 exec_lo, exec_lo, s14
	v_mul_f32_e32 v6, v28, v8
	s_mov_b32 s14, exec_lo
	v_mul_f32_e32 v4, v4, v6
	s_delay_alu instid0(VALU_DEP_1) | instskip(SKIP_1) | instid1(VALU_DEP_2)
	v_div_scale_f32 v6, null, v17, v17, v4
	v_div_scale_f32 v18, vcc_lo, v4, v17, v4
	v_rcp_f32_e32 v7, v6
	s_waitcnt_depctr 0xfff
	v_fma_f32 v8, -v6, v7, 1.0
	s_delay_alu instid0(VALU_DEP_1) | instskip(NEXT) | instid1(VALU_DEP_1)
	v_fmac_f32_e32 v7, v8, v7
	v_mul_f32_e32 v8, v18, v7
	s_delay_alu instid0(VALU_DEP_1) | instskip(NEXT) | instid1(VALU_DEP_1)
	v_fma_f32 v19, -v6, v8, v18
	v_fmac_f32_e32 v8, v19, v7
	s_delay_alu instid0(VALU_DEP_1) | instskip(NEXT) | instid1(VALU_DEP_1)
	v_fma_f32 v6, -v6, v8, v18
	v_div_fmas_f32 v6, v6, v7, v8
	s_delay_alu instid0(VALU_DEP_1) | instskip(SKIP_1) | instid1(VALU_DEP_2)
	v_div_fixup_f32 v4, v6, v17, v4
	v_mov_b32_e32 v6, 0x7f
	v_minmax_f32 v7, v4, s7, 0xc3e00000
	v_mov_b32_e32 v4, 0x7f
	s_delay_alu instid0(VALU_DEP_2) | instskip(NEXT) | instid1(VALU_DEP_1)
	v_and_b32_e32 v8, 0x7fffffff, v7
	v_cmpx_gt_u32_e32 0x43f00000, v8
	s_cbranch_execz .LBB30_131
; %bb.126:                              ;   in Loop: Header=BB30_63 Depth=1
	s_mov_b32 s15, exec_lo
                                        ; implicit-def: $vgpr6
	v_cmpx_lt_u32_e32 0x3c7fffff, v8
	s_xor_b32 s15, exec_lo, s15
; %bb.127:                              ;   in Loop: Header=BB30_63 Depth=1
	v_bfe_u32 v6, v7, 20, 1
	s_delay_alu instid0(VALU_DEP_1) | instskip(NEXT) | instid1(VALU_DEP_1)
	v_add3_u32 v6, v7, v6, 0x407ffff
	v_lshrrev_b32_e32 v6, 20, v6
; %bb.128:                              ;   in Loop: Header=BB30_63 Depth=1
	s_and_not1_saveexec_b32 s15, s15
; %bb.129:                              ;   in Loop: Header=BB30_63 Depth=1
	v_add_f32_e64 v6, 0x46800000, |v7|
; %bb.130:                              ;   in Loop: Header=BB30_63 Depth=1
	s_or_b32 exec_lo, exec_lo, s15
.LBB30_131:                             ;   in Loop: Header=BB30_63 Depth=1
	s_delay_alu instid0(SALU_CYCLE_1) | instskip(SKIP_2) | instid1(VALU_DEP_1)
	s_or_b32 exec_lo, exec_lo, s14
	v_mul_f32_e32 v8, v28, v9
	s_mov_b32 s14, exec_lo
	v_mul_f32_e32 v5, v5, v8
	s_delay_alu instid0(VALU_DEP_1) | instskip(NEXT) | instid1(VALU_DEP_1)
	v_div_scale_f32 v8, null, v17, v17, v5
	v_rcp_f32_e32 v9, v8
	s_waitcnt_depctr 0xfff
	v_fma_f32 v18, -v8, v9, 1.0
	s_delay_alu instid0(VALU_DEP_1) | instskip(SKIP_1) | instid1(VALU_DEP_1)
	v_fmac_f32_e32 v9, v18, v9
	v_div_scale_f32 v18, vcc_lo, v5, v17, v5
	v_mul_f32_e32 v19, v18, v9
	s_delay_alu instid0(VALU_DEP_1) | instskip(NEXT) | instid1(VALU_DEP_1)
	v_fma_f32 v20, -v8, v19, v18
	v_fmac_f32_e32 v19, v20, v9
	s_delay_alu instid0(VALU_DEP_1) | instskip(NEXT) | instid1(VALU_DEP_1)
	v_fma_f32 v8, -v8, v19, v18
	v_div_fmas_f32 v8, v8, v9, v19
	s_delay_alu instid0(VALU_DEP_1) | instskip(NEXT) | instid1(VALU_DEP_1)
	v_div_fixup_f32 v5, v8, v17, v5
	v_minmax_f32 v5, v5, s7, 0xc3e00000
	s_delay_alu instid0(VALU_DEP_1) | instskip(NEXT) | instid1(VALU_DEP_1)
	v_and_b32_e32 v8, 0x7fffffff, v5
	v_cmpx_gt_u32_e32 0x43f00000, v8
	s_cbranch_execz .LBB30_137
; %bb.132:                              ;   in Loop: Header=BB30_63 Depth=1
	s_mov_b32 s15, exec_lo
                                        ; implicit-def: $vgpr4
	v_cmpx_lt_u32_e32 0x3c7fffff, v8
	s_xor_b32 s15, exec_lo, s15
; %bb.133:                              ;   in Loop: Header=BB30_63 Depth=1
	v_bfe_u32 v4, v5, 20, 1
	s_delay_alu instid0(VALU_DEP_1) | instskip(NEXT) | instid1(VALU_DEP_1)
	v_add3_u32 v4, v5, v4, 0x407ffff
	v_lshrrev_b32_e32 v4, 20, v4
; %bb.134:                              ;   in Loop: Header=BB30_63 Depth=1
	s_and_not1_saveexec_b32 s15, s15
; %bb.135:                              ;   in Loop: Header=BB30_63 Depth=1
	v_add_f32_e64 v4, 0x46800000, |v5|
; %bb.136:                              ;   in Loop: Header=BB30_63 Depth=1
	s_or_b32 exec_lo, exec_lo, s15
.LBB30_137:                             ;   in Loop: Header=BB30_63 Depth=1
	s_delay_alu instid0(SALU_CYCLE_1)
	s_or_b32 exec_lo, exec_lo, s14
	v_lshrrev_b32_e32 v7, 24, v7
	v_lshrrev_b32_e32 v3, 24, v3
	v_lshrrev_b32_e32 v8, 24, v16
	v_lshlrev_b32_e32 v4, 24, v4
	v_and_b32_e32 v5, 0x80000000, v5
	v_and_b32_e32 v7, 0x80, v7
	;; [unrolled: 1-line block ×3, first 2 shown]
	v_add_nc_u32_e32 v0, s2, v0
	s_mov_b32 s15, -1
	s_mov_b32 s14, exec_lo
	v_and_or_b32 v6, 0xff, v6, v7
	v_and_b32_e32 v7, 0xff, v15
	v_and_or_b32 v9, 0xff, v2, v3
	v_lshlrev_b64 v[2:3], 2, v[11:12]
	s_delay_alu instid0(VALU_DEP_4) | instskip(NEXT) | instid1(VALU_DEP_4)
	v_lshlrev_b32_e32 v6, 16, v6
	v_and_or_b32 v7, 0x80, v8, v7
	s_delay_alu instid0(VALU_DEP_4) | instskip(NEXT) | instid1(VALU_DEP_4)
	v_lshlrev_b32_e32 v8, 8, v9
	v_add_co_u32 v2, vcc_lo, s0, v2
	s_delay_alu instid0(VALU_DEP_4) | instskip(SKIP_1) | instid1(VALU_DEP_2)
	v_or3_b32 v4, v5, v4, v6
	v_add_co_ci_u32_e32 v3, vcc_lo, s1, v3, vcc_lo
	v_or3_b32 v4, v4, v8, v7
	global_store_b32 v[2:3], v4, off
	v_cmpx_gt_u32_e64 s8, v0
	s_cbranch_execz .LBB30_60
; %bb.138:                              ;   in Loop: Header=BB30_63 Depth=1
	v_lshlrev_b64 v[4:5], 4, v[0:1]
	v_bfe_u32 v8, v0, 4, 26
	s_mov_b32 s15, exec_lo
	s_delay_alu instid0(VALU_DEP_1) | instskip(NEXT) | instid1(VALU_DEP_3)
	v_mad_u64_u32 v[2:3], null, v13, v8, 0
	v_add_co_u32 v6, vcc_lo, s28, v4
	s_delay_alu instid0(VALU_DEP_4)
	v_add_co_ci_u32_e32 v7, vcc_lo, s29, v5, vcc_lo
	v_add_co_u32 v20, vcc_lo, s30, v4
	v_add_co_ci_u32_e32 v21, vcc_lo, s31, v5, vcc_lo
	v_mad_u64_u32 v[11:12], null, v14, v8, v[3:4]
	global_load_b128 v[6:9], v[6:7], off
	global_load_b128 v[16:19], v[20:21], off
	v_add_co_u32 v4, vcc_lo, s10, v4
	v_add_co_ci_u32_e32 v5, vcc_lo, s11, v5, vcc_lo
	s_waitcnt vmcnt(0)
	v_dual_mov_b32 v3, v11 :: v_dual_add_f32 v6, v6, v16
	s_delay_alu instid0(VALU_DEP_1)
	v_lshlrev_b64 v[11:12], 2, v[2:3]
	global_load_b128 v[2:5], v[4:5], off
	v_dual_add_f32 v8, v8, v18 :: v_dual_add_f32 v7, v7, v17
	v_add_f32_e32 v9, v9, v19
	v_add_co_u32 v11, vcc_lo, s4, v11
	v_add_co_ci_u32_e32 v12, vcc_lo, s5, v12, vcc_lo
	global_store_b128 v[20:21], v[6:9], off
	global_load_b32 v15, v[11:12], off
	v_mul_f32_e32 v11, v28, v6
	s_waitcnt vmcnt(1)
	s_delay_alu instid0(VALU_DEP_1) | instskip(SKIP_1) | instid1(VALU_DEP_1)
	v_mul_f32_e32 v2, v2, v11
	s_waitcnt vmcnt(0)
	v_div_scale_f32 v11, null, v15, v15, v2
	v_div_scale_f32 v22, vcc_lo, v2, v15, v2
	s_delay_alu instid0(VALU_DEP_2) | instskip(SKIP_2) | instid1(VALU_DEP_1)
	v_rcp_f32_e32 v12, v11
	s_waitcnt_depctr 0xfff
	v_fma_f32 v16, -v11, v12, 1.0
	v_fmac_f32_e32 v12, v16, v12
	s_delay_alu instid0(VALU_DEP_1) | instskip(NEXT) | instid1(VALU_DEP_1)
	v_mul_f32_e32 v16, v22, v12
	v_fma_f32 v23, -v11, v16, v22
	s_delay_alu instid0(VALU_DEP_1) | instskip(NEXT) | instid1(VALU_DEP_1)
	v_fmac_f32_e32 v16, v23, v12
	v_fma_f32 v11, -v11, v16, v22
	s_delay_alu instid0(VALU_DEP_1) | instskip(NEXT) | instid1(VALU_DEP_1)
	v_div_fmas_f32 v11, v11, v12, v16
	v_div_fixup_f32 v2, v11, v15, v2
	v_mov_b32_e32 v11, 0x7f
	s_delay_alu instid0(VALU_DEP_2) | instskip(SKIP_1) | instid1(VALU_DEP_2)
	v_minmax_f32 v12, v2, s7, 0xc3e00000
	v_mov_b32_e32 v2, 0x7f
	v_and_b32_e32 v16, 0x7fffffff, v12
	s_delay_alu instid0(VALU_DEP_1)
	v_cmpx_gt_u32_e32 0x43f00000, v16
	s_cbranch_execz .LBB30_144
; %bb.139:                              ;   in Loop: Header=BB30_63 Depth=1
	s_mov_b32 s16, exec_lo
                                        ; implicit-def: $vgpr11
	v_cmpx_lt_u32_e32 0x3c7fffff, v16
	s_xor_b32 s16, exec_lo, s16
; %bb.140:                              ;   in Loop: Header=BB30_63 Depth=1
	v_bfe_u32 v6, v12, 20, 1
	s_delay_alu instid0(VALU_DEP_1) | instskip(NEXT) | instid1(VALU_DEP_1)
	v_add3_u32 v6, v12, v6, 0x407ffff
	v_lshrrev_b32_e32 v11, 20, v6
; %bb.141:                              ;   in Loop: Header=BB30_63 Depth=1
	s_and_not1_saveexec_b32 s16, s16
; %bb.142:                              ;   in Loop: Header=BB30_63 Depth=1
	v_add_f32_e64 v11, 0x46800000, |v12|
; %bb.143:                              ;   in Loop: Header=BB30_63 Depth=1
	s_or_b32 exec_lo, exec_lo, s16
.LBB30_144:                             ;   in Loop: Header=BB30_63 Depth=1
	s_delay_alu instid0(SALU_CYCLE_1) | instskip(SKIP_2) | instid1(VALU_DEP_1)
	s_or_b32 exec_lo, exec_lo, s15
	v_mul_f32_e32 v6, v28, v7
	s_mov_b32 s15, exec_lo
	v_mul_f32_e32 v3, v3, v6
	s_delay_alu instid0(VALU_DEP_1) | instskip(NEXT) | instid1(VALU_DEP_1)
	v_div_scale_f32 v6, null, v15, v15, v3
	v_rcp_f32_e32 v7, v6
	s_waitcnt_depctr 0xfff
	v_fma_f32 v16, -v6, v7, 1.0
	s_delay_alu instid0(VALU_DEP_1) | instskip(SKIP_1) | instid1(VALU_DEP_1)
	v_fmac_f32_e32 v7, v16, v7
	v_div_scale_f32 v16, vcc_lo, v3, v15, v3
	v_mul_f32_e32 v17, v16, v7
	s_delay_alu instid0(VALU_DEP_1) | instskip(NEXT) | instid1(VALU_DEP_1)
	v_fma_f32 v18, -v6, v17, v16
	v_fmac_f32_e32 v17, v18, v7
	s_delay_alu instid0(VALU_DEP_1) | instskip(NEXT) | instid1(VALU_DEP_1)
	v_fma_f32 v6, -v6, v17, v16
	v_div_fmas_f32 v6, v6, v7, v17
	s_delay_alu instid0(VALU_DEP_1) | instskip(NEXT) | instid1(VALU_DEP_1)
	v_div_fixup_f32 v3, v6, v15, v3
	v_minmax_f32 v3, v3, s7, 0xc3e00000
	s_delay_alu instid0(VALU_DEP_1) | instskip(NEXT) | instid1(VALU_DEP_1)
	v_and_b32_e32 v6, 0x7fffffff, v3
	v_cmpx_gt_u32_e32 0x43f00000, v6
	s_cbranch_execz .LBB30_150
; %bb.145:                              ;   in Loop: Header=BB30_63 Depth=1
	s_mov_b32 s16, exec_lo
                                        ; implicit-def: $vgpr2
	v_cmpx_lt_u32_e32 0x3c7fffff, v6
	s_xor_b32 s16, exec_lo, s16
; %bb.146:                              ;   in Loop: Header=BB30_63 Depth=1
	v_bfe_u32 v2, v3, 20, 1
	s_delay_alu instid0(VALU_DEP_1) | instskip(NEXT) | instid1(VALU_DEP_1)
	v_add3_u32 v2, v3, v2, 0x407ffff
	v_lshrrev_b32_e32 v2, 20, v2
; %bb.147:                              ;   in Loop: Header=BB30_63 Depth=1
	s_and_not1_saveexec_b32 s16, s16
; %bb.148:                              ;   in Loop: Header=BB30_63 Depth=1
	v_add_f32_e64 v2, 0x46800000, |v3|
; %bb.149:                              ;   in Loop: Header=BB30_63 Depth=1
	s_or_b32 exec_lo, exec_lo, s16
.LBB30_150:                             ;   in Loop: Header=BB30_63 Depth=1
	s_delay_alu instid0(SALU_CYCLE_1) | instskip(SKIP_2) | instid1(VALU_DEP_1)
	s_or_b32 exec_lo, exec_lo, s15
	v_mul_f32_e32 v6, v28, v8
	s_mov_b32 s15, exec_lo
	v_mul_f32_e32 v4, v4, v6
	s_delay_alu instid0(VALU_DEP_1) | instskip(SKIP_1) | instid1(VALU_DEP_2)
	v_div_scale_f32 v6, null, v15, v15, v4
	v_div_scale_f32 v16, vcc_lo, v4, v15, v4
	v_rcp_f32_e32 v7, v6
	s_waitcnt_depctr 0xfff
	v_fma_f32 v8, -v6, v7, 1.0
	s_delay_alu instid0(VALU_DEP_1) | instskip(NEXT) | instid1(VALU_DEP_1)
	v_fmac_f32_e32 v7, v8, v7
	v_mul_f32_e32 v8, v16, v7
	s_delay_alu instid0(VALU_DEP_1) | instskip(NEXT) | instid1(VALU_DEP_1)
	v_fma_f32 v17, -v6, v8, v16
	v_fmac_f32_e32 v8, v17, v7
	s_delay_alu instid0(VALU_DEP_1) | instskip(NEXT) | instid1(VALU_DEP_1)
	v_fma_f32 v6, -v6, v8, v16
	v_div_fmas_f32 v6, v6, v7, v8
	s_delay_alu instid0(VALU_DEP_1) | instskip(SKIP_1) | instid1(VALU_DEP_2)
	v_div_fixup_f32 v4, v6, v15, v4
	v_mov_b32_e32 v6, 0x7f
	v_minmax_f32 v7, v4, s7, 0xc3e00000
	v_mov_b32_e32 v4, 0x7f
	s_delay_alu instid0(VALU_DEP_2) | instskip(NEXT) | instid1(VALU_DEP_1)
	v_and_b32_e32 v8, 0x7fffffff, v7
	v_cmpx_gt_u32_e32 0x43f00000, v8
	s_cbranch_execz .LBB30_156
; %bb.151:                              ;   in Loop: Header=BB30_63 Depth=1
	s_mov_b32 s16, exec_lo
                                        ; implicit-def: $vgpr6
	v_cmpx_lt_u32_e32 0x3c7fffff, v8
	s_xor_b32 s16, exec_lo, s16
; %bb.152:                              ;   in Loop: Header=BB30_63 Depth=1
	v_bfe_u32 v6, v7, 20, 1
	s_delay_alu instid0(VALU_DEP_1) | instskip(NEXT) | instid1(VALU_DEP_1)
	v_add3_u32 v6, v7, v6, 0x407ffff
	v_lshrrev_b32_e32 v6, 20, v6
; %bb.153:                              ;   in Loop: Header=BB30_63 Depth=1
	s_and_not1_saveexec_b32 s16, s16
; %bb.154:                              ;   in Loop: Header=BB30_63 Depth=1
	v_add_f32_e64 v6, 0x46800000, |v7|
; %bb.155:                              ;   in Loop: Header=BB30_63 Depth=1
	s_or_b32 exec_lo, exec_lo, s16
.LBB30_156:                             ;   in Loop: Header=BB30_63 Depth=1
	s_delay_alu instid0(SALU_CYCLE_1) | instskip(SKIP_2) | instid1(VALU_DEP_1)
	s_or_b32 exec_lo, exec_lo, s15
	v_mul_f32_e32 v8, v28, v9
	s_mov_b32 s15, exec_lo
	v_mul_f32_e32 v5, v5, v8
	s_delay_alu instid0(VALU_DEP_1) | instskip(NEXT) | instid1(VALU_DEP_1)
	v_div_scale_f32 v8, null, v15, v15, v5
	v_rcp_f32_e32 v9, v8
	s_waitcnt_depctr 0xfff
	v_fma_f32 v16, -v8, v9, 1.0
	s_delay_alu instid0(VALU_DEP_1) | instskip(SKIP_1) | instid1(VALU_DEP_1)
	v_fmac_f32_e32 v9, v16, v9
	v_div_scale_f32 v16, vcc_lo, v5, v15, v5
	v_mul_f32_e32 v17, v16, v9
	s_delay_alu instid0(VALU_DEP_1) | instskip(NEXT) | instid1(VALU_DEP_1)
	v_fma_f32 v18, -v8, v17, v16
	v_fmac_f32_e32 v17, v18, v9
	s_delay_alu instid0(VALU_DEP_1) | instskip(NEXT) | instid1(VALU_DEP_1)
	v_fma_f32 v8, -v8, v17, v16
	v_div_fmas_f32 v8, v8, v9, v17
	s_delay_alu instid0(VALU_DEP_1) | instskip(NEXT) | instid1(VALU_DEP_1)
	v_div_fixup_f32 v5, v8, v15, v5
	v_minmax_f32 v5, v5, s7, 0xc3e00000
	s_delay_alu instid0(VALU_DEP_1) | instskip(NEXT) | instid1(VALU_DEP_1)
	v_and_b32_e32 v8, 0x7fffffff, v5
	v_cmpx_gt_u32_e32 0x43f00000, v8
	s_cbranch_execz .LBB30_59
; %bb.157:                              ;   in Loop: Header=BB30_63 Depth=1
	s_mov_b32 s16, exec_lo
                                        ; implicit-def: $vgpr4
	v_cmpx_lt_u32_e32 0x3c7fffff, v8
	s_xor_b32 s16, exec_lo, s16
; %bb.158:                              ;   in Loop: Header=BB30_63 Depth=1
	v_bfe_u32 v4, v5, 20, 1
	s_delay_alu instid0(VALU_DEP_1) | instskip(NEXT) | instid1(VALU_DEP_1)
	v_add3_u32 v4, v5, v4, 0x407ffff
	v_lshrrev_b32_e32 v4, 20, v4
; %bb.159:                              ;   in Loop: Header=BB30_63 Depth=1
	s_and_not1_saveexec_b32 s16, s16
	s_cbranch_execz .LBB30_58
; %bb.160:                              ;   in Loop: Header=BB30_63 Depth=1
	v_add_f32_e64 v4, 0x46800000, |v5|
	s_branch .LBB30_58
.LBB30_161:
	s_nop 0
	s_sendmsg sendmsg(MSG_DEALLOC_VGPRS)
	s_endpgm
.LBB30_162:
                                        ; implicit-def: $vgpr3_vgpr4
	s_branch .LBB30_51
.LBB30_163:
                                        ; implicit-def: $vgpr1_vgpr2
	s_branch .LBB30_56
	.section	.rodata,"a",@progbits
	.p2align	6, 0x0
	.amdhsa_kernel _ZN4vllm31rms_norm_per_block_quant_kernelIfN3c1013Float8_e4m3fnELb1ELb1ELi64EEEvPT0_PfPKT_S8_PKffiiPS6_l
		.amdhsa_group_segment_fixed_size 4228
		.amdhsa_private_segment_fixed_size 0
		.amdhsa_kernarg_size 328
		.amdhsa_user_sgpr_count 15
		.amdhsa_user_sgpr_dispatch_ptr 0
		.amdhsa_user_sgpr_queue_ptr 0
		.amdhsa_user_sgpr_kernarg_segment_ptr 1
		.amdhsa_user_sgpr_dispatch_id 0
		.amdhsa_user_sgpr_private_segment_size 0
		.amdhsa_wavefront_size32 1
		.amdhsa_uses_dynamic_stack 0
		.amdhsa_enable_private_segment 0
		.amdhsa_system_sgpr_workgroup_id_x 1
		.amdhsa_system_sgpr_workgroup_id_y 0
		.amdhsa_system_sgpr_workgroup_id_z 0
		.amdhsa_system_sgpr_workgroup_info 0
		.amdhsa_system_vgpr_workitem_id 0
		.amdhsa_next_free_vgpr 37
		.amdhsa_next_free_sgpr 42
		.amdhsa_reserve_vcc 1
		.amdhsa_float_round_mode_32 0
		.amdhsa_float_round_mode_16_64 0
		.amdhsa_float_denorm_mode_32 3
		.amdhsa_float_denorm_mode_16_64 3
		.amdhsa_dx10_clamp 1
		.amdhsa_ieee_mode 1
		.amdhsa_fp16_overflow 0
		.amdhsa_workgroup_processor_mode 1
		.amdhsa_memory_ordered 1
		.amdhsa_forward_progress 0
		.amdhsa_shared_vgpr_count 0
		.amdhsa_exception_fp_ieee_invalid_op 0
		.amdhsa_exception_fp_denorm_src 0
		.amdhsa_exception_fp_ieee_div_zero 0
		.amdhsa_exception_fp_ieee_overflow 0
		.amdhsa_exception_fp_ieee_underflow 0
		.amdhsa_exception_fp_ieee_inexact 0
		.amdhsa_exception_int_div_zero 0
	.end_amdhsa_kernel
	.section	.text._ZN4vllm31rms_norm_per_block_quant_kernelIfN3c1013Float8_e4m3fnELb1ELb1ELi64EEEvPT0_PfPKT_S8_PKffiiPS6_l,"axG",@progbits,_ZN4vllm31rms_norm_per_block_quant_kernelIfN3c1013Float8_e4m3fnELb1ELb1ELi64EEEvPT0_PfPKT_S8_PKffiiPS6_l,comdat
.Lfunc_end30:
	.size	_ZN4vllm31rms_norm_per_block_quant_kernelIfN3c1013Float8_e4m3fnELb1ELb1ELi64EEEvPT0_PfPKT_S8_PKffiiPS6_l, .Lfunc_end30-_ZN4vllm31rms_norm_per_block_quant_kernelIfN3c1013Float8_e4m3fnELb1ELb1ELi64EEEvPT0_PfPKT_S8_PKffiiPS6_l
                                        ; -- End function
	.section	.AMDGPU.csdata,"",@progbits
; Kernel info:
; codeLenInByte = 11132
; NumSgprs: 44
; NumVgprs: 37
; ScratchSize: 0
; MemoryBound: 0
; FloatMode: 240
; IeeeMode: 1
; LDSByteSize: 4228 bytes/workgroup (compile time only)
; SGPRBlocks: 5
; VGPRBlocks: 4
; NumSGPRsForWavesPerEU: 44
; NumVGPRsForWavesPerEU: 37
; Occupancy: 16
; WaveLimiterHint : 0
; COMPUTE_PGM_RSRC2:SCRATCH_EN: 0
; COMPUTE_PGM_RSRC2:USER_SGPR: 15
; COMPUTE_PGM_RSRC2:TRAP_HANDLER: 0
; COMPUTE_PGM_RSRC2:TGID_X_EN: 1
; COMPUTE_PGM_RSRC2:TGID_Y_EN: 0
; COMPUTE_PGM_RSRC2:TGID_Z_EN: 0
; COMPUTE_PGM_RSRC2:TIDIG_COMP_CNT: 0
	.section	.text._ZN4vllm31rms_norm_per_block_quant_kernelIfN3c1015Float8_e4m3fnuzELb1ELb1ELi64EEEvPT0_PfPKT_S8_PKffiiPS6_l,"axG",@progbits,_ZN4vllm31rms_norm_per_block_quant_kernelIfN3c1015Float8_e4m3fnuzELb1ELb1ELi64EEEvPT0_PfPKT_S8_PKffiiPS6_l,comdat
	.protected	_ZN4vllm31rms_norm_per_block_quant_kernelIfN3c1015Float8_e4m3fnuzELb1ELb1ELi64EEEvPT0_PfPKT_S8_PKffiiPS6_l ; -- Begin function _ZN4vllm31rms_norm_per_block_quant_kernelIfN3c1015Float8_e4m3fnuzELb1ELb1ELi64EEEvPT0_PfPKT_S8_PKffiiPS6_l
	.globl	_ZN4vllm31rms_norm_per_block_quant_kernelIfN3c1015Float8_e4m3fnuzELb1ELb1ELi64EEEvPT0_PfPKT_S8_PKffiiPS6_l
	.p2align	8
	.type	_ZN4vllm31rms_norm_per_block_quant_kernelIfN3c1015Float8_e4m3fnuzELb1ELb1ELi64EEEvPT0_PfPKT_S8_PKffiiPS6_l,@function
_ZN4vllm31rms_norm_per_block_quant_kernelIfN3c1015Float8_e4m3fnuzELb1ELb1ELi64EEEvPT0_PfPKT_S8_PKffiiPS6_l: ; @_ZN4vllm31rms_norm_per_block_quant_kernelIfN3c1015Float8_e4m3fnuzELb1ELb1ELi64EEEvPT0_PfPKT_S8_PKffiiPS6_l
; %bb.0:
	s_mov_b32 s16, s15
	s_clause 0x3
	s_load_b128 s[12:15], s[0:1], 0x28
	s_load_b256 s[4:11], s[0:1], 0x0
	s_load_b64 s[2:3], s[0:1], 0x38
	s_load_b32 s34, s[0:1], 0x48
	v_mov_b32_e32 v6, 0
	s_waitcnt lgkmcnt(0)
	s_ashr_i32 s15, s14, 31
	s_mul_hi_u32 s17, s14, s16
	s_mul_i32 s15, s15, s16
	s_ashr_i32 s19, s13, 31
	s_mul_i32 s20, s14, s16
	s_add_i32 s21, s17, s15
	s_mul_hi_u32 s18, s13, s16
	s_mul_i32 s15, s19, s16
	s_lshl_b64 s[20:21], s[20:21], 2
	s_mul_i32 s14, s13, s16
	s_add_i32 s15, s18, s15
	s_add_u32 s28, s8, s20
	s_addc_u32 s29, s9, s21
	s_lshl_b64 s[8:9], s[14:15], 2
	s_mov_b32 s17, 0
	s_add_u32 s30, s2, s8
	s_addc_u32 s31, s3, s9
	s_ashr_i32 s8, s13, 2
	s_add_u32 s20, s0, 0x48
	v_cmp_gt_u32_e64 s2, s8, v0
	s_mov_b32 s18, s13
	s_addc_u32 s21, s1, 0
	s_delay_alu instid0(VALU_DEP_1)
	s_and_saveexec_b32 s3, s2
	s_cbranch_execz .LBB31_10
; %bb.1:
	s_cmp_lt_u32 s16, s34
	v_mov_b32_e32 v2, 0
	s_cselect_b32 s9, 12, 18
                                        ; implicit-def: $sgpr13
	v_mov_b32_e32 v1, v0
	s_add_u32 s22, s20, s9
	s_addc_u32 s23, s21, 0
	s_mov_b32 s9, s17
	global_load_u16 v7, v2, s[22:23]
	s_waitcnt vmcnt(0)
	v_lshlrev_b32_e32 v9, 1, v7
	v_mul_lo_u32 v8, v7, 3
	v_add_nc_u32_e32 v10, v7, v7
	v_mov_b32_e32 v6, v2
	s_branch .LBB31_5
.LBB31_2:                               ;   in Loop: Header=BB31_5 Depth=1
	s_or_b32 exec_lo, exec_lo, s24
	s_delay_alu instid0(SALU_CYCLE_1)
	s_or_not1_b32 s24, s25, exec_lo
.LBB31_3:                               ;   in Loop: Header=BB31_5 Depth=1
	s_or_b32 exec_lo, exec_lo, s23
	s_delay_alu instid0(SALU_CYCLE_1) | instskip(SKIP_1) | instid1(SALU_CYCLE_1)
	s_and_not1_b32 s13, s13, exec_lo
	s_and_b32 s23, s24, exec_lo
	s_or_b32 s13, s13, s23
.LBB31_4:                               ;   in Loop: Header=BB31_5 Depth=1
	s_or_b32 exec_lo, exec_lo, s22
	s_delay_alu instid0(SALU_CYCLE_1) | instskip(NEXT) | instid1(SALU_CYCLE_1)
	s_and_b32 s22, exec_lo, s13
	s_or_b32 s9, s22, s9
	s_delay_alu instid0(SALU_CYCLE_1)
	s_and_not1_b32 exec_lo, exec_lo, s9
	s_cbranch_execz .LBB31_9
.LBB31_5:                               ; =>This Inner Loop Header: Depth=1
	v_lshlrev_b64 v[3:4], 4, v[1:2]
	s_or_b32 s13, s13, exec_lo
	s_mov_b32 s22, exec_lo
	s_delay_alu instid0(VALU_DEP_1) | instskip(NEXT) | instid1(VALU_DEP_2)
	v_add_co_u32 v11, vcc_lo, s28, v3
	v_add_co_ci_u32_e32 v12, vcc_lo, s29, v4, vcc_lo
	v_add_co_u32 v3, vcc_lo, s30, v3
	v_add_co_ci_u32_e32 v4, vcc_lo, s31, v4, vcc_lo
	global_load_b128 v[11:14], v[11:12], off
	global_load_b128 v[15:18], v[3:4], off
	s_waitcnt vmcnt(0)
	v_dual_add_f32 v3, v11, v15 :: v_dual_add_f32 v4, v12, v16
	s_delay_alu instid0(VALU_DEP_1) | instskip(NEXT) | instid1(VALU_DEP_1)
	v_dual_fmac_f32 v6, v3, v3 :: v_dual_add_f32 v3, v13, v17
	v_fmac_f32_e32 v6, v4, v4
	v_add_f32_e32 v4, v14, v18
	s_delay_alu instid0(VALU_DEP_2) | instskip(NEXT) | instid1(VALU_DEP_1)
	v_fmac_f32_e32 v6, v3, v3
	v_dual_fmac_f32 v6, v4, v4 :: v_dual_add_nc_u32 v3, v1, v7
	s_delay_alu instid0(VALU_DEP_1)
	v_cmpx_gt_u32_e64 s8, v3
	s_cbranch_execz .LBB31_4
; %bb.6:                                ;   in Loop: Header=BB31_5 Depth=1
	v_mov_b32_e32 v4, v2
	s_mov_b32 s24, -1
	s_mov_b32 s23, exec_lo
	s_delay_alu instid0(VALU_DEP_1) | instskip(NEXT) | instid1(VALU_DEP_1)
	v_lshlrev_b64 v[4:5], 4, v[3:4]
	v_add_co_u32 v11, vcc_lo, s28, v4
	s_delay_alu instid0(VALU_DEP_2)
	v_add_co_ci_u32_e32 v12, vcc_lo, s29, v5, vcc_lo
	v_add_co_u32 v4, vcc_lo, s30, v4
	v_add_co_ci_u32_e32 v5, vcc_lo, s31, v5, vcc_lo
	global_load_b128 v[11:14], v[11:12], off
	global_load_b128 v[15:18], v[4:5], off
	s_waitcnt vmcnt(0)
	v_dual_add_f32 v5, v12, v16 :: v_dual_add_f32 v4, v11, v15
	s_delay_alu instid0(VALU_DEP_1) | instskip(SKIP_1) | instid1(VALU_DEP_2)
	v_fmac_f32_e32 v6, v4, v4
	v_add_f32_e32 v4, v13, v17
	v_dual_fmac_f32 v6, v5, v5 :: v_dual_add_f32 v5, v14, v18
	s_delay_alu instid0(VALU_DEP_1) | instskip(SKIP_1) | instid1(VALU_DEP_2)
	v_fmac_f32_e32 v6, v4, v4
	v_add_nc_u32_e32 v4, v9, v1
	v_fmac_f32_e32 v6, v5, v5
	s_delay_alu instid0(VALU_DEP_2)
	v_cmpx_gt_u32_e64 s8, v4
	s_cbranch_execz .LBB31_3
; %bb.7:                                ;   in Loop: Header=BB31_5 Depth=1
	v_mov_b32_e32 v5, v2
	v_add_nc_u32_e32 v1, v8, v1
	s_mov_b32 s25, -1
	s_mov_b32 s24, exec_lo
	s_delay_alu instid0(VALU_DEP_2) | instskip(NEXT) | instid1(VALU_DEP_1)
	v_lshlrev_b64 v[4:5], 4, v[4:5]
	v_add_co_u32 v11, vcc_lo, s28, v4
	s_delay_alu instid0(VALU_DEP_2)
	v_add_co_ci_u32_e32 v12, vcc_lo, s29, v5, vcc_lo
	v_add_co_u32 v4, vcc_lo, s30, v4
	v_add_co_ci_u32_e32 v5, vcc_lo, s31, v5, vcc_lo
	global_load_b128 v[11:14], v[11:12], off
	global_load_b128 v[15:18], v[4:5], off
	s_waitcnt vmcnt(0)
	v_dual_add_f32 v4, v11, v15 :: v_dual_add_f32 v5, v12, v16
	s_delay_alu instid0(VALU_DEP_1) | instskip(SKIP_1) | instid1(VALU_DEP_2)
	v_fmac_f32_e32 v6, v4, v4
	v_add_f32_e32 v4, v13, v17
	v_dual_fmac_f32 v6, v5, v5 :: v_dual_add_f32 v5, v14, v18
	s_delay_alu instid0(VALU_DEP_1) | instskip(NEXT) | instid1(VALU_DEP_1)
	v_fmac_f32_e32 v6, v4, v4
	v_fmac_f32_e32 v6, v5, v5
	v_cmpx_gt_u32_e64 s8, v1
	s_xor_b32 s24, exec_lo, s24
	s_cbranch_execz .LBB31_2
; %bb.8:                                ;   in Loop: Header=BB31_5 Depth=1
	v_lshlrev_b64 v[4:5], 4, v[1:2]
	s_delay_alu instid0(VALU_DEP_1) | instskip(NEXT) | instid1(VALU_DEP_2)
	v_add_co_u32 v11, vcc_lo, s28, v4
	v_add_co_ci_u32_e32 v12, vcc_lo, s29, v5, vcc_lo
	v_add_co_u32 v4, vcc_lo, s30, v4
	v_add_co_ci_u32_e32 v5, vcc_lo, s31, v5, vcc_lo
	global_load_b128 v[11:14], v[11:12], off
	global_load_b128 v[15:18], v[4:5], off
	s_waitcnt vmcnt(0)
	v_dual_add_f32 v1, v11, v15 :: v_dual_add_f32 v4, v12, v16
	s_delay_alu instid0(VALU_DEP_1) | instskip(SKIP_2) | instid1(VALU_DEP_3)
	v_fmac_f32_e32 v6, v1, v1
	v_add3_u32 v1, v10, v7, v3
	v_add_f32_e32 v3, v14, v18
	v_dual_add_f32 v5, v13, v17 :: v_dual_fmac_f32 v6, v4, v4
	s_delay_alu instid0(VALU_DEP_3) | instskip(NEXT) | instid1(VALU_DEP_2)
	v_cmp_le_u32_e32 vcc_lo, s8, v1
	v_fmac_f32_e32 v6, v5, v5
	s_or_not1_b32 s25, vcc_lo, exec_lo
	s_delay_alu instid0(VALU_DEP_1)
	v_fmac_f32_e32 v6, v3, v3
	s_branch .LBB31_2
.LBB31_9:
	s_or_b32 exec_lo, exec_lo, s9
.LBB31_10:
	s_delay_alu instid0(SALU_CYCLE_1) | instskip(SKIP_4) | instid1(VALU_DEP_2)
	s_or_b32 exec_lo, exec_lo, s3
	v_mbcnt_lo_u32_b32 v1, -1, 0
	s_load_b32 s3, s[20:21], 0xc
	v_and_b32_e32 v7, 0x3e0, v0
	s_mov_b32 s9, exec_lo
	v_cmp_ne_u32_e32 vcc_lo, 31, v1
	v_add_nc_u32_e32 v3, 1, v1
	v_add_co_ci_u32_e32 v2, vcc_lo, 0, v1, vcc_lo
	v_cmp_gt_u32_e32 vcc_lo, 30, v1
	s_delay_alu instid0(VALU_DEP_2)
	v_lshlrev_b32_e32 v2, 2, v2
	v_cndmask_b32_e64 v5, 0, 1, vcc_lo
	ds_bpermute_b32 v4, v2, v6
	s_waitcnt lgkmcnt(0)
	s_and_b32 s3, s3, 0xffff
	v_lshlrev_b32_e32 v5, 1, v5
	v_sub_nc_u32_e64 v12, s3, v7 clamp
	s_delay_alu instid0(VALU_DEP_1) | instskip(SKIP_1) | instid1(VALU_DEP_4)
	v_cmp_lt_u32_e32 vcc_lo, v3, v12
	v_add_f32_e32 v7, v6, v4
	v_add_lshl_u32 v4, v5, v1, 2
	s_delay_alu instid0(VALU_DEP_2) | instskip(SKIP_2) | instid1(VALU_DEP_1)
	v_cndmask_b32_e32 v7, v6, v7, vcc_lo
	v_cmp_gt_u32_e32 vcc_lo, 28, v1
	v_cndmask_b32_e64 v5, 0, 1, vcc_lo
	v_lshlrev_b32_e32 v8, 2, v5
	ds_bpermute_b32 v6, v4, v7
	v_add_nc_u32_e32 v5, 2, v1
	s_delay_alu instid0(VALU_DEP_1) | instskip(SKIP_3) | instid1(VALU_DEP_2)
	v_cmp_lt_u32_e32 vcc_lo, v5, v12
	s_waitcnt lgkmcnt(0)
	v_add_f32_e32 v9, v7, v6
	v_add_lshl_u32 v6, v8, v1, 2
	v_cndmask_b32_e32 v9, v7, v9, vcc_lo
	v_cmp_gt_u32_e32 vcc_lo, 24, v1
	ds_bpermute_b32 v8, v6, v9
	v_cndmask_b32_e64 v7, 0, 1, vcc_lo
	s_delay_alu instid0(VALU_DEP_1) | instskip(SKIP_1) | instid1(VALU_DEP_1)
	v_lshlrev_b32_e32 v10, 3, v7
	v_add_nc_u32_e32 v7, 4, v1
	v_cmp_lt_u32_e32 vcc_lo, v7, v12
	s_waitcnt lgkmcnt(0)
	v_add_f32_e32 v11, v9, v8
	v_add_lshl_u32 v8, v10, v1, 2
	s_delay_alu instid0(VALU_DEP_2) | instskip(SKIP_3) | instid1(VALU_DEP_1)
	v_cndmask_b32_e32 v11, v9, v11, vcc_lo
	v_cmp_gt_u32_e32 vcc_lo, 16, v1
	ds_bpermute_b32 v10, v8, v11
	v_cndmask_b32_e64 v9, 0, 1, vcc_lo
	v_lshlrev_b32_e32 v13, 4, v9
	v_add_nc_u32_e32 v9, 8, v1
	s_delay_alu instid0(VALU_DEP_1) | instskip(SKIP_3) | instid1(VALU_DEP_2)
	v_cmp_lt_u32_e32 vcc_lo, v9, v12
	s_waitcnt lgkmcnt(0)
	v_add_f32_e32 v14, v11, v10
	v_add_lshl_u32 v10, v13, v1, 2
	v_cndmask_b32_e32 v13, v11, v14, vcc_lo
	v_add_nc_u32_e32 v11, 16, v1
	ds_bpermute_b32 v14, v10, v13
	v_cmp_lt_u32_e32 vcc_lo, v11, v12
	s_waitcnt lgkmcnt(0)
	v_add_f32_e32 v14, v13, v14
	s_delay_alu instid0(VALU_DEP_1)
	v_cndmask_b32_e32 v12, v13, v14, vcc_lo
	v_cmpx_eq_u32_e32 0, v1
	s_cbranch_execz .LBB31_12
; %bb.11:
	v_lshrrev_b32_e32 v13, 3, v0
	s_delay_alu instid0(VALU_DEP_1)
	v_and_b32_e32 v13, 0x7c, v13
	ds_store_b32 v13, v12 offset:4096
.LBB31_12:
	s_or_b32 exec_lo, exec_lo, s9
	s_delay_alu instid0(SALU_CYCLE_1)
	s_mov_b32 s9, exec_lo
	s_waitcnt lgkmcnt(0)
	s_barrier
	buffer_gl0_inv
	v_cmpx_gt_u32_e32 32, v0
	s_cbranch_execz .LBB31_14
; %bb.13:
	v_lshlrev_b32_e32 v1, 2, v1
	s_add_i32 s3, s3, 31
	s_delay_alu instid0(SALU_CYCLE_1) | instskip(NEXT) | instid1(SALU_CYCLE_1)
	s_lshr_b32 s3, s3, 5
	v_cmp_gt_u32_e32 vcc_lo, s3, v3
	ds_load_b32 v1, v1 offset:4096
	s_waitcnt lgkmcnt(0)
	ds_bpermute_b32 v2, v2, v1
	s_waitcnt lgkmcnt(0)
	v_add_f32_e32 v2, v1, v2
	s_delay_alu instid0(VALU_DEP_1) | instskip(SKIP_4) | instid1(VALU_DEP_1)
	v_cndmask_b32_e32 v1, v1, v2, vcc_lo
	v_cmp_gt_u32_e32 vcc_lo, s3, v5
	ds_bpermute_b32 v2, v4, v1
	s_waitcnt lgkmcnt(0)
	v_add_f32_e32 v2, v1, v2
	v_cndmask_b32_e32 v1, v1, v2, vcc_lo
	v_cmp_gt_u32_e32 vcc_lo, s3, v7
	ds_bpermute_b32 v2, v6, v1
	s_waitcnt lgkmcnt(0)
	v_add_f32_e32 v2, v1, v2
	s_delay_alu instid0(VALU_DEP_1) | instskip(SKIP_4) | instid1(VALU_DEP_1)
	v_cndmask_b32_e32 v1, v1, v2, vcc_lo
	v_cmp_gt_u32_e32 vcc_lo, s3, v9
	ds_bpermute_b32 v2, v8, v1
	s_waitcnt lgkmcnt(0)
	v_add_f32_e32 v2, v1, v2
	v_cndmask_b32_e32 v1, v1, v2, vcc_lo
	v_cmp_gt_u32_e32 vcc_lo, s3, v11
	ds_bpermute_b32 v2, v10, v1
	s_waitcnt lgkmcnt(0)
	v_add_f32_e32 v2, v1, v2
	s_delay_alu instid0(VALU_DEP_1)
	v_cndmask_b32_e32 v12, v1, v2, vcc_lo
.LBB31_14:
	s_or_b32 exec_lo, exec_lo, s9
	s_delay_alu instid0(SALU_CYCLE_1)
	s_mov_b32 s3, exec_lo
	v_cmpx_eq_u32_e32 0, v0
	s_cbranch_execz .LBB31_16
; %bb.15:
	v_cvt_f32_i32_e32 v1, s18
	s_delay_alu instid0(VALU_DEP_1) | instskip(SKIP_1) | instid1(VALU_DEP_2)
	v_div_scale_f32 v2, null, v1, v1, v12
	v_div_scale_f32 v5, vcc_lo, v12, v1, v12
	v_rcp_f32_e32 v3, v2
	s_waitcnt_depctr 0xfff
	v_fma_f32 v4, -v2, v3, 1.0
	s_delay_alu instid0(VALU_DEP_1) | instskip(NEXT) | instid1(VALU_DEP_1)
	v_fmac_f32_e32 v3, v4, v3
	v_mul_f32_e32 v4, v5, v3
	s_delay_alu instid0(VALU_DEP_1) | instskip(NEXT) | instid1(VALU_DEP_1)
	v_fma_f32 v6, -v2, v4, v5
	v_fmac_f32_e32 v4, v6, v3
	s_delay_alu instid0(VALU_DEP_1) | instskip(NEXT) | instid1(VALU_DEP_1)
	v_fma_f32 v2, -v2, v4, v5
	v_div_fmas_f32 v2, v2, v3, v4
	s_delay_alu instid0(VALU_DEP_1) | instskip(NEXT) | instid1(VALU_DEP_1)
	v_div_fixup_f32 v1, v2, v1, v12
	v_add_f32_e32 v1, s12, v1
	s_delay_alu instid0(VALU_DEP_1) | instskip(SKIP_1) | instid1(VALU_DEP_2)
	v_mul_f32_e32 v2, 0x4b800000, v1
	v_cmp_gt_f32_e32 vcc_lo, 0x800000, v1
	v_cndmask_b32_e32 v1, v1, v2, vcc_lo
	s_delay_alu instid0(VALU_DEP_1) | instskip(SKIP_2) | instid1(VALU_DEP_1)
	v_rsq_f32_e32 v1, v1
	s_waitcnt_depctr 0xfff
	v_mul_f32_e32 v2, 0x45800000, v1
	v_dual_cndmask_b32 v1, v1, v2 :: v_dual_mov_b32 v2, 0
	ds_store_b32 v2, v1 offset:4224
.LBB31_16:
	s_or_b32 exec_lo, exec_lo, s3
	s_ashr_i32 s3, s18, 31
	v_mov_b32_e32 v4, 0
	s_lshr_b32 s3, s3, 26
	s_waitcnt lgkmcnt(0)
	s_add_i32 s3, s18, s3
	s_barrier
	s_ashr_i32 s12, s3, 6
	s_cmp_lt_u32 s16, s34
	buffer_gl0_inv
	s_cselect_b32 s9, 12, 18
	ds_load_b32 v28, v4 offset:4224
	s_add_u32 s20, s20, s9
	s_addc_u32 s21, s21, 0
	s_abs_i32 s9, s12
	global_load_u16 v1, v4, s[20:21]
	v_cvt_f32_u32_e32 v2, s9
	s_sub_i32 s20, 0, s9
	s_ashr_i32 s3, s3, 31
	s_delay_alu instid0(VALU_DEP_1) | instskip(SKIP_2) | instid1(VALU_DEP_1)
	v_rcp_iflag_f32_e32 v2, v2
	s_waitcnt_depctr 0xfff
	v_mul_f32_e32 v2, 0x4f7ffffe, v2
	v_cvt_u32_f32_e32 v2, v2
	s_delay_alu instid0(VALU_DEP_1) | instskip(NEXT) | instid1(VALU_DEP_1)
	v_readfirstlane_b32 s13, v2
	s_mul_i32 s20, s20, s13
	s_delay_alu instid0(SALU_CYCLE_1) | instskip(NEXT) | instid1(SALU_CYCLE_1)
	s_mul_hi_u32 s20, s13, s20
	s_add_i32 s13, s13, s20
	s_waitcnt vmcnt(0)
	v_readfirstlane_b32 s33, v1
	s_delay_alu instid0(VALU_DEP_1) | instskip(NEXT) | instid1(SALU_CYCLE_1)
	s_mul_hi_u32 s13, s33, s13
	s_mul_i32 s20, s13, s9
	s_add_i32 s21, s13, 1
	s_sub_i32 s20, s33, s20
	s_delay_alu instid0(SALU_CYCLE_1)
	s_sub_i32 s22, s20, s9
	s_cmp_ge_u32 s20, s9
	s_cselect_b32 s13, s21, s13
	s_cselect_b32 s20, s22, s20
	s_add_i32 s21, s13, 1
	s_cmp_ge_u32 s20, s9
	s_cselect_b32 s9, s21, s13
	s_delay_alu instid0(SALU_CYCLE_1) | instskip(NEXT) | instid1(SALU_CYCLE_1)
	s_xor_b32 s9, s9, s3
	s_sub_i32 s20, s9, s3
	s_delay_alu instid0(SALU_CYCLE_1) | instskip(SKIP_3) | instid1(VALU_DEP_1)
	s_abs_i32 s3, s20
	s_ashr_i32 s21, s20, 31
	v_cvt_f32_u32_e32 v1, s3
	s_sub_i32 s9, 0, s3
	v_rcp_iflag_f32_e32 v1, v1
	s_waitcnt_depctr 0xfff
	v_mul_f32_e32 v1, 0x4f7ffffe, v1
	s_delay_alu instid0(VALU_DEP_1) | instskip(NEXT) | instid1(VALU_DEP_1)
	v_cvt_u32_f32_e32 v1, v1
	v_mul_lo_u32 v2, s9, v1
	s_ashr_i32 s9, s8, 31
	s_delay_alu instid0(VALU_DEP_1) | instskip(NEXT) | instid1(VALU_DEP_1)
	v_mul_hi_u32 v2, v1, v2
	v_add_nc_u32_e32 v1, v1, v2
	s_delay_alu instid0(VALU_DEP_1) | instskip(NEXT) | instid1(VALU_DEP_1)
	v_mul_hi_u32 v1, v0, v1
	v_mul_lo_u32 v2, v1, s3
	v_add_nc_u32_e32 v3, 1, v1
	s_delay_alu instid0(VALU_DEP_2) | instskip(NEXT) | instid1(VALU_DEP_1)
	v_sub_nc_u32_e32 v2, v0, v2
	v_subrev_nc_u32_e32 v5, s3, v2
	v_cmp_le_u32_e32 vcc_lo, s3, v2
	s_delay_alu instid0(VALU_DEP_2) | instskip(NEXT) | instid1(VALU_DEP_1)
	v_dual_cndmask_b32 v2, v2, v5 :: v_dual_cndmask_b32 v1, v1, v3
	v_cmp_le_u32_e32 vcc_lo, s3, v2
	s_delay_alu instid0(VALU_DEP_2) | instskip(NEXT) | instid1(VALU_DEP_1)
	v_add_nc_u32_e32 v3, 1, v1
	v_cndmask_b32_e32 v1, v1, v3, vcc_lo
	s_delay_alu instid0(VALU_DEP_1) | instskip(NEXT) | instid1(VALU_DEP_1)
	v_xor_b32_e32 v1, s21, v1
	v_subrev_nc_u32_e32 v1, s21, v1
	s_delay_alu instid0(VALU_DEP_1) | instskip(SKIP_1) | instid1(VALU_DEP_2)
	v_ashrrev_i32_e32 v2, 31, v1
	v_mul_lo_u32 v3, v1, s20
	v_lshlrev_b64 v[7:8], 4, v[1:2]
	s_delay_alu instid0(VALU_DEP_2) | instskip(NEXT) | instid1(VALU_DEP_2)
	v_sub_nc_u32_e32 v3, v0, v3
	v_add_co_u32 v5, vcc_lo, v7, 16
	s_delay_alu instid0(VALU_DEP_3) | instskip(NEXT) | instid1(VALU_DEP_1)
	v_add_co_ci_u32_e32 v6, vcc_lo, 0, v8, vcc_lo
	v_cmp_gt_i64_e32 vcc_lo, s[8:9], v[5:6]
	v_cndmask_b32_e32 v6, s9, v6, vcc_lo
	v_cndmask_b32_e32 v5, s8, v5, vcc_lo
	v_add_co_u32 v7, vcc_lo, v7, v3
	v_add_co_ci_u32_e32 v8, vcc_lo, 0, v8, vcc_lo
	s_delay_alu instid0(VALU_DEP_3) | instskip(SKIP_2) | instid1(VALU_DEP_1)
	v_ashrrev_i32_e32 v10, 31, v5
	v_mov_b32_e32 v9, v5
	s_mov_b32 s9, exec_lo
	v_cmpx_lt_i64_e64 v[7:8], v[9:10]
	s_cbranch_execz .LBB31_26
; %bb.17:
	v_lshlrev_b64 v[11:12], 8, v[1:2]
	v_lshlrev_b64 v[13:14], 4, v[3:4]
	v_mov_b32_e32 v4, 0
	s_lshl_b64 s[22:23], s[20:21], 6
	s_mul_hi_i32 s13, s20, 3
	s_mul_i32 s35, s20, 3
	s_lshl_b64 s[24:25], s[20:21], 1
	v_add_co_u32 v21, vcc_lo, v11, v13
	v_add_co_ci_u32_e32 v22, vcc_lo, v12, v14, vcc_lo
	v_dual_mov_b32 v12, v8 :: v_dual_mov_b32 v11, v7
	s_lshl_b64 s[26:27], s[20:21], 4
	s_mov_b32 s36, 0
                                        ; implicit-def: $sgpr37
	s_branch .LBB31_21
.LBB31_18:                              ;   in Loop: Header=BB31_21 Depth=1
	s_or_b32 exec_lo, exec_lo, s40
	s_delay_alu instid0(SALU_CYCLE_1)
	s_or_not1_b32 s3, s3, exec_lo
.LBB31_19:                              ;   in Loop: Header=BB31_21 Depth=1
	s_or_b32 exec_lo, exec_lo, s39
	s_delay_alu instid0(SALU_CYCLE_1) | instskip(SKIP_1) | instid1(SALU_CYCLE_1)
	s_and_not1_b32 s37, s37, exec_lo
	s_and_b32 s3, s3, exec_lo
	s_or_b32 s37, s37, s3
.LBB31_20:                              ;   in Loop: Header=BB31_21 Depth=1
	s_or_b32 exec_lo, exec_lo, s38
	s_delay_alu instid0(SALU_CYCLE_1) | instskip(NEXT) | instid1(SALU_CYCLE_1)
	s_and_b32 s3, exec_lo, s37
	s_or_b32 s36, s3, s36
	s_delay_alu instid0(SALU_CYCLE_1)
	s_and_not1_b32 exec_lo, exec_lo, s36
	s_cbranch_execz .LBB31_25
.LBB31_21:                              ; =>This Inner Loop Header: Depth=1
	v_add_co_u32 v15, vcc_lo, s28, v21
	v_add_co_ci_u32_e32 v16, vcc_lo, s29, v22, vcc_lo
	v_add_co_u32 v19, vcc_lo, s30, v21
	v_add_co_ci_u32_e32 v20, vcc_lo, s31, v22, vcc_lo
	v_add_co_u32 v17, vcc_lo, s10, v21
	global_load_b128 v[23:26], v[15:16], off
	global_load_b128 v[29:32], v[19:20], off
	v_add_co_ci_u32_e32 v18, vcc_lo, s11, v22, vcc_lo
	s_or_b32 s37, s37, exec_lo
	s_mov_b32 s38, exec_lo
	global_load_b128 v[33:36], v[17:18], off
	s_waitcnt vmcnt(1)
	v_dual_add_f32 v13, v23, v29 :: v_dual_add_f32 v14, v24, v30
	v_dual_add_f32 v23, v25, v31 :: v_dual_add_f32 v24, v26, v32
	s_waitcnt lgkmcnt(0)
	s_delay_alu instid0(VALU_DEP_2) | instskip(NEXT) | instid1(VALU_DEP_3)
	v_mul_f32_e32 v14, v28, v14
	v_mul_f32_e32 v13, v28, v13
	s_delay_alu instid0(VALU_DEP_3) | instskip(SKIP_2) | instid1(VALU_DEP_3)
	v_mul_f32_e32 v23, v28, v23
	v_mul_f32_e32 v24, v28, v24
	s_waitcnt vmcnt(0)
	v_dual_mul_f32 v26, v34, v14 :: v_dual_mul_f32 v25, v33, v13
	s_delay_alu instid0(VALU_DEP_2) | instskip(SKIP_1) | instid1(VALU_DEP_3)
	v_dual_mul_f32 v23, v35, v23 :: v_dual_mul_f32 v24, v36, v24
	v_add_co_u32 v13, vcc_lo, v11, s20
	v_max3_f32 v4, v4, |v25|, |v26|
	v_add_co_ci_u32_e32 v14, vcc_lo, s21, v12, vcc_lo
	s_delay_alu instid0(VALU_DEP_2) | instskip(NEXT) | instid1(VALU_DEP_2)
	v_max3_f32 v4, v4, |v23|, |v24|
	v_cmpx_lt_i64_e64 v[13:14], v[9:10]
	s_cbranch_execz .LBB31_20
; %bb.22:                               ;   in Loop: Header=BB31_21 Depth=1
	v_add_co_u32 v15, vcc_lo, v15, s26
	v_add_co_ci_u32_e32 v16, vcc_lo, s27, v16, vcc_lo
	v_add_co_u32 v19, vcc_lo, v19, s26
	v_add_co_ci_u32_e32 v20, vcc_lo, s27, v20, vcc_lo
	v_add_co_u32 v17, vcc_lo, v17, s26
	global_load_b128 v[23:26], v[15:16], off
	global_load_b128 v[29:32], v[19:20], off
	v_add_co_ci_u32_e32 v18, vcc_lo, s27, v18, vcc_lo
	s_mov_b32 s3, -1
	s_mov_b32 s39, exec_lo
	global_load_b128 v[33:36], v[17:18], off
	s_waitcnt vmcnt(1)
	v_dual_add_f32 v23, v23, v29 :: v_dual_add_f32 v24, v24, v30
	v_dual_add_f32 v25, v25, v31 :: v_dual_add_f32 v26, v26, v32
	s_delay_alu instid0(VALU_DEP_2) | instskip(NEXT) | instid1(VALU_DEP_3)
	v_mul_f32_e32 v23, v28, v23
	v_mul_f32_e32 v24, v28, v24
	s_delay_alu instid0(VALU_DEP_3) | instskip(SKIP_1) | instid1(VALU_DEP_3)
	v_mul_f32_e32 v25, v28, v25
	s_waitcnt vmcnt(0)
	v_dual_mul_f32 v27, v33, v23 :: v_dual_mul_f32 v26, v28, v26
	s_delay_alu instid0(VALU_DEP_3) | instskip(NEXT) | instid1(VALU_DEP_3)
	v_mul_f32_e32 v29, v34, v24
	v_mul_f32_e32 v25, v35, v25
	v_add_co_u32 v23, vcc_lo, s24, v11
	s_delay_alu instid0(VALU_DEP_4) | instskip(NEXT) | instid1(VALU_DEP_4)
	v_mul_f32_e32 v26, v36, v26
	v_max3_f32 v4, v4, |v27|, |v29|
	v_add_co_ci_u32_e32 v24, vcc_lo, s25, v12, vcc_lo
	s_delay_alu instid0(VALU_DEP_2) | instskip(NEXT) | instid1(VALU_DEP_2)
	v_max3_f32 v4, v4, |v25|, |v26|
	v_cmpx_lt_i64_e64 v[23:24], v[9:10]
	s_cbranch_execz .LBB31_19
; %bb.23:                               ;   in Loop: Header=BB31_21 Depth=1
	v_add_co_u32 v15, vcc_lo, v15, s26
	v_add_co_ci_u32_e32 v16, vcc_lo, s27, v16, vcc_lo
	v_add_co_u32 v19, vcc_lo, v19, s26
	v_add_co_ci_u32_e32 v20, vcc_lo, s27, v20, vcc_lo
	v_add_co_u32 v17, vcc_lo, v17, s26
	global_load_b128 v[23:26], v[15:16], off
	global_load_b128 v[29:32], v[19:20], off
	v_add_co_ci_u32_e32 v18, vcc_lo, s27, v18, vcc_lo
	v_add_co_u32 v11, vcc_lo, s35, v11
	v_add_co_ci_u32_e32 v12, vcc_lo, s13, v12, vcc_lo
	global_load_b128 v[33:36], v[17:18], off
	v_cmp_lt_i64_e32 vcc_lo, v[11:12], v[9:10]
                                        ; implicit-def: $vgpr11_vgpr12
	s_waitcnt vmcnt(1)
	v_dual_add_f32 v23, v23, v29 :: v_dual_add_f32 v24, v24, v30
	v_dual_add_f32 v25, v25, v31 :: v_dual_add_f32 v26, v26, v32
	s_delay_alu instid0(VALU_DEP_2) | instskip(NEXT) | instid1(VALU_DEP_3)
	v_mul_f32_e32 v24, v28, v24
	v_mul_f32_e32 v23, v28, v23
	s_delay_alu instid0(VALU_DEP_3) | instskip(NEXT) | instid1(VALU_DEP_4)
	v_mul_f32_e32 v25, v28, v25
	v_mul_f32_e32 v26, v28, v26
	s_waitcnt vmcnt(0)
	s_delay_alu instid0(VALU_DEP_3) | instskip(NEXT) | instid1(VALU_DEP_3)
	v_dual_mul_f32 v24, v34, v24 :: v_dual_mul_f32 v23, v33, v23
	v_mul_f32_e32 v25, v35, v25
	s_delay_alu instid0(VALU_DEP_2) | instskip(SKIP_1) | instid1(VALU_DEP_1)
	v_max3_f32 v4, v4, |v23|, |v24|
	v_mul_f32_e32 v23, v36, v26
	v_max3_f32 v4, v4, |v25|, |v23|
	s_and_saveexec_b32 s40, vcc_lo
	s_delay_alu instid0(SALU_CYCLE_1)
	s_xor_b32 s40, exec_lo, s40
	s_cbranch_execz .LBB31_18
; %bb.24:                               ;   in Loop: Header=BB31_21 Depth=1
	v_add_co_u32 v11, vcc_lo, v15, s26
	v_add_co_ci_u32_e32 v12, vcc_lo, s27, v16, vcc_lo
	v_add_co_u32 v15, vcc_lo, v19, s26
	v_add_co_ci_u32_e32 v16, vcc_lo, s27, v20, vcc_lo
	s_add_u32 s3, s20, s20
	global_load_b128 v[23:26], v[11:12], off
	global_load_b128 v[29:32], v[15:16], off
	v_add_co_u32 v11, vcc_lo, v17, s26
	v_add_co_ci_u32_e32 v12, vcc_lo, s27, v18, vcc_lo
	s_addc_u32 s41, s21, s21
	s_add_u32 s3, s3, s20
	s_addc_u32 s41, s41, s21
	global_load_b128 v[15:18], v[11:12], off
	s_waitcnt vmcnt(1)
	v_dual_add_f32 v11, v23, v29 :: v_dual_add_f32 v12, v24, v30
	v_dual_add_f32 v19, v25, v31 :: v_dual_add_f32 v20, v26, v32
	s_delay_alu instid0(VALU_DEP_1) | instskip(NEXT) | instid1(VALU_DEP_2)
	v_mul_f32_e32 v19, v28, v19
	v_mul_f32_e32 v20, v28, v20
	s_delay_alu instid0(VALU_DEP_4) | instskip(SKIP_1) | instid1(VALU_DEP_1)
	v_mul_f32_e32 v11, v28, v11
	s_waitcnt vmcnt(0)
	v_dual_mul_f32 v12, v28, v12 :: v_dual_mul_f32 v15, v15, v11
	s_delay_alu instid0(VALU_DEP_1) | instskip(SKIP_3) | instid1(VALU_DEP_4)
	v_mul_f32_e32 v16, v16, v12
	v_add_co_u32 v11, vcc_lo, s3, v13
	v_add_co_ci_u32_e32 v12, vcc_lo, s41, v14, vcc_lo
	v_dual_mul_f32 v13, v17, v19 :: v_dual_mul_f32 v14, v18, v20
	v_max3_f32 v4, v4, |v15|, |v16|
	s_delay_alu instid0(VALU_DEP_3) | instskip(SKIP_1) | instid1(VALU_DEP_1)
	v_cmp_ge_i64_e32 vcc_lo, v[11:12], v[9:10]
	v_add_co_u32 v21, s3, v21, s22
	v_add_co_ci_u32_e64 v22, s3, s23, v22, s3
	s_delay_alu instid0(VALU_DEP_4)
	v_max3_f32 v4, v4, |v13|, |v14|
	s_or_not1_b32 s3, vcc_lo, exec_lo
	s_branch .LBB31_18
.LBB31_25:
	s_or_b32 exec_lo, exec_lo, s36
.LBB31_26:
	s_delay_alu instid0(SALU_CYCLE_1)
	s_or_b32 exec_lo, exec_lo, s9
	s_lshr_b32 s9, s33, 5
	v_lshlrev_b32_e32 v29, 2, v0
	v_cvt_f32_u32_e32 v9, s9
	s_sub_i32 s13, 0, s9
	s_add_i32 s22, s12, s9
	s_delay_alu instid0(SALU_CYCLE_1) | instskip(NEXT) | instid1(VALU_DEP_1)
	s_add_i32 s22, s22, -1
	v_rcp_iflag_f32_e32 v9, v9
	s_abs_i32 s23, s22
	s_ashr_i32 s22, s22, 31
	ds_store_b32 v29, v4
	s_waitcnt lgkmcnt(0)
	s_barrier
	buffer_gl0_inv
	v_mul_f32_e32 v9, 0x4f7ffffe, v9
	s_delay_alu instid0(VALU_DEP_1) | instskip(NEXT) | instid1(VALU_DEP_1)
	v_cvt_u32_f32_e32 v9, v9
	v_readfirstlane_b32 s3, v9
	s_delay_alu instid0(VALU_DEP_1) | instskip(NEXT) | instid1(SALU_CYCLE_1)
	s_mul_i32 s13, s13, s3
	s_mul_hi_u32 s13, s3, s13
	s_delay_alu instid0(SALU_CYCLE_1) | instskip(NEXT) | instid1(SALU_CYCLE_1)
	s_add_i32 s3, s3, s13
	s_mul_hi_u32 s3, s23, s3
	s_delay_alu instid0(SALU_CYCLE_1) | instskip(NEXT) | instid1(SALU_CYCLE_1)
	s_mul_i32 s13, s3, s9
	s_sub_i32 s13, s23, s13
	s_add_i32 s23, s3, 1
	s_sub_i32 s24, s13, s9
	s_cmp_ge_u32 s13, s9
	s_cselect_b32 s3, s23, s3
	s_cselect_b32 s13, s24, s13
	s_add_i32 s23, s3, 1
	s_cmp_ge_u32 s13, s9
	s_cselect_b32 s3, s23, s3
	s_delay_alu instid0(SALU_CYCLE_1) | instskip(NEXT) | instid1(SALU_CYCLE_1)
	s_xor_b32 s3, s3, s22
	s_sub_i32 s22, s3, s22
	s_delay_alu instid0(SALU_CYCLE_1) | instskip(NEXT) | instid1(SALU_CYCLE_1)
	s_ashr_i32 s23, s22, 31
	v_cmp_lt_i64_e64 s3, s[22:23], 1
	s_delay_alu instid0(VALU_DEP_1)
	s_and_b32 vcc_lo, exec_lo, s3
	s_cbranch_vccnz .LBB31_46
; %bb.27:
	v_lshrrev_b32_e32 v9, 5, v0
	v_and_b32_e32 v4, 31, v0
	s_ashr_i32 s13, s12, 31
	s_mov_b64 s[24:25], 0
	s_mov_b64 s[26:27], src_shared_base
	v_mul_lo_u32 v19, s20, v9
	v_add_co_u32 v11, s3, v4, 16
	s_delay_alu instid0(VALU_DEP_1) | instskip(SKIP_1) | instid1(VALU_DEP_1)
	v_add_co_ci_u32_e64 v12, null, 0, 0, s3
	v_add_co_u32 v13, s3, v4, 8
	v_add_co_ci_u32_e64 v14, null, 0, 0, s3
	v_add_co_u32 v15, s3, v4, 4
	v_dual_mov_b32 v10, 0 :: v_dual_lshlrev_b32 v21, 2, v19
	v_lshlrev_b32_e32 v22, 2, v4
	v_add_co_ci_u32_e64 v16, null, 0, 0, s3
	v_add_co_u32 v17, s3, v4, 2
	s_delay_alu instid0(VALU_DEP_1) | instskip(SKIP_1) | instid1(VALU_DEP_1)
	v_add_co_ci_u32_e64 v18, null, 0, 0, s3
	v_add_co_u32 v19, s3, v4, 1
	v_add_co_ci_u32_e64 v20, null, 0, 0, s3
	v_add3_u32 v30, v21, v22, 0x80
	s_mul_i32 s3, s20, s9
	s_delay_alu instid0(SALU_CYCLE_1)
	s_lshl_b32 s35, s3, 2
	s_branch .LBB31_30
.LBB31_28:                              ;   in Loop: Header=BB31_30 Depth=1
	s_or_b32 exec_lo, exec_lo, s3
	v_mov_b32_e32 v22, s27
	flat_load_b32 v21, v[21:22] glc dlc
	s_waitcnt vmcnt(0)
.LBB31_29:                              ;   in Loop: Header=BB31_30 Depth=1
	s_or_b32 exec_lo, exec_lo, s26
	s_add_u32 s24, s24, 1
	v_add_nc_u32_e32 v30, s35, v30
	s_addc_u32 s25, s25, 0
	s_delay_alu instid0(SALU_CYCLE_1)
	s_cmp_eq_u64 s[24:25], s[22:23]
	s_cbranch_scc1 .LBB31_46
.LBB31_30:                              ; =>This Loop Header: Depth=1
                                        ;     Child Loop BB31_33 Depth 2
	s_waitcnt lgkmcnt(0)
	v_mad_u64_u32 v[21:22], null, s24, s9, v[9:10]
	s_mov_b32 s26, exec_lo
	s_delay_alu instid0(VALU_DEP_1) | instskip(NEXT) | instid1(VALU_DEP_1)
	v_mad_u64_u32 v[23:24], null, s25, s9, v[22:23]
	v_mov_b32_e32 v22, v23
	s_delay_alu instid0(VALU_DEP_1)
	v_cmpx_gt_i64_e64 s[12:13], v[21:22]
	s_cbranch_execz .LBB31_29
; %bb.31:                               ;   in Loop: Header=BB31_30 Depth=1
	v_mul_lo_u32 v24, v22, s20
	v_mul_lo_u32 v25, v21, s21
	v_mad_u64_u32 v[22:23], null, v21, s20, 0
	s_delay_alu instid0(VALU_DEP_1) | instskip(NEXT) | instid1(VALU_DEP_2)
	v_add3_u32 v23, v23, v25, v24
	v_add_co_u32 v24, vcc_lo, v22, s20
	v_add_co_u32 v31, s3, v22, v4
	s_delay_alu instid0(VALU_DEP_3) | instskip(SKIP_2) | instid1(VALU_DEP_2)
	v_add_co_ci_u32_e32 v25, vcc_lo, s21, v23, vcc_lo
	v_add_co_ci_u32_e64 v21, s3, 0, v23, s3
	s_mov_b32 s3, exec_lo
	v_cmp_gt_i64_e32 vcc_lo, s[18:19], v[24:25]
	v_cndmask_b32_e32 v25, s19, v25, vcc_lo
	v_cndmask_b32_e32 v24, s18, v24, vcc_lo
	v_add_co_u32 v26, vcc_lo, v31, 32
	v_add_co_ci_u32_e32 v27, vcc_lo, 0, v21, vcc_lo
	v_lshlrev_b32_e32 v21, 2, v31
	s_delay_alu instid0(VALU_DEP_2)
	v_cmpx_lt_i64_e64 v[26:27], v[24:25]
	s_cbranch_execz .LBB31_34
; %bb.32:                               ;   in Loop: Header=BB31_30 Depth=1
	ds_load_b32 v33, v21
	v_mov_b32_e32 v32, v30
	s_mov_b32 s36, 0
.LBB31_33:                              ;   Parent Loop BB31_30 Depth=1
                                        ; =>  This Inner Loop Header: Depth=2
	ds_load_b32 v34, v32
	v_add_co_u32 v26, vcc_lo, v26, 32
	v_add_co_ci_u32_e32 v27, vcc_lo, 0, v27, vcc_lo
	s_waitcnt lgkmcnt(1)
	v_dual_max_f32 v33, v33, v33 :: v_dual_add_nc_u32 v32, 0x80, v32
	s_delay_alu instid0(VALU_DEP_2) | instskip(SKIP_3) | instid1(VALU_DEP_1)
	v_cmp_ge_i64_e32 vcc_lo, v[26:27], v[24:25]
	s_or_b32 s36, vcc_lo, s36
	s_waitcnt lgkmcnt(0)
	v_max_f32_e32 v34, v34, v34
	v_max_f32_e32 v33, v33, v34
	ds_store_b32 v21, v33
	s_and_not1_b32 exec_lo, exec_lo, s36
	s_cbranch_execnz .LBB31_33
.LBB31_34:                              ;   in Loop: Header=BB31_30 Depth=1
	s_or_b32 exec_lo, exec_lo, s3
	v_sub_co_u32 v22, vcc_lo, v24, v22
	v_sub_co_ci_u32_e32 v23, vcc_lo, v25, v23, vcc_lo
	s_mov_b32 s3, exec_lo
	s_delay_alu instid0(VALU_DEP_1) | instskip(SKIP_1) | instid1(VALU_DEP_1)
	v_cmp_gt_i64_e32 vcc_lo, 32, v[22:23]
	v_dual_cndmask_b32 v24, 0, v23 :: v_dual_cndmask_b32 v23, 32, v22
	v_cmpx_lt_i64_e64 v[11:12], v[23:24]
	s_cbranch_execz .LBB31_36
; %bb.35:                               ;   in Loop: Header=BB31_30 Depth=1
	v_dual_mov_b32 v22, s27 :: v_dual_add_nc_u32 v25, 64, v21
	v_mov_b32_e32 v26, s27
	flat_load_b32 v27, v[21:22] glc dlc
	s_waitcnt vmcnt(0)
	flat_load_b32 v25, v[25:26] glc dlc
	s_waitcnt vmcnt(0) lgkmcnt(0)
	v_dual_max_f32 v26, v27, v27 :: v_dual_max_f32 v25, v25, v25
	s_delay_alu instid0(VALU_DEP_1)
	v_max_f32_e32 v25, v26, v25
	flat_store_b32 v[21:22], v25 dlc
	s_waitcnt_vscnt null, 0x0
.LBB31_36:                              ;   in Loop: Header=BB31_30 Depth=1
	s_or_b32 exec_lo, exec_lo, s3
	s_delay_alu instid0(SALU_CYCLE_1)
	s_mov_b32 s3, exec_lo
	v_cmpx_lt_i64_e64 v[13:14], v[23:24]
	s_cbranch_execz .LBB31_38
; %bb.37:                               ;   in Loop: Header=BB31_30 Depth=1
	v_dual_mov_b32 v22, s27 :: v_dual_add_nc_u32 v25, 32, v21
	v_mov_b32_e32 v26, s27
	flat_load_b32 v27, v[21:22] glc dlc
	s_waitcnt vmcnt(0)
	flat_load_b32 v25, v[25:26] glc dlc
	s_waitcnt vmcnt(0) lgkmcnt(0)
	v_dual_max_f32 v26, v27, v27 :: v_dual_max_f32 v25, v25, v25
	s_delay_alu instid0(VALU_DEP_1)
	v_max_f32_e32 v25, v26, v25
	flat_store_b32 v[21:22], v25 dlc
	s_waitcnt_vscnt null, 0x0
.LBB31_38:                              ;   in Loop: Header=BB31_30 Depth=1
	s_or_b32 exec_lo, exec_lo, s3
	s_delay_alu instid0(SALU_CYCLE_1)
	s_mov_b32 s3, exec_lo
	v_cmpx_ge_i64_e64 v[15:16], v[23:24]
	s_xor_b32 s3, exec_lo, s3
; %bb.39:                               ;   in Loop: Header=BB31_30 Depth=1
                                        ; implicit-def: $vgpr21
; %bb.40:                               ;   in Loop: Header=BB31_30 Depth=1
	s_delay_alu instid0(SALU_CYCLE_1)
	s_and_not1_saveexec_b32 s3, s3
	s_cbranch_execz .LBB31_42
; %bb.41:                               ;   in Loop: Header=BB31_30 Depth=1
	v_dual_mov_b32 v22, s27 :: v_dual_add_nc_u32 v25, 16, v21
	v_mov_b32_e32 v26, s27
	flat_load_b32 v27, v[21:22] glc dlc
	s_waitcnt vmcnt(0)
	flat_load_b32 v25, v[25:26] glc dlc
	s_waitcnt vmcnt(0) lgkmcnt(0)
	v_dual_max_f32 v26, v27, v27 :: v_dual_max_f32 v25, v25, v25
	s_delay_alu instid0(VALU_DEP_1)
	v_max_f32_e32 v25, v26, v25
	flat_store_b32 v[21:22], v25 dlc
	s_waitcnt_vscnt null, 0x0
.LBB31_42:                              ;   in Loop: Header=BB31_30 Depth=1
	s_or_b32 exec_lo, exec_lo, s3
	v_lshlrev_b32_e32 v21, 2, v31
	s_mov_b32 s3, exec_lo
	v_cmpx_lt_i64_e64 v[17:18], v[23:24]
	s_cbranch_execz .LBB31_44
; %bb.43:                               ;   in Loop: Header=BB31_30 Depth=1
	s_delay_alu instid0(VALU_DEP_2)
	v_dual_mov_b32 v22, s27 :: v_dual_add_nc_u32 v25, 8, v21
	v_mov_b32_e32 v26, s27
	flat_load_b32 v27, v[21:22] glc dlc
	s_waitcnt vmcnt(0)
	flat_load_b32 v25, v[25:26] glc dlc
	s_waitcnt vmcnt(0) lgkmcnt(0)
	v_dual_max_f32 v26, v27, v27 :: v_dual_max_f32 v25, v25, v25
	s_delay_alu instid0(VALU_DEP_1)
	v_max_f32_e32 v25, v26, v25
	flat_store_b32 v[21:22], v25 dlc
	s_waitcnt_vscnt null, 0x0
.LBB31_44:                              ;   in Loop: Header=BB31_30 Depth=1
	s_or_b32 exec_lo, exec_lo, s3
	s_delay_alu instid0(SALU_CYCLE_1)
	s_mov_b32 s3, exec_lo
	v_cmpx_lt_i64_e64 v[19:20], v[23:24]
	s_cbranch_execz .LBB31_28
; %bb.45:                               ;   in Loop: Header=BB31_30 Depth=1
	v_dual_mov_b32 v22, s27 :: v_dual_add_nc_u32 v23, 4, v21
	v_mov_b32_e32 v24, s27
	flat_load_b32 v25, v[21:22] glc dlc
	s_waitcnt vmcnt(0)
	flat_load_b32 v23, v[23:24] glc dlc
	s_waitcnt vmcnt(0) lgkmcnt(0)
	v_dual_max_f32 v24, v25, v25 :: v_dual_max_f32 v23, v23, v23
	s_delay_alu instid0(VALU_DEP_1)
	v_max_f32_e32 v23, v24, v23
	flat_store_b32 v[21:22], v23 dlc
	s_waitcnt_vscnt null, 0x0
	s_branch .LBB31_28
.LBB31_46:
	s_load_b64 s[12:13], s[0:1], 0x40
	v_cmp_lt_i64_e32 vcc_lo, v[7:8], v[5:6]
	v_cmp_eq_u32_e64 s3, 0, v3
	s_waitcnt lgkmcnt(0)
	s_barrier
	buffer_gl0_inv
	s_and_b32 s9, s3, vcc_lo
	s_delay_alu instid0(SALU_CYCLE_1)
	s_and_saveexec_b32 s3, s9
	s_cbranch_execz .LBB31_53
; %bb.47:
	s_load_b64 s[0:1], s[0:1], 0x20
	ds_load_b32 v5, v29
	s_waitcnt lgkmcnt(0)
	s_cmp_eq_u64 s[0:1], 0
	s_cbranch_scc1 .LBB31_49
; %bb.48:
	s_load_b32 s0, s[0:1], 0x0
	v_max_f32_e32 v3, v5, v5
	s_waitcnt lgkmcnt(0)
	v_max_f32_e64 v4, s0, s0
	s_delay_alu instid0(VALU_DEP_1)
	v_min_f32_e32 v5, v3, v4
.LBB31_49:
	s_add_u32 s0, s12, s34
	s_addc_u32 s1, s13, 0
	s_add_u32 s18, s0, -1
	s_addc_u32 s19, s1, -1
	s_delay_alu instid0(SALU_CYCLE_1) | instskip(SKIP_1) | instid1(SALU_CYCLE_1)
	s_or_b64 s[20:21], s[18:19], s[12:13]
	s_mov_b32 s20, 0
	s_cmp_lg_u64 s[20:21], 0
	s_cbranch_scc0 .LBB31_194
; %bb.50:
	s_ashr_i32 s0, s13, 31
	s_delay_alu instid0(SALU_CYCLE_1) | instskip(SKIP_2) | instid1(SALU_CYCLE_1)
	s_add_u32 s22, s12, s0
	s_mov_b32 s1, s0
	s_addc_u32 s23, s13, s0
	s_xor_b64 s[0:1], s[22:23], s[0:1]
	s_delay_alu instid0(SALU_CYCLE_1) | instskip(SKIP_3) | instid1(VALU_DEP_1)
	v_cvt_f32_u32_e32 v3, s0
	v_cvt_f32_u32_e32 v4, s1
	s_sub_u32 s22, 0, s0
	s_subb_u32 s23, 0, s1
	v_fmamk_f32 v3, v4, 0x4f800000, v3
	s_delay_alu instid0(VALU_DEP_1) | instskip(SKIP_2) | instid1(VALU_DEP_1)
	v_rcp_f32_e32 v3, v3
	s_waitcnt_depctr 0xfff
	v_mul_f32_e32 v3, 0x5f7ffffc, v3
	v_mul_f32_e32 v4, 0x2f800000, v3
	s_delay_alu instid0(VALU_DEP_1) | instskip(NEXT) | instid1(VALU_DEP_1)
	v_trunc_f32_e32 v4, v4
	v_fmamk_f32 v3, v4, 0xcf800000, v3
	v_cvt_u32_f32_e32 v4, v4
	s_delay_alu instid0(VALU_DEP_2) | instskip(NEXT) | instid1(VALU_DEP_2)
	v_cvt_u32_f32_e32 v3, v3
	v_readfirstlane_b32 s9, v4
	s_delay_alu instid0(VALU_DEP_2) | instskip(NEXT) | instid1(VALU_DEP_2)
	v_readfirstlane_b32 s21, v3
	s_mul_i32 s24, s22, s9
	s_delay_alu instid0(VALU_DEP_1)
	s_mul_hi_u32 s26, s22, s21
	s_mul_i32 s25, s23, s21
	s_add_i32 s24, s26, s24
	s_mul_i32 s27, s22, s21
	s_add_i32 s24, s24, s25
	s_mul_hi_u32 s26, s21, s27
	s_mul_hi_u32 s35, s9, s27
	s_mul_i32 s25, s9, s27
	s_mul_hi_u32 s27, s21, s24
	s_mul_i32 s21, s21, s24
	s_mul_hi_u32 s36, s9, s24
	s_add_u32 s21, s26, s21
	s_addc_u32 s26, 0, s27
	s_add_u32 s21, s21, s25
	s_mul_i32 s24, s9, s24
	s_addc_u32 s21, s26, s35
	s_addc_u32 s25, s36, 0
	s_add_u32 s21, s21, s24
	s_addc_u32 s24, 0, s25
	v_add_co_u32 v3, s21, v3, s21
	s_delay_alu instid0(VALU_DEP_1) | instskip(SKIP_1) | instid1(VALU_DEP_1)
	s_cmp_lg_u32 s21, 0
	s_addc_u32 s9, s9, s24
	v_readfirstlane_b32 s21, v3
	s_mul_i32 s24, s22, s9
	s_delay_alu instid0(VALU_DEP_1)
	s_mul_hi_u32 s25, s22, s21
	s_mul_i32 s23, s23, s21
	s_add_i32 s24, s25, s24
	s_mul_i32 s22, s22, s21
	s_add_i32 s24, s24, s23
	s_mul_hi_u32 s25, s9, s22
	s_mul_i32 s26, s9, s22
	s_mul_hi_u32 s22, s21, s22
	s_mul_hi_u32 s27, s21, s24
	s_mul_i32 s21, s21, s24
	s_mul_hi_u32 s23, s9, s24
	s_add_u32 s21, s22, s21
	s_addc_u32 s22, 0, s27
	s_add_u32 s21, s21, s26
	s_mul_i32 s24, s9, s24
	s_addc_u32 s21, s22, s25
	s_addc_u32 s22, s23, 0
	s_add_u32 s21, s21, s24
	s_addc_u32 s22, 0, s22
	v_add_co_u32 v3, s21, v3, s21
	s_delay_alu instid0(VALU_DEP_1) | instskip(SKIP_2) | instid1(VALU_DEP_1)
	s_cmp_lg_u32 s21, 0
	s_addc_u32 s9, s9, s22
	s_ashr_i32 s22, s19, 31
	v_readfirstlane_b32 s21, v3
	s_add_u32 s24, s18, s22
	s_mov_b32 s23, s22
	s_addc_u32 s25, s19, s22
	s_delay_alu instid0(SALU_CYCLE_1) | instskip(NEXT) | instid1(SALU_CYCLE_1)
	s_xor_b64 s[24:25], s[24:25], s[22:23]
	s_mul_i32 s26, s24, s9
	s_mul_hi_u32 s27, s24, s21
	s_mul_hi_u32 s23, s24, s9
	s_mul_hi_u32 s36, s25, s21
	s_mul_i32 s21, s25, s21
	s_add_u32 s26, s27, s26
	s_addc_u32 s23, 0, s23
	s_mul_hi_u32 s35, s25, s9
	s_add_u32 s21, s26, s21
	s_mul_i32 s9, s25, s9
	s_addc_u32 s21, s23, s36
	s_addc_u32 s23, s35, 0
	s_add_u32 s9, s21, s9
	s_addc_u32 s21, 0, s23
	s_mul_hi_u32 s23, s0, s9
	s_mul_i32 s21, s0, s21
	s_mul_i32 s26, s1, s9
	;; [unrolled: 1-line block ×3, first 2 shown]
	s_add_i32 s21, s23, s21
	v_sub_co_u32 v3, s9, s24, s9
	s_add_i32 s21, s21, s26
	s_delay_alu instid0(SALU_CYCLE_1) | instskip(SKIP_1) | instid1(VALU_DEP_1)
	s_sub_i32 s23, s25, s21
	s_cmp_lg_u32 s9, 0
	v_sub_co_u32 v4, s24, v3, s0
	s_subb_u32 s23, s23, s1
	s_cmp_lg_u32 s24, 0
	s_subb_u32 s26, s23, 0
	s_delay_alu instid0(VALU_DEP_1)
	v_cmp_le_u32_e32 vcc_lo, s0, v4
	s_cmp_ge_u32 s26, s1
	s_cselect_b32 s27, -1, 0
	s_cmp_eq_u32 s26, s1
	v_cndmask_b32_e64 v6, 0, -1, vcc_lo
	s_cselect_b32 vcc_lo, -1, 0
	s_cmp_lg_u32 s24, 0
	v_sub_co_u32 v7, s24, v4, s0
	s_subb_u32 s23, s23, s1
	s_cmp_lg_u32 s24, 0
	v_cndmask_b32_e32 v6, s27, v6, vcc_lo
	s_subb_u32 s23, s23, 0
	s_cmp_lg_u32 s9, 0
	v_cmp_le_u32_e32 vcc_lo, s0, v3
	s_subb_u32 s9, s25, s21
	s_delay_alu instid0(SALU_CYCLE_1)
	s_cmp_ge_u32 s9, s1
	v_cndmask_b32_e64 v8, 0, -1, vcc_lo
	s_cselect_b32 s21, -1, 0
	s_cmp_eq_u32 s9, s1
	v_cmp_ne_u32_e32 vcc_lo, 0, v6
	v_mov_b32_e32 v6, s23
	s_cselect_b32 s0, -1, 0
	s_delay_alu instid0(SALU_CYCLE_1) | instskip(SKIP_1) | instid1(VALU_DEP_3)
	v_cndmask_b32_e64 v8, s21, v8, s0
	v_cndmask_b32_e32 v4, v4, v7, vcc_lo
	v_cndmask_b32_e32 v6, s26, v6, vcc_lo
	s_delay_alu instid0(VALU_DEP_3) | instskip(NEXT) | instid1(VALU_DEP_3)
	v_cmp_ne_u32_e32 vcc_lo, 0, v8
	v_cndmask_b32_e32 v3, v3, v4, vcc_lo
	s_delay_alu instid0(VALU_DEP_3) | instskip(NEXT) | instid1(VALU_DEP_2)
	v_cndmask_b32_e32 v6, s9, v6, vcc_lo
	v_xor_b32_e32 v3, s22, v3
	s_delay_alu instid0(VALU_DEP_2) | instskip(NEXT) | instid1(VALU_DEP_2)
	v_xor_b32_e32 v4, s22, v6
	v_sub_co_u32 v3, vcc_lo, v3, s22
	s_delay_alu instid0(VALU_DEP_2)
	v_subrev_co_ci_u32_e32 v4, vcc_lo, s22, v4, vcc_lo
	s_and_not1_b32 vcc_lo, exec_lo, s20
	s_cbranch_vccnz .LBB31_52
.LBB31_51:
	v_cvt_f32_u32_e32 v3, s12
	s_sub_i32 s0, 0, s12
	s_delay_alu instid0(VALU_DEP_1) | instskip(SKIP_2) | instid1(VALU_DEP_1)
	v_rcp_iflag_f32_e32 v3, v3
	s_waitcnt_depctr 0xfff
	v_mul_f32_e32 v3, 0x4f7ffffe, v3
	v_cvt_u32_f32_e32 v3, v3
	s_delay_alu instid0(VALU_DEP_1) | instskip(NEXT) | instid1(VALU_DEP_1)
	v_mul_lo_u32 v4, s0, v3
	v_mul_hi_u32 v4, v3, v4
	s_delay_alu instid0(VALU_DEP_1) | instskip(NEXT) | instid1(VALU_DEP_1)
	v_add_nc_u32_e32 v3, v3, v4
	v_mul_hi_u32 v3, s18, v3
	s_delay_alu instid0(VALU_DEP_1) | instskip(NEXT) | instid1(VALU_DEP_1)
	v_mul_lo_u32 v3, v3, s12
	v_sub_nc_u32_e32 v3, s18, v3
	s_delay_alu instid0(VALU_DEP_1) | instskip(SKIP_1) | instid1(VALU_DEP_2)
	v_subrev_nc_u32_e32 v4, s12, v3
	v_cmp_le_u32_e32 vcc_lo, s12, v3
	v_cndmask_b32_e32 v3, v3, v4, vcc_lo
	s_delay_alu instid0(VALU_DEP_1) | instskip(SKIP_1) | instid1(VALU_DEP_2)
	v_subrev_nc_u32_e32 v4, s12, v3
	v_cmp_le_u32_e32 vcc_lo, s12, v3
	v_dual_cndmask_b32 v3, v3, v4 :: v_dual_mov_b32 v4, 0
.LBB31_52:
	v_div_scale_f32 v6, null, 0x43600000, 0x43600000, v5
	v_div_scale_f32 v9, vcc_lo, v5, 0x43600000, v5
	s_delay_alu instid0(VALU_DEP_3) | instskip(NEXT) | instid1(VALU_DEP_3)
	v_sub_co_u32 v10, s0, s18, v3
	v_rcp_f32_e32 v7, v6
	v_sub_co_ci_u32_e64 v3, s0, s19, v4, s0
	s_lshl_b64 s[0:1], s[16:17], 2
	s_delay_alu instid0(SALU_CYCLE_1) | instskip(NEXT) | instid1(VALU_DEP_1)
	s_add_u32 s0, s0, s6
	v_mul_lo_u32 v11, v3, v1
	s_addc_u32 s1, s1, s7
	s_waitcnt_depctr 0xfff
	v_fma_f32 v8, -v6, v7, 1.0
	s_delay_alu instid0(VALU_DEP_1) | instskip(NEXT) | instid1(VALU_DEP_1)
	v_fmac_f32_e32 v7, v8, v7
	v_mul_f32_e32 v8, v9, v7
	s_delay_alu instid0(VALU_DEP_1) | instskip(NEXT) | instid1(VALU_DEP_1)
	v_fma_f32 v4, -v6, v8, v9
	v_fmac_f32_e32 v8, v4, v7
	v_mul_lo_u32 v4, v10, v2
	v_mad_u64_u32 v[2:3], null, v10, v1, 0
	s_delay_alu instid0(VALU_DEP_3) | instskip(NEXT) | instid1(VALU_DEP_2)
	v_fma_f32 v1, -v6, v8, v9
	v_add3_u32 v3, v3, v4, v11
	s_delay_alu instid0(VALU_DEP_2) | instskip(NEXT) | instid1(VALU_DEP_1)
	v_div_fmas_f32 v1, v1, v7, v8
	v_div_fixup_f32 v4, v1, 0x43600000, v5
	s_delay_alu instid0(VALU_DEP_3) | instskip(NEXT) | instid1(VALU_DEP_2)
	v_lshlrev_b64 v[1:2], 2, v[2:3]
	v_max_f32_e32 v3, 0x37124925, v4
	s_delay_alu instid0(VALU_DEP_2) | instskip(NEXT) | instid1(VALU_DEP_3)
	v_add_co_u32 v1, vcc_lo, s0, v1
	v_add_co_ci_u32_e32 v2, vcc_lo, s1, v2, vcc_lo
	global_store_b32 v[1:2], v3, off
.LBB31_53:
	s_or_b32 exec_lo, exec_lo, s3
	s_waitcnt_vscnt null, 0x0
	s_barrier
	buffer_gl0_inv
	s_and_saveexec_b32 s0, s2
	s_cbranch_execz .LBB31_193
; %bb.54:
	s_add_u32 s0, s12, s34
	s_addc_u32 s1, s13, 0
	s_add_u32 s2, s0, -1
	s_addc_u32 s3, s1, -1
	s_delay_alu instid0(SALU_CYCLE_1) | instskip(SKIP_1) | instid1(SALU_CYCLE_1)
	s_or_b64 s[18:19], s[2:3], s[12:13]
	s_mov_b32 s18, 0
	s_cmp_lg_u64 s[18:19], 0
	s_cbranch_scc0 .LBB31_195
; %bb.55:
	s_ashr_i32 s0, s13, 31
	s_delay_alu instid0(SALU_CYCLE_1) | instskip(SKIP_2) | instid1(SALU_CYCLE_1)
	s_add_u32 s20, s12, s0
	s_mov_b32 s1, s0
	s_addc_u32 s21, s13, s0
	s_xor_b64 s[0:1], s[20:21], s[0:1]
	s_delay_alu instid0(SALU_CYCLE_1) | instskip(SKIP_3) | instid1(VALU_DEP_1)
	v_cvt_f32_u32_e32 v1, s0
	v_cvt_f32_u32_e32 v2, s1
	s_sub_u32 s19, 0, s0
	s_subb_u32 s20, 0, s1
	v_fmamk_f32 v1, v2, 0x4f800000, v1
	s_delay_alu instid0(VALU_DEP_1) | instskip(SKIP_2) | instid1(VALU_DEP_1)
	v_rcp_f32_e32 v1, v1
	s_waitcnt_depctr 0xfff
	v_mul_f32_e32 v1, 0x5f7ffffc, v1
	v_mul_f32_e32 v2, 0x2f800000, v1
	s_delay_alu instid0(VALU_DEP_1) | instskip(NEXT) | instid1(VALU_DEP_1)
	v_trunc_f32_e32 v2, v2
	v_fmamk_f32 v1, v2, 0xcf800000, v1
	v_cvt_u32_f32_e32 v2, v2
	s_delay_alu instid0(VALU_DEP_2) | instskip(NEXT) | instid1(VALU_DEP_2)
	v_cvt_u32_f32_e32 v1, v1
	v_readfirstlane_b32 s9, v2
	s_delay_alu instid0(VALU_DEP_2) | instskip(NEXT) | instid1(VALU_DEP_2)
	v_readfirstlane_b32 s13, v1
	s_mul_i32 s21, s19, s9
	s_delay_alu instid0(VALU_DEP_1)
	s_mul_hi_u32 s23, s19, s13
	s_mul_i32 s22, s20, s13
	s_add_i32 s21, s23, s21
	s_mul_i32 s24, s19, s13
	s_add_i32 s21, s21, s22
	s_mul_hi_u32 s23, s13, s24
	s_mul_hi_u32 s25, s9, s24
	s_mul_i32 s22, s9, s24
	s_mul_hi_u32 s24, s13, s21
	s_mul_i32 s13, s13, s21
	s_mul_hi_u32 s26, s9, s21
	s_add_u32 s13, s23, s13
	s_addc_u32 s23, 0, s24
	s_add_u32 s13, s13, s22
	s_mul_i32 s21, s9, s21
	s_addc_u32 s13, s23, s25
	s_addc_u32 s22, s26, 0
	s_add_u32 s13, s13, s21
	s_addc_u32 s21, 0, s22
	v_add_co_u32 v1, s13, v1, s13
	s_delay_alu instid0(VALU_DEP_1) | instskip(SKIP_1) | instid1(VALU_DEP_1)
	s_cmp_lg_u32 s13, 0
	s_addc_u32 s9, s9, s21
	v_readfirstlane_b32 s13, v1
	s_mul_i32 s21, s19, s9
	s_delay_alu instid0(VALU_DEP_1)
	s_mul_hi_u32 s22, s19, s13
	s_mul_i32 s20, s20, s13
	s_add_i32 s21, s22, s21
	s_mul_i32 s19, s19, s13
	s_add_i32 s21, s21, s20
	s_mul_hi_u32 s22, s9, s19
	s_mul_i32 s23, s9, s19
	s_mul_hi_u32 s19, s13, s19
	s_mul_hi_u32 s24, s13, s21
	s_mul_i32 s13, s13, s21
	s_mul_hi_u32 s20, s9, s21
	s_add_u32 s13, s19, s13
	s_addc_u32 s19, 0, s24
	s_add_u32 s13, s13, s23
	s_mul_i32 s21, s9, s21
	s_addc_u32 s13, s19, s22
	s_addc_u32 s19, s20, 0
	s_add_u32 s13, s13, s21
	s_addc_u32 s19, 0, s19
	v_add_co_u32 v1, s13, v1, s13
	s_delay_alu instid0(VALU_DEP_1) | instskip(SKIP_2) | instid1(VALU_DEP_1)
	s_cmp_lg_u32 s13, 0
	s_addc_u32 s9, s9, s19
	s_ashr_i32 s20, s3, 31
	v_readfirstlane_b32 s13, v1
	s_add_u32 s22, s2, s20
	s_mov_b32 s21, s20
	s_addc_u32 s23, s3, s20
	s_delay_alu instid0(SALU_CYCLE_1) | instskip(NEXT) | instid1(SALU_CYCLE_1)
	s_xor_b64 s[22:23], s[22:23], s[20:21]
	s_mul_i32 s21, s22, s9
	s_mul_hi_u32 s24, s22, s13
	s_mul_hi_u32 s19, s22, s9
	;; [unrolled: 1-line block ×3, first 2 shown]
	s_mul_i32 s13, s23, s13
	s_add_u32 s21, s24, s21
	s_addc_u32 s19, 0, s19
	s_mul_hi_u32 s25, s23, s9
	s_add_u32 s13, s21, s13
	s_mul_i32 s9, s23, s9
	s_addc_u32 s13, s19, s26
	s_addc_u32 s19, s25, 0
	s_add_u32 s9, s13, s9
	s_addc_u32 s13, 0, s19
	s_mul_hi_u32 s19, s0, s9
	s_mul_i32 s13, s0, s13
	s_mul_i32 s21, s1, s9
	;; [unrolled: 1-line block ×3, first 2 shown]
	s_add_i32 s13, s19, s13
	v_sub_co_u32 v1, s9, s22, s9
	s_add_i32 s13, s13, s21
	s_delay_alu instid0(SALU_CYCLE_1) | instskip(SKIP_1) | instid1(VALU_DEP_1)
	s_sub_i32 s19, s23, s13
	s_cmp_lg_u32 s9, 0
	v_sub_co_u32 v2, s21, v1, s0
	s_subb_u32 s19, s19, s1
	s_cmp_lg_u32 s21, 0
	s_subb_u32 s22, s19, 0
	s_delay_alu instid0(VALU_DEP_1)
	v_cmp_le_u32_e32 vcc_lo, s0, v2
	s_cmp_ge_u32 s22, s1
	s_cselect_b32 s24, -1, 0
	s_cmp_eq_u32 s22, s1
	v_cndmask_b32_e64 v3, 0, -1, vcc_lo
	s_cselect_b32 vcc_lo, -1, 0
	s_cmp_lg_u32 s21, 0
	v_sub_co_u32 v4, s21, v2, s0
	s_subb_u32 s19, s19, s1
	s_cmp_lg_u32 s21, 0
	v_cndmask_b32_e32 v3, s24, v3, vcc_lo
	s_subb_u32 s19, s19, 0
	s_cmp_lg_u32 s9, 0
	v_cmp_le_u32_e32 vcc_lo, s0, v1
	s_subb_u32 s9, s23, s13
	s_delay_alu instid0(SALU_CYCLE_1)
	s_cmp_ge_u32 s9, s1
	v_cndmask_b32_e64 v5, 0, -1, vcc_lo
	s_cselect_b32 s13, -1, 0
	s_cmp_eq_u32 s9, s1
	v_cmp_ne_u32_e32 vcc_lo, 0, v3
	v_mov_b32_e32 v3, s19
	s_cselect_b32 s0, -1, 0
	s_delay_alu instid0(SALU_CYCLE_1) | instskip(SKIP_1) | instid1(VALU_DEP_3)
	v_cndmask_b32_e64 v5, s13, v5, s0
	v_cndmask_b32_e32 v2, v2, v4, vcc_lo
	v_cndmask_b32_e32 v3, s22, v3, vcc_lo
	s_delay_alu instid0(VALU_DEP_3) | instskip(NEXT) | instid1(VALU_DEP_3)
	v_cmp_ne_u32_e32 vcc_lo, 0, v5
	v_cndmask_b32_e32 v1, v1, v2, vcc_lo
	s_delay_alu instid0(VALU_DEP_3) | instskip(NEXT) | instid1(VALU_DEP_2)
	v_cndmask_b32_e32 v3, s9, v3, vcc_lo
	v_xor_b32_e32 v1, s20, v1
	s_delay_alu instid0(VALU_DEP_2) | instskip(NEXT) | instid1(VALU_DEP_2)
	v_xor_b32_e32 v2, s20, v3
	v_sub_co_u32 v1, vcc_lo, v1, s20
	s_delay_alu instid0(VALU_DEP_2)
	v_subrev_co_ci_u32_e32 v2, vcc_lo, s20, v2, vcc_lo
	s_and_not1_b32 vcc_lo, exec_lo, s18
	s_cbranch_vccnz .LBB31_57
.LBB31_56:
	v_cvt_f32_u32_e32 v1, s12
	s_sub_i32 s0, 0, s12
	s_delay_alu instid0(VALU_DEP_1) | instskip(SKIP_2) | instid1(VALU_DEP_1)
	v_rcp_iflag_f32_e32 v1, v1
	s_waitcnt_depctr 0xfff
	v_mul_f32_e32 v1, 0x4f7ffffe, v1
	v_cvt_u32_f32_e32 v1, v1
	s_delay_alu instid0(VALU_DEP_1) | instskip(NEXT) | instid1(VALU_DEP_1)
	v_mul_lo_u32 v2, s0, v1
	v_mul_hi_u32 v2, v1, v2
	s_delay_alu instid0(VALU_DEP_1) | instskip(NEXT) | instid1(VALU_DEP_1)
	v_add_nc_u32_e32 v1, v1, v2
	v_mul_hi_u32 v1, s2, v1
	s_delay_alu instid0(VALU_DEP_1) | instskip(NEXT) | instid1(VALU_DEP_1)
	v_mul_lo_u32 v1, v1, s12
	v_sub_nc_u32_e32 v1, s2, v1
	s_delay_alu instid0(VALU_DEP_1) | instskip(SKIP_1) | instid1(VALU_DEP_2)
	v_subrev_nc_u32_e32 v2, s12, v1
	v_cmp_le_u32_e32 vcc_lo, s12, v1
	v_cndmask_b32_e32 v1, v1, v2, vcc_lo
	s_delay_alu instid0(VALU_DEP_1) | instskip(SKIP_1) | instid1(VALU_DEP_2)
	v_subrev_nc_u32_e32 v2, s12, v1
	v_cmp_le_u32_e32 vcc_lo, s12, v1
	v_dual_cndmask_b32 v1, v1, v2 :: v_dual_mov_b32 v2, 0
.LBB31_57:
	s_delay_alu instid0(VALU_DEP_1)
	v_sub_co_u32 v13, vcc_lo, s2, v1
	s_add_u32 s0, s4, s14
	s_addc_u32 s1, s5, s15
	s_lshl_b64 s[4:5], s[16:17], 2
	v_sub_co_ci_u32_e32 v14, vcc_lo, s3, v2, vcc_lo
	v_mov_b32_e32 v1, 0
	s_add_u32 s4, s6, s4
	s_addc_u32 s5, s7, s5
	s_mul_i32 s2, s33, 3
	s_lshl_b32 s3, s33, 1
	s_mov_b32 s6, 0
	s_mov_b32 s7, 0x43600000
	s_branch .LBB31_63
.LBB31_58:                              ;   in Loop: Header=BB31_63 Depth=1
	s_or_b32 exec_lo, exec_lo, s16
.LBB31_59:                              ;   in Loop: Header=BB31_63 Depth=1
	s_delay_alu instid0(SALU_CYCLE_1)
	s_or_b32 exec_lo, exec_lo, s14
	v_lshlrev_b32_e32 v6, 16, v4
	v_lshlrev_b64 v[4:5], 2, v[0:1]
	v_lshlrev_b32_e32 v7, 8, v11
	s_add_i32 s14, s33, s33
	v_and_b32_e32 v8, 0xff, v2
	v_add3_u32 v0, s14, s33, v10
	v_perm_b32 v6, v3, v6, 0x4020c0c
	v_and_b32_e32 v7, 0xff00, v7
	v_add_co_u32 v2, vcc_lo, s0, v4
	v_add_co_ci_u32_e32 v3, vcc_lo, s1, v5, vcc_lo
	v_cmp_le_u32_e32 vcc_lo, s8, v0
	s_delay_alu instid0(VALU_DEP_4)
	v_or3_b32 v4, v6, v7, v8
	s_or_not1_b32 s14, vcc_lo, exec_lo
	global_store_b32 v[2:3], v4, off
.LBB31_60:                              ;   in Loop: Header=BB31_63 Depth=1
	s_or_b32 exec_lo, exec_lo, s13
	s_delay_alu instid0(SALU_CYCLE_1)
	s_or_not1_b32 s13, s14, exec_lo
.LBB31_61:                              ;   in Loop: Header=BB31_63 Depth=1
	s_or_b32 exec_lo, exec_lo, s12
	s_delay_alu instid0(SALU_CYCLE_1)
	s_or_not1_b32 s12, s13, exec_lo
.LBB31_62:                              ;   in Loop: Header=BB31_63 Depth=1
	s_or_b32 exec_lo, exec_lo, s9
	s_delay_alu instid0(SALU_CYCLE_1) | instskip(NEXT) | instid1(SALU_CYCLE_1)
	s_and_b32 s9, exec_lo, s12
	s_or_b32 s6, s9, s6
	s_delay_alu instid0(SALU_CYCLE_1)
	s_and_not1_b32 exec_lo, exec_lo, s6
	s_cbranch_execz .LBB31_193
.LBB31_63:                              ; =>This Inner Loop Header: Depth=1
	v_lshlrev_b64 v[4:5], 4, v[0:1]
	v_bfe_u32 v8, v0, 4, 26
	s_mov_b32 s9, exec_lo
	s_delay_alu instid0(VALU_DEP_1) | instskip(NEXT) | instid1(VALU_DEP_3)
	v_mad_u64_u32 v[2:3], null, v13, v8, 0
	v_add_co_u32 v6, vcc_lo, s28, v4
	s_delay_alu instid0(VALU_DEP_4)
	v_add_co_ci_u32_e32 v7, vcc_lo, s29, v5, vcc_lo
	v_add_co_u32 v19, vcc_lo, s30, v4
	v_add_co_ci_u32_e32 v20, vcc_lo, s31, v5, vcc_lo
	v_mad_u64_u32 v[10:11], null, v14, v8, v[3:4]
	global_load_b128 v[6:9], v[6:7], off
	global_load_b128 v[15:18], v[19:20], off
	v_add_co_u32 v4, vcc_lo, s10, v4
	v_add_co_ci_u32_e32 v5, vcc_lo, s11, v5, vcc_lo
	s_waitcnt vmcnt(0)
	v_add_f32_e32 v6, v6, v15
	v_mov_b32_e32 v3, v10
	v_dual_add_f32 v7, v7, v16 :: v_dual_add_f32 v8, v8, v17
	v_add_f32_e32 v9, v9, v18
	s_delay_alu instid0(VALU_DEP_3)
	v_lshlrev_b64 v[10:11], 2, v[2:3]
	global_load_b128 v[2:5], v[4:5], off
	v_add_co_u32 v10, vcc_lo, s4, v10
	v_add_co_ci_u32_e32 v11, vcc_lo, s5, v11, vcc_lo
	global_load_b32 v11, v[10:11], off
	v_mul_f32_e32 v10, v28, v6
	s_waitcnt vmcnt(1)
	s_delay_alu instid0(VALU_DEP_1) | instskip(SKIP_1) | instid1(VALU_DEP_1)
	v_mul_f32_e32 v2, v2, v10
	s_waitcnt vmcnt(0)
	v_div_scale_f32 v10, null, v11, v11, v2
	v_div_scale_f32 v21, vcc_lo, v2, v11, v2
	s_delay_alu instid0(VALU_DEP_2) | instskip(SKIP_2) | instid1(VALU_DEP_1)
	v_rcp_f32_e32 v12, v10
	s_waitcnt_depctr 0xfff
	v_fma_f32 v15, -v10, v12, 1.0
	v_fmac_f32_e32 v12, v15, v12
	s_delay_alu instid0(VALU_DEP_1) | instskip(SKIP_2) | instid1(VALU_DEP_1)
	v_mul_f32_e32 v15, v21, v12
	global_store_b128 v[19:20], v[6:9], off
	v_fma_f32 v22, -v10, v15, v21
	v_fmac_f32_e32 v15, v22, v12
	s_delay_alu instid0(VALU_DEP_1) | instskip(NEXT) | instid1(VALU_DEP_1)
	v_fma_f32 v10, -v10, v15, v21
	v_div_fmas_f32 v10, v10, v12, v15
	s_delay_alu instid0(VALU_DEP_1) | instskip(SKIP_1) | instid1(VALU_DEP_2)
	v_div_fixup_f32 v2, v10, v11, v2
	v_mov_b32_e32 v10, 0x80
	v_minmax_f32 v12, v2, s7, 0xc3600000
	v_mov_b32_e32 v2, 0x80
	s_delay_alu instid0(VALU_DEP_2) | instskip(NEXT) | instid1(VALU_DEP_1)
	v_and_b32_e32 v15, 0x7fffffff, v12
	v_cmpx_gt_u32_e32 0x43800000, v15
	s_cbranch_execz .LBB31_69
; %bb.64:                               ;   in Loop: Header=BB31_63 Depth=1
	s_mov_b32 s12, 0
	s_mov_b32 s13, exec_lo
                                        ; implicit-def: $vgpr6
	v_cmpx_lt_u32_e32 0x3bffffff, v15
	s_xor_b32 s13, exec_lo, s13
	s_cbranch_execnz .LBB31_160
; %bb.65:                               ;   in Loop: Header=BB31_63 Depth=1
	s_or_saveexec_b32 s13, s13
                                        ; implicit-def: $sgpr14
	s_delay_alu instid0(SALU_CYCLE_1)
	s_xor_b32 exec_lo, exec_lo, s13
	s_cbranch_execnz .LBB31_161
.LBB31_66:                              ;   in Loop: Header=BB31_63 Depth=1
	s_or_b32 exec_lo, exec_lo, s13
	v_mov_b32_e32 v10, s14
	s_and_saveexec_b32 s13, s12
.LBB31_67:                              ;   in Loop: Header=BB31_63 Depth=1
	v_lshrrev_b32_e32 v10, 24, v12
	s_delay_alu instid0(VALU_DEP_1)
	v_and_or_b32 v10, 0x80, v10, v6
.LBB31_68:                              ;   in Loop: Header=BB31_63 Depth=1
	s_or_b32 exec_lo, exec_lo, s13
.LBB31_69:                              ;   in Loop: Header=BB31_63 Depth=1
	s_delay_alu instid0(SALU_CYCLE_1) | instskip(SKIP_2) | instid1(VALU_DEP_1)
	s_or_b32 exec_lo, exec_lo, s9
	v_mul_f32_e32 v6, v28, v7
	s_mov_b32 s9, exec_lo
	v_mul_f32_e32 v3, v3, v6
	s_delay_alu instid0(VALU_DEP_1) | instskip(NEXT) | instid1(VALU_DEP_1)
	v_div_scale_f32 v6, null, v11, v11, v3
	v_rcp_f32_e32 v7, v6
	s_waitcnt_depctr 0xfff
	v_fma_f32 v12, -v6, v7, 1.0
	s_delay_alu instid0(VALU_DEP_1) | instskip(SKIP_1) | instid1(VALU_DEP_1)
	v_fmac_f32_e32 v7, v12, v7
	v_div_scale_f32 v12, vcc_lo, v3, v11, v3
	v_mul_f32_e32 v15, v12, v7
	s_delay_alu instid0(VALU_DEP_1) | instskip(NEXT) | instid1(VALU_DEP_1)
	v_fma_f32 v16, -v6, v15, v12
	v_fmac_f32_e32 v15, v16, v7
	s_delay_alu instid0(VALU_DEP_1) | instskip(NEXT) | instid1(VALU_DEP_1)
	v_fma_f32 v6, -v6, v15, v12
	v_div_fmas_f32 v6, v6, v7, v15
	s_delay_alu instid0(VALU_DEP_1) | instskip(NEXT) | instid1(VALU_DEP_1)
	v_div_fixup_f32 v3, v6, v11, v3
	v_minmax_f32 v3, v3, s7, 0xc3600000
	s_delay_alu instid0(VALU_DEP_1) | instskip(NEXT) | instid1(VALU_DEP_1)
	v_and_b32_e32 v6, 0x7fffffff, v3
	v_cmpx_gt_u32_e32 0x43800000, v6
	s_cbranch_execz .LBB31_75
; %bb.70:                               ;   in Loop: Header=BB31_63 Depth=1
	v_cmp_lt_u32_e32 vcc_lo, 0x3bffffff, v6
	s_mov_b32 s12, 0
                                        ; implicit-def: $vgpr6
	s_and_saveexec_b32 s13, vcc_lo
	s_delay_alu instid0(SALU_CYCLE_1)
	s_xor_b32 s13, exec_lo, s13
	s_cbranch_execnz .LBB31_162
; %bb.71:                               ;   in Loop: Header=BB31_63 Depth=1
	s_or_saveexec_b32 s13, s13
                                        ; implicit-def: $sgpr14
	s_delay_alu instid0(SALU_CYCLE_1)
	s_xor_b32 exec_lo, exec_lo, s13
	s_cbranch_execnz .LBB31_163
.LBB31_72:                              ;   in Loop: Header=BB31_63 Depth=1
	s_or_b32 exec_lo, exec_lo, s13
	v_mov_b32_e32 v2, s14
	s_and_saveexec_b32 s13, s12
.LBB31_73:                              ;   in Loop: Header=BB31_63 Depth=1
	v_lshrrev_b32_e32 v2, 24, v3
	s_delay_alu instid0(VALU_DEP_1)
	v_and_or_b32 v2, 0x80, v2, v6
.LBB31_74:                              ;   in Loop: Header=BB31_63 Depth=1
	s_or_b32 exec_lo, exec_lo, s13
.LBB31_75:                              ;   in Loop: Header=BB31_63 Depth=1
	s_delay_alu instid0(SALU_CYCLE_1) | instskip(SKIP_2) | instid1(VALU_DEP_1)
	s_or_b32 exec_lo, exec_lo, s9
	v_mul_f32_e32 v3, v28, v8
	s_mov_b32 s9, exec_lo
	v_mul_f32_e32 v3, v4, v3
	s_delay_alu instid0(VALU_DEP_1) | instskip(SKIP_1) | instid1(VALU_DEP_2)
	v_div_scale_f32 v4, null, v11, v11, v3
	v_div_scale_f32 v8, vcc_lo, v3, v11, v3
	v_rcp_f32_e32 v6, v4
	s_waitcnt_depctr 0xfff
	v_fma_f32 v7, -v4, v6, 1.0
	s_delay_alu instid0(VALU_DEP_1) | instskip(NEXT) | instid1(VALU_DEP_1)
	v_fmac_f32_e32 v6, v7, v6
	v_mul_f32_e32 v7, v8, v6
	s_delay_alu instid0(VALU_DEP_1) | instskip(NEXT) | instid1(VALU_DEP_1)
	v_fma_f32 v12, -v4, v7, v8
	v_fmac_f32_e32 v7, v12, v6
	s_delay_alu instid0(VALU_DEP_1) | instskip(NEXT) | instid1(VALU_DEP_1)
	v_fma_f32 v4, -v4, v7, v8
	v_div_fmas_f32 v4, v4, v6, v7
	s_delay_alu instid0(VALU_DEP_1) | instskip(SKIP_1) | instid1(VALU_DEP_2)
	v_div_fixup_f32 v3, v4, v11, v3
	v_mov_b32_e32 v4, 0x80
	v_minmax_f32 v6, v3, s7, 0xc3600000
	v_mov_b32_e32 v3, 0x80
	s_delay_alu instid0(VALU_DEP_2) | instskip(NEXT) | instid1(VALU_DEP_1)
	v_and_b32_e32 v7, 0x7fffffff, v6
	v_cmpx_gt_u32_e32 0x43800000, v7
	s_cbranch_execz .LBB31_81
; %bb.76:                               ;   in Loop: Header=BB31_63 Depth=1
	v_cmp_lt_u32_e32 vcc_lo, 0x3bffffff, v7
	s_mov_b32 s12, 0
                                        ; implicit-def: $vgpr7
	s_and_saveexec_b32 s13, vcc_lo
	s_delay_alu instid0(SALU_CYCLE_1)
	s_xor_b32 s13, exec_lo, s13
	s_cbranch_execnz .LBB31_164
; %bb.77:                               ;   in Loop: Header=BB31_63 Depth=1
	s_or_saveexec_b32 s13, s13
                                        ; implicit-def: $sgpr14
	s_delay_alu instid0(SALU_CYCLE_1)
	s_xor_b32 exec_lo, exec_lo, s13
	s_cbranch_execnz .LBB31_165
.LBB31_78:                              ;   in Loop: Header=BB31_63 Depth=1
	s_or_b32 exec_lo, exec_lo, s13
	v_mov_b32_e32 v4, s14
	s_and_saveexec_b32 s13, s12
.LBB31_79:                              ;   in Loop: Header=BB31_63 Depth=1
	v_lshrrev_b32_e32 v4, 24, v6
	s_delay_alu instid0(VALU_DEP_1)
	v_and_or_b32 v4, 0x80, v4, v7
.LBB31_80:                              ;   in Loop: Header=BB31_63 Depth=1
	s_or_b32 exec_lo, exec_lo, s13
.LBB31_81:                              ;   in Loop: Header=BB31_63 Depth=1
	s_delay_alu instid0(SALU_CYCLE_1) | instskip(SKIP_2) | instid1(VALU_DEP_1)
	s_or_b32 exec_lo, exec_lo, s9
	v_mul_f32_e32 v6, v28, v9
	s_mov_b32 s9, exec_lo
	v_mul_f32_e32 v5, v5, v6
	s_delay_alu instid0(VALU_DEP_1) | instskip(NEXT) | instid1(VALU_DEP_1)
	v_div_scale_f32 v6, null, v11, v11, v5
	v_rcp_f32_e32 v7, v6
	s_waitcnt_depctr 0xfff
	v_fma_f32 v8, -v6, v7, 1.0
	s_delay_alu instid0(VALU_DEP_1) | instskip(SKIP_1) | instid1(VALU_DEP_1)
	v_fmac_f32_e32 v7, v8, v7
	v_div_scale_f32 v8, vcc_lo, v5, v11, v5
	v_mul_f32_e32 v9, v8, v7
	s_delay_alu instid0(VALU_DEP_1) | instskip(NEXT) | instid1(VALU_DEP_1)
	v_fma_f32 v12, -v6, v9, v8
	v_fmac_f32_e32 v9, v12, v7
	s_delay_alu instid0(VALU_DEP_1) | instskip(NEXT) | instid1(VALU_DEP_1)
	v_fma_f32 v6, -v6, v9, v8
	v_div_fmas_f32 v6, v6, v7, v9
	s_delay_alu instid0(VALU_DEP_1) | instskip(NEXT) | instid1(VALU_DEP_1)
	v_div_fixup_f32 v5, v6, v11, v5
	v_minmax_f32 v5, v5, s7, 0xc3600000
	s_delay_alu instid0(VALU_DEP_1) | instskip(NEXT) | instid1(VALU_DEP_1)
	v_and_b32_e32 v6, 0x7fffffff, v5
	v_cmpx_gt_u32_e32 0x43800000, v6
	s_cbranch_execz .LBB31_87
; %bb.82:                               ;   in Loop: Header=BB31_63 Depth=1
	v_cmp_lt_u32_e32 vcc_lo, 0x3bffffff, v6
	s_mov_b32 s12, 0
                                        ; implicit-def: $vgpr6
	s_and_saveexec_b32 s13, vcc_lo
	s_delay_alu instid0(SALU_CYCLE_1)
	s_xor_b32 s13, exec_lo, s13
	s_cbranch_execnz .LBB31_166
; %bb.83:                               ;   in Loop: Header=BB31_63 Depth=1
	s_or_saveexec_b32 s13, s13
                                        ; implicit-def: $sgpr14
	s_delay_alu instid0(SALU_CYCLE_1)
	s_xor_b32 exec_lo, exec_lo, s13
	s_cbranch_execnz .LBB31_167
.LBB31_84:                              ;   in Loop: Header=BB31_63 Depth=1
	s_or_b32 exec_lo, exec_lo, s13
	v_mov_b32_e32 v3, s14
	s_and_saveexec_b32 s13, s12
.LBB31_85:                              ;   in Loop: Header=BB31_63 Depth=1
	v_lshrrev_b32_e32 v3, 24, v5
	s_delay_alu instid0(VALU_DEP_1)
	v_and_or_b32 v3, 0x80, v3, v6
.LBB31_86:                              ;   in Loop: Header=BB31_63 Depth=1
	s_or_b32 exec_lo, exec_lo, s13
.LBB31_87:                              ;   in Loop: Header=BB31_63 Depth=1
	s_delay_alu instid0(SALU_CYCLE_1)
	s_or_b32 exec_lo, exec_lo, s9
	v_lshlrev_b32_e32 v6, 16, v4
	v_lshlrev_b32_e32 v2, 8, v2
	v_lshlrev_b64 v[4:5], 2, v[0:1]
	v_and_b32_e32 v7, 0xff, v10
	v_add_nc_u32_e32 v10, s33, v0
	v_perm_b32 v6, v3, v6, 0x4020c0c
	v_and_b32_e32 v8, 0xff00, v2
	s_mov_b32 s12, -1
	v_add_co_u32 v2, vcc_lo, s0, v4
	v_add_co_ci_u32_e32 v3, vcc_lo, s1, v5, vcc_lo
	s_delay_alu instid0(VALU_DEP_3)
	v_or3_b32 v4, v6, v8, v7
	s_mov_b32 s9, exec_lo
	global_store_b32 v[2:3], v4, off
	v_cmpx_gt_u32_e64 s8, v10
	s_cbranch_execz .LBB31_62
; %bb.88:                               ;   in Loop: Header=BB31_63 Depth=1
	v_mov_b32_e32 v11, v1
	v_bfe_u32 v8, v10, 4, 26
	s_mov_b32 s12, exec_lo
	s_delay_alu instid0(VALU_DEP_2) | instskip(NEXT) | instid1(VALU_DEP_2)
	v_lshlrev_b64 v[4:5], 4, v[10:11]
	v_mad_u64_u32 v[2:3], null, v13, v8, 0
	s_delay_alu instid0(VALU_DEP_2) | instskip(NEXT) | instid1(VALU_DEP_3)
	v_add_co_u32 v6, vcc_lo, s28, v4
	v_add_co_ci_u32_e32 v7, vcc_lo, s29, v5, vcc_lo
	v_add_co_u32 v21, vcc_lo, s30, v4
	v_add_co_ci_u32_e32 v22, vcc_lo, s31, v5, vcc_lo
	v_mad_u64_u32 v[15:16], null, v14, v8, v[3:4]
	global_load_b128 v[6:9], v[6:7], off
	global_load_b128 v[17:20], v[21:22], off
	v_add_co_u32 v4, vcc_lo, s10, v4
	v_add_co_ci_u32_e32 v5, vcc_lo, s11, v5, vcc_lo
	s_waitcnt vmcnt(0)
	v_dual_add_f32 v6, v6, v17 :: v_dual_mov_b32 v3, v15
	v_add_f32_e32 v9, v9, v20
	v_dual_add_f32 v7, v7, v18 :: v_dual_add_f32 v8, v8, v19
	s_delay_alu instid0(VALU_DEP_3) | instskip(NEXT) | instid1(VALU_DEP_4)
	v_mul_f32_e32 v12, v28, v6
	v_lshlrev_b64 v[15:16], 2, v[2:3]
	global_load_b128 v[2:5], v[4:5], off
	global_store_b128 v[21:22], v[6:9], off
	v_add_co_u32 v15, vcc_lo, s4, v15
	v_add_co_ci_u32_e32 v16, vcc_lo, s5, v16, vcc_lo
	global_load_b32 v15, v[15:16], off
	s_waitcnt vmcnt(1)
	v_mul_f32_e32 v2, v2, v12
	s_waitcnt vmcnt(0)
	s_delay_alu instid0(VALU_DEP_1) | instskip(SKIP_1) | instid1(VALU_DEP_2)
	v_div_scale_f32 v12, null, v15, v15, v2
	v_div_scale_f32 v23, vcc_lo, v2, v15, v2
	v_rcp_f32_e32 v16, v12
	s_waitcnt_depctr 0xfff
	v_fma_f32 v17, -v12, v16, 1.0
	s_delay_alu instid0(VALU_DEP_1) | instskip(NEXT) | instid1(VALU_DEP_1)
	v_fmac_f32_e32 v16, v17, v16
	v_mul_f32_e32 v17, v23, v16
	s_delay_alu instid0(VALU_DEP_1) | instskip(NEXT) | instid1(VALU_DEP_1)
	v_fma_f32 v24, -v12, v17, v23
	v_fmac_f32_e32 v17, v24, v16
	s_delay_alu instid0(VALU_DEP_1) | instskip(NEXT) | instid1(VALU_DEP_1)
	v_fma_f32 v12, -v12, v17, v23
	v_div_fmas_f32 v12, v12, v16, v17
	s_delay_alu instid0(VALU_DEP_1) | instskip(SKIP_1) | instid1(VALU_DEP_2)
	v_div_fixup_f32 v2, v12, v15, v2
	v_mov_b32_e32 v12, 0x80
	v_minmax_f32 v16, v2, s7, 0xc3600000
	v_mov_b32_e32 v2, 0x80
	s_delay_alu instid0(VALU_DEP_2) | instskip(NEXT) | instid1(VALU_DEP_1)
	v_and_b32_e32 v17, 0x7fffffff, v16
	v_cmpx_gt_u32_e32 0x43800000, v17
	s_cbranch_execz .LBB31_94
; %bb.89:                               ;   in Loop: Header=BB31_63 Depth=1
	s_mov_b32 s13, 0
	s_mov_b32 s14, exec_lo
                                        ; implicit-def: $vgpr6
	v_cmpx_lt_u32_e32 0x3bffffff, v17
	s_xor_b32 s14, exec_lo, s14
	s_cbranch_execnz .LBB31_168
; %bb.90:                               ;   in Loop: Header=BB31_63 Depth=1
	s_or_saveexec_b32 s14, s14
                                        ; implicit-def: $sgpr15
	s_delay_alu instid0(SALU_CYCLE_1)
	s_xor_b32 exec_lo, exec_lo, s14
	s_cbranch_execnz .LBB31_169
.LBB31_91:                              ;   in Loop: Header=BB31_63 Depth=1
	s_or_b32 exec_lo, exec_lo, s14
	v_mov_b32_e32 v12, s15
	s_and_saveexec_b32 s14, s13
.LBB31_92:                              ;   in Loop: Header=BB31_63 Depth=1
	v_lshrrev_b32_e32 v12, 24, v16
	s_delay_alu instid0(VALU_DEP_1)
	v_and_or_b32 v12, 0x80, v12, v6
.LBB31_93:                              ;   in Loop: Header=BB31_63 Depth=1
	s_or_b32 exec_lo, exec_lo, s14
.LBB31_94:                              ;   in Loop: Header=BB31_63 Depth=1
	s_delay_alu instid0(SALU_CYCLE_1) | instskip(SKIP_2) | instid1(VALU_DEP_1)
	s_or_b32 exec_lo, exec_lo, s12
	v_mul_f32_e32 v6, v28, v7
	s_mov_b32 s12, exec_lo
	v_mul_f32_e32 v3, v3, v6
	s_delay_alu instid0(VALU_DEP_1) | instskip(NEXT) | instid1(VALU_DEP_1)
	v_div_scale_f32 v6, null, v15, v15, v3
	v_rcp_f32_e32 v7, v6
	s_waitcnt_depctr 0xfff
	v_fma_f32 v16, -v6, v7, 1.0
	s_delay_alu instid0(VALU_DEP_1) | instskip(SKIP_1) | instid1(VALU_DEP_1)
	v_fmac_f32_e32 v7, v16, v7
	v_div_scale_f32 v16, vcc_lo, v3, v15, v3
	v_mul_f32_e32 v17, v16, v7
	s_delay_alu instid0(VALU_DEP_1) | instskip(NEXT) | instid1(VALU_DEP_1)
	v_fma_f32 v18, -v6, v17, v16
	v_fmac_f32_e32 v17, v18, v7
	s_delay_alu instid0(VALU_DEP_1) | instskip(NEXT) | instid1(VALU_DEP_1)
	v_fma_f32 v6, -v6, v17, v16
	v_div_fmas_f32 v6, v6, v7, v17
	s_delay_alu instid0(VALU_DEP_1) | instskip(NEXT) | instid1(VALU_DEP_1)
	v_div_fixup_f32 v3, v6, v15, v3
	v_minmax_f32 v3, v3, s7, 0xc3600000
	s_delay_alu instid0(VALU_DEP_1) | instskip(NEXT) | instid1(VALU_DEP_1)
	v_and_b32_e32 v6, 0x7fffffff, v3
	v_cmpx_gt_u32_e32 0x43800000, v6
	s_cbranch_execz .LBB31_100
; %bb.95:                               ;   in Loop: Header=BB31_63 Depth=1
	v_cmp_lt_u32_e32 vcc_lo, 0x3bffffff, v6
	s_mov_b32 s13, 0
                                        ; implicit-def: $vgpr6
	s_and_saveexec_b32 s14, vcc_lo
	s_delay_alu instid0(SALU_CYCLE_1)
	s_xor_b32 s14, exec_lo, s14
	s_cbranch_execnz .LBB31_170
; %bb.96:                               ;   in Loop: Header=BB31_63 Depth=1
	s_or_saveexec_b32 s14, s14
                                        ; implicit-def: $sgpr15
	s_delay_alu instid0(SALU_CYCLE_1)
	s_xor_b32 exec_lo, exec_lo, s14
	s_cbranch_execnz .LBB31_171
.LBB31_97:                              ;   in Loop: Header=BB31_63 Depth=1
	s_or_b32 exec_lo, exec_lo, s14
	v_mov_b32_e32 v2, s15
	s_and_saveexec_b32 s14, s13
.LBB31_98:                              ;   in Loop: Header=BB31_63 Depth=1
	v_lshrrev_b32_e32 v2, 24, v3
	s_delay_alu instid0(VALU_DEP_1)
	v_and_or_b32 v2, 0x80, v2, v6
.LBB31_99:                              ;   in Loop: Header=BB31_63 Depth=1
	s_or_b32 exec_lo, exec_lo, s14
.LBB31_100:                             ;   in Loop: Header=BB31_63 Depth=1
	s_delay_alu instid0(SALU_CYCLE_1) | instskip(SKIP_2) | instid1(VALU_DEP_1)
	s_or_b32 exec_lo, exec_lo, s12
	v_mul_f32_e32 v3, v28, v8
	s_mov_b32 s12, exec_lo
	v_mul_f32_e32 v3, v4, v3
	s_delay_alu instid0(VALU_DEP_1) | instskip(SKIP_1) | instid1(VALU_DEP_2)
	v_div_scale_f32 v4, null, v15, v15, v3
	v_div_scale_f32 v8, vcc_lo, v3, v15, v3
	v_rcp_f32_e32 v6, v4
	s_waitcnt_depctr 0xfff
	v_fma_f32 v7, -v4, v6, 1.0
	s_delay_alu instid0(VALU_DEP_1) | instskip(NEXT) | instid1(VALU_DEP_1)
	v_fmac_f32_e32 v6, v7, v6
	v_mul_f32_e32 v7, v8, v6
	s_delay_alu instid0(VALU_DEP_1) | instskip(NEXT) | instid1(VALU_DEP_1)
	v_fma_f32 v16, -v4, v7, v8
	v_fmac_f32_e32 v7, v16, v6
	s_delay_alu instid0(VALU_DEP_1) | instskip(NEXT) | instid1(VALU_DEP_1)
	v_fma_f32 v4, -v4, v7, v8
	v_div_fmas_f32 v4, v4, v6, v7
	s_delay_alu instid0(VALU_DEP_1) | instskip(SKIP_1) | instid1(VALU_DEP_2)
	v_div_fixup_f32 v3, v4, v15, v3
	v_mov_b32_e32 v4, 0x80
	v_minmax_f32 v6, v3, s7, 0xc3600000
	v_mov_b32_e32 v3, 0x80
	s_delay_alu instid0(VALU_DEP_2) | instskip(NEXT) | instid1(VALU_DEP_1)
	v_and_b32_e32 v7, 0x7fffffff, v6
	v_cmpx_gt_u32_e32 0x43800000, v7
	s_cbranch_execz .LBB31_106
; %bb.101:                              ;   in Loop: Header=BB31_63 Depth=1
	v_cmp_lt_u32_e32 vcc_lo, 0x3bffffff, v7
	s_mov_b32 s13, 0
                                        ; implicit-def: $vgpr7
	s_and_saveexec_b32 s14, vcc_lo
	s_delay_alu instid0(SALU_CYCLE_1)
	s_xor_b32 s14, exec_lo, s14
	s_cbranch_execnz .LBB31_172
; %bb.102:                              ;   in Loop: Header=BB31_63 Depth=1
	s_or_saveexec_b32 s14, s14
                                        ; implicit-def: $sgpr15
	s_delay_alu instid0(SALU_CYCLE_1)
	s_xor_b32 exec_lo, exec_lo, s14
	s_cbranch_execnz .LBB31_173
.LBB31_103:                             ;   in Loop: Header=BB31_63 Depth=1
	s_or_b32 exec_lo, exec_lo, s14
	v_mov_b32_e32 v4, s15
	s_and_saveexec_b32 s14, s13
.LBB31_104:                             ;   in Loop: Header=BB31_63 Depth=1
	v_lshrrev_b32_e32 v4, 24, v6
	s_delay_alu instid0(VALU_DEP_1)
	v_and_or_b32 v4, 0x80, v4, v7
.LBB31_105:                             ;   in Loop: Header=BB31_63 Depth=1
	s_or_b32 exec_lo, exec_lo, s14
.LBB31_106:                             ;   in Loop: Header=BB31_63 Depth=1
	s_delay_alu instid0(SALU_CYCLE_1) | instskip(SKIP_2) | instid1(VALU_DEP_1)
	s_or_b32 exec_lo, exec_lo, s12
	v_mul_f32_e32 v6, v28, v9
	s_mov_b32 s12, exec_lo
	v_mul_f32_e32 v5, v5, v6
	s_delay_alu instid0(VALU_DEP_1) | instskip(NEXT) | instid1(VALU_DEP_1)
	v_div_scale_f32 v6, null, v15, v15, v5
	v_rcp_f32_e32 v7, v6
	s_waitcnt_depctr 0xfff
	v_fma_f32 v8, -v6, v7, 1.0
	s_delay_alu instid0(VALU_DEP_1) | instskip(SKIP_1) | instid1(VALU_DEP_1)
	v_fmac_f32_e32 v7, v8, v7
	v_div_scale_f32 v8, vcc_lo, v5, v15, v5
	v_mul_f32_e32 v9, v8, v7
	s_delay_alu instid0(VALU_DEP_1) | instskip(NEXT) | instid1(VALU_DEP_1)
	v_fma_f32 v16, -v6, v9, v8
	v_fmac_f32_e32 v9, v16, v7
	s_delay_alu instid0(VALU_DEP_1) | instskip(NEXT) | instid1(VALU_DEP_1)
	v_fma_f32 v6, -v6, v9, v8
	v_div_fmas_f32 v6, v6, v7, v9
	s_delay_alu instid0(VALU_DEP_1) | instskip(NEXT) | instid1(VALU_DEP_1)
	v_div_fixup_f32 v5, v6, v15, v5
	v_minmax_f32 v5, v5, s7, 0xc3600000
	s_delay_alu instid0(VALU_DEP_1) | instskip(NEXT) | instid1(VALU_DEP_1)
	v_and_b32_e32 v6, 0x7fffffff, v5
	v_cmpx_gt_u32_e32 0x43800000, v6
	s_cbranch_execz .LBB31_112
; %bb.107:                              ;   in Loop: Header=BB31_63 Depth=1
	v_cmp_lt_u32_e32 vcc_lo, 0x3bffffff, v6
	s_mov_b32 s13, 0
                                        ; implicit-def: $vgpr6
	s_and_saveexec_b32 s14, vcc_lo
	s_delay_alu instid0(SALU_CYCLE_1)
	s_xor_b32 s14, exec_lo, s14
	s_cbranch_execnz .LBB31_174
; %bb.108:                              ;   in Loop: Header=BB31_63 Depth=1
	s_or_saveexec_b32 s14, s14
                                        ; implicit-def: $sgpr15
	s_delay_alu instid0(SALU_CYCLE_1)
	s_xor_b32 exec_lo, exec_lo, s14
	s_cbranch_execnz .LBB31_175
.LBB31_109:                             ;   in Loop: Header=BB31_63 Depth=1
	s_or_b32 exec_lo, exec_lo, s14
	v_mov_b32_e32 v3, s15
	s_and_saveexec_b32 s14, s13
.LBB31_110:                             ;   in Loop: Header=BB31_63 Depth=1
	v_lshrrev_b32_e32 v3, 24, v5
	s_delay_alu instid0(VALU_DEP_1)
	v_and_or_b32 v3, 0x80, v3, v6
.LBB31_111:                             ;   in Loop: Header=BB31_63 Depth=1
	s_or_b32 exec_lo, exec_lo, s14
.LBB31_112:                             ;   in Loop: Header=BB31_63 Depth=1
	s_delay_alu instid0(SALU_CYCLE_1)
	s_or_b32 exec_lo, exec_lo, s12
	v_lshlrev_b32_e32 v6, 16, v4
	v_lshlrev_b32_e32 v2, 8, v2
	v_lshlrev_b64 v[4:5], 2, v[10:11]
	v_and_b32_e32 v7, 0xff, v12
	v_add_nc_u32_e32 v11, s3, v0
	v_perm_b32 v6, v3, v6, 0x4020c0c
	v_and_b32_e32 v8, 0xff00, v2
	s_mov_b32 s13, -1
	v_add_co_u32 v2, vcc_lo, s0, v4
	v_add_co_ci_u32_e32 v3, vcc_lo, s1, v5, vcc_lo
	s_delay_alu instid0(VALU_DEP_3)
	v_or3_b32 v4, v6, v8, v7
	s_mov_b32 s12, exec_lo
	global_store_b32 v[2:3], v4, off
	v_cmpx_gt_u32_e64 s8, v11
	s_cbranch_execz .LBB31_61
; %bb.113:                              ;   in Loop: Header=BB31_63 Depth=1
	v_bfe_u32 v8, v11, 4, 26
	v_mov_b32_e32 v12, v1
	s_mov_b32 s13, exec_lo
	s_delay_alu instid0(VALU_DEP_2) | instskip(NEXT) | instid1(VALU_DEP_2)
	v_mad_u64_u32 v[2:3], null, v13, v8, 0
	v_lshlrev_b64 v[4:5], 4, v[11:12]
	s_delay_alu instid0(VALU_DEP_1) | instskip(NEXT) | instid1(VALU_DEP_3)
	v_add_co_u32 v6, vcc_lo, s28, v4
	v_mad_u64_u32 v[15:16], null, v14, v8, v[3:4]
	s_delay_alu instid0(VALU_DEP_3) | instskip(SKIP_2) | instid1(VALU_DEP_4)
	v_add_co_ci_u32_e32 v7, vcc_lo, s29, v5, vcc_lo
	v_add_co_u32 v22, vcc_lo, s30, v4
	v_add_co_ci_u32_e32 v23, vcc_lo, s31, v5, vcc_lo
	v_mov_b32_e32 v3, v15
	global_load_b128 v[6:9], v[6:7], off
	global_load_b128 v[18:21], v[22:23], off
	v_add_co_u32 v4, vcc_lo, s10, v4
	v_lshlrev_b64 v[15:16], 2, v[2:3]
	v_add_co_ci_u32_e32 v5, vcc_lo, s11, v5, vcc_lo
	global_load_b128 v[2:5], v[4:5], off
	v_add_co_u32 v15, vcc_lo, s4, v15
	v_add_co_ci_u32_e32 v16, vcc_lo, s5, v16, vcc_lo
	global_load_b32 v16, v[15:16], off
	s_waitcnt vmcnt(2)
	v_dual_add_f32 v6, v6, v18 :: v_dual_add_f32 v7, v7, v19
	v_dual_add_f32 v8, v8, v20 :: v_dual_add_f32 v9, v9, v21
	s_delay_alu instid0(VALU_DEP_2) | instskip(SKIP_4) | instid1(VALU_DEP_1)
	v_mul_f32_e32 v15, v28, v6
	global_store_b128 v[22:23], v[6:9], off
	s_waitcnt vmcnt(1)
	v_mul_f32_e32 v2, v2, v15
	s_waitcnt vmcnt(0)
	v_div_scale_f32 v15, null, v16, v16, v2
	v_div_scale_f32 v24, vcc_lo, v2, v16, v2
	s_delay_alu instid0(VALU_DEP_2) | instskip(SKIP_2) | instid1(VALU_DEP_1)
	v_rcp_f32_e32 v17, v15
	s_waitcnt_depctr 0xfff
	v_fma_f32 v18, -v15, v17, 1.0
	v_fmac_f32_e32 v17, v18, v17
	s_delay_alu instid0(VALU_DEP_1) | instskip(NEXT) | instid1(VALU_DEP_1)
	v_mul_f32_e32 v18, v24, v17
	v_fma_f32 v25, -v15, v18, v24
	s_delay_alu instid0(VALU_DEP_1) | instskip(NEXT) | instid1(VALU_DEP_1)
	v_fmac_f32_e32 v18, v25, v17
	v_fma_f32 v15, -v15, v18, v24
	s_delay_alu instid0(VALU_DEP_1) | instskip(NEXT) | instid1(VALU_DEP_1)
	v_div_fmas_f32 v15, v15, v17, v18
	v_div_fixup_f32 v2, v15, v16, v2
	v_mov_b32_e32 v15, 0x80
	s_delay_alu instid0(VALU_DEP_2) | instskip(SKIP_1) | instid1(VALU_DEP_2)
	v_minmax_f32 v17, v2, s7, 0xc3600000
	v_mov_b32_e32 v2, 0x80
	v_and_b32_e32 v18, 0x7fffffff, v17
	s_delay_alu instid0(VALU_DEP_1)
	v_cmpx_gt_u32_e32 0x43800000, v18
	s_cbranch_execz .LBB31_119
; %bb.114:                              ;   in Loop: Header=BB31_63 Depth=1
	s_mov_b32 s14, 0
	s_mov_b32 s15, exec_lo
                                        ; implicit-def: $vgpr6
	v_cmpx_lt_u32_e32 0x3bffffff, v18
	s_xor_b32 s15, exec_lo, s15
	s_cbranch_execnz .LBB31_176
; %bb.115:                              ;   in Loop: Header=BB31_63 Depth=1
	s_or_saveexec_b32 s15, s15
                                        ; implicit-def: $sgpr16
	s_delay_alu instid0(SALU_CYCLE_1)
	s_xor_b32 exec_lo, exec_lo, s15
	s_cbranch_execnz .LBB31_177
.LBB31_116:                             ;   in Loop: Header=BB31_63 Depth=1
	s_or_b32 exec_lo, exec_lo, s15
	v_mov_b32_e32 v15, s16
	s_and_saveexec_b32 s15, s14
.LBB31_117:                             ;   in Loop: Header=BB31_63 Depth=1
	v_lshrrev_b32_e32 v15, 24, v17
	s_delay_alu instid0(VALU_DEP_1)
	v_and_or_b32 v15, 0x80, v15, v6
.LBB31_118:                             ;   in Loop: Header=BB31_63 Depth=1
	s_or_b32 exec_lo, exec_lo, s15
.LBB31_119:                             ;   in Loop: Header=BB31_63 Depth=1
	s_delay_alu instid0(SALU_CYCLE_1) | instskip(SKIP_2) | instid1(VALU_DEP_1)
	s_or_b32 exec_lo, exec_lo, s13
	v_mul_f32_e32 v6, v28, v7
	s_mov_b32 s13, exec_lo
	v_mul_f32_e32 v3, v3, v6
	s_delay_alu instid0(VALU_DEP_1) | instskip(NEXT) | instid1(VALU_DEP_1)
	v_div_scale_f32 v6, null, v16, v16, v3
	v_rcp_f32_e32 v7, v6
	s_waitcnt_depctr 0xfff
	v_fma_f32 v17, -v6, v7, 1.0
	s_delay_alu instid0(VALU_DEP_1) | instskip(SKIP_1) | instid1(VALU_DEP_1)
	v_fmac_f32_e32 v7, v17, v7
	v_div_scale_f32 v17, vcc_lo, v3, v16, v3
	v_mul_f32_e32 v18, v17, v7
	s_delay_alu instid0(VALU_DEP_1) | instskip(NEXT) | instid1(VALU_DEP_1)
	v_fma_f32 v19, -v6, v18, v17
	v_fmac_f32_e32 v18, v19, v7
	s_delay_alu instid0(VALU_DEP_1) | instskip(NEXT) | instid1(VALU_DEP_1)
	v_fma_f32 v6, -v6, v18, v17
	v_div_fmas_f32 v6, v6, v7, v18
	s_delay_alu instid0(VALU_DEP_1) | instskip(NEXT) | instid1(VALU_DEP_1)
	v_div_fixup_f32 v3, v6, v16, v3
	v_minmax_f32 v3, v3, s7, 0xc3600000
	s_delay_alu instid0(VALU_DEP_1) | instskip(NEXT) | instid1(VALU_DEP_1)
	v_and_b32_e32 v6, 0x7fffffff, v3
	v_cmpx_gt_u32_e32 0x43800000, v6
	s_cbranch_execz .LBB31_125
; %bb.120:                              ;   in Loop: Header=BB31_63 Depth=1
	v_cmp_lt_u32_e32 vcc_lo, 0x3bffffff, v6
	s_mov_b32 s14, 0
                                        ; implicit-def: $vgpr6
	s_and_saveexec_b32 s15, vcc_lo
	s_delay_alu instid0(SALU_CYCLE_1)
	s_xor_b32 s15, exec_lo, s15
	s_cbranch_execnz .LBB31_178
; %bb.121:                              ;   in Loop: Header=BB31_63 Depth=1
	s_or_saveexec_b32 s15, s15
                                        ; implicit-def: $sgpr16
	s_delay_alu instid0(SALU_CYCLE_1)
	s_xor_b32 exec_lo, exec_lo, s15
	s_cbranch_execnz .LBB31_179
.LBB31_122:                             ;   in Loop: Header=BB31_63 Depth=1
	s_or_b32 exec_lo, exec_lo, s15
	v_mov_b32_e32 v2, s16
	s_and_saveexec_b32 s15, s14
.LBB31_123:                             ;   in Loop: Header=BB31_63 Depth=1
	v_lshrrev_b32_e32 v2, 24, v3
	s_delay_alu instid0(VALU_DEP_1)
	v_and_or_b32 v2, 0x80, v2, v6
.LBB31_124:                             ;   in Loop: Header=BB31_63 Depth=1
	s_or_b32 exec_lo, exec_lo, s15
.LBB31_125:                             ;   in Loop: Header=BB31_63 Depth=1
	s_delay_alu instid0(SALU_CYCLE_1) | instskip(SKIP_2) | instid1(VALU_DEP_1)
	s_or_b32 exec_lo, exec_lo, s13
	v_mul_f32_e32 v3, v28, v8
	s_mov_b32 s13, exec_lo
	v_mul_f32_e32 v3, v4, v3
	s_delay_alu instid0(VALU_DEP_1) | instskip(SKIP_1) | instid1(VALU_DEP_2)
	v_div_scale_f32 v4, null, v16, v16, v3
	v_div_scale_f32 v8, vcc_lo, v3, v16, v3
	v_rcp_f32_e32 v6, v4
	s_waitcnt_depctr 0xfff
	v_fma_f32 v7, -v4, v6, 1.0
	s_delay_alu instid0(VALU_DEP_1) | instskip(NEXT) | instid1(VALU_DEP_1)
	v_fmac_f32_e32 v6, v7, v6
	v_mul_f32_e32 v7, v8, v6
	s_delay_alu instid0(VALU_DEP_1) | instskip(NEXT) | instid1(VALU_DEP_1)
	v_fma_f32 v17, -v4, v7, v8
	v_fmac_f32_e32 v7, v17, v6
	s_delay_alu instid0(VALU_DEP_1) | instskip(NEXT) | instid1(VALU_DEP_1)
	v_fma_f32 v4, -v4, v7, v8
	v_div_fmas_f32 v4, v4, v6, v7
	s_delay_alu instid0(VALU_DEP_1) | instskip(SKIP_1) | instid1(VALU_DEP_2)
	v_div_fixup_f32 v3, v4, v16, v3
	v_mov_b32_e32 v4, 0x80
	v_minmax_f32 v6, v3, s7, 0xc3600000
	v_mov_b32_e32 v3, 0x80
	s_delay_alu instid0(VALU_DEP_2) | instskip(NEXT) | instid1(VALU_DEP_1)
	v_and_b32_e32 v7, 0x7fffffff, v6
	v_cmpx_gt_u32_e32 0x43800000, v7
	s_cbranch_execz .LBB31_131
; %bb.126:                              ;   in Loop: Header=BB31_63 Depth=1
	v_cmp_lt_u32_e32 vcc_lo, 0x3bffffff, v7
	s_mov_b32 s14, 0
                                        ; implicit-def: $vgpr7
	s_and_saveexec_b32 s15, vcc_lo
	s_delay_alu instid0(SALU_CYCLE_1)
	s_xor_b32 s15, exec_lo, s15
	s_cbranch_execnz .LBB31_180
; %bb.127:                              ;   in Loop: Header=BB31_63 Depth=1
	s_or_saveexec_b32 s15, s15
                                        ; implicit-def: $sgpr16
	s_delay_alu instid0(SALU_CYCLE_1)
	s_xor_b32 exec_lo, exec_lo, s15
	s_cbranch_execnz .LBB31_181
.LBB31_128:                             ;   in Loop: Header=BB31_63 Depth=1
	s_or_b32 exec_lo, exec_lo, s15
	v_mov_b32_e32 v4, s16
	s_and_saveexec_b32 s15, s14
.LBB31_129:                             ;   in Loop: Header=BB31_63 Depth=1
	v_lshrrev_b32_e32 v4, 24, v6
	s_delay_alu instid0(VALU_DEP_1)
	v_and_or_b32 v4, 0x80, v4, v7
.LBB31_130:                             ;   in Loop: Header=BB31_63 Depth=1
	s_or_b32 exec_lo, exec_lo, s15
.LBB31_131:                             ;   in Loop: Header=BB31_63 Depth=1
	s_delay_alu instid0(SALU_CYCLE_1) | instskip(SKIP_2) | instid1(VALU_DEP_1)
	s_or_b32 exec_lo, exec_lo, s13
	v_mul_f32_e32 v6, v28, v9
	s_mov_b32 s13, exec_lo
	v_mul_f32_e32 v5, v5, v6
	s_delay_alu instid0(VALU_DEP_1) | instskip(NEXT) | instid1(VALU_DEP_1)
	v_div_scale_f32 v6, null, v16, v16, v5
	v_rcp_f32_e32 v7, v6
	s_waitcnt_depctr 0xfff
	v_fma_f32 v8, -v6, v7, 1.0
	s_delay_alu instid0(VALU_DEP_1) | instskip(SKIP_1) | instid1(VALU_DEP_1)
	v_fmac_f32_e32 v7, v8, v7
	v_div_scale_f32 v8, vcc_lo, v5, v16, v5
	v_mul_f32_e32 v9, v8, v7
	s_delay_alu instid0(VALU_DEP_1) | instskip(NEXT) | instid1(VALU_DEP_1)
	v_fma_f32 v17, -v6, v9, v8
	v_fmac_f32_e32 v9, v17, v7
	s_delay_alu instid0(VALU_DEP_1) | instskip(NEXT) | instid1(VALU_DEP_1)
	v_fma_f32 v6, -v6, v9, v8
	v_div_fmas_f32 v6, v6, v7, v9
	s_delay_alu instid0(VALU_DEP_1) | instskip(NEXT) | instid1(VALU_DEP_1)
	v_div_fixup_f32 v5, v6, v16, v5
	v_minmax_f32 v5, v5, s7, 0xc3600000
	s_delay_alu instid0(VALU_DEP_1) | instskip(NEXT) | instid1(VALU_DEP_1)
	v_and_b32_e32 v6, 0x7fffffff, v5
	v_cmpx_gt_u32_e32 0x43800000, v6
	s_cbranch_execz .LBB31_137
; %bb.132:                              ;   in Loop: Header=BB31_63 Depth=1
	v_cmp_lt_u32_e32 vcc_lo, 0x3bffffff, v6
	s_mov_b32 s14, 0
                                        ; implicit-def: $vgpr6
	s_and_saveexec_b32 s15, vcc_lo
	s_delay_alu instid0(SALU_CYCLE_1)
	s_xor_b32 s15, exec_lo, s15
	s_cbranch_execnz .LBB31_182
; %bb.133:                              ;   in Loop: Header=BB31_63 Depth=1
	s_or_saveexec_b32 s15, s15
                                        ; implicit-def: $sgpr16
	s_delay_alu instid0(SALU_CYCLE_1)
	s_xor_b32 exec_lo, exec_lo, s15
	s_cbranch_execnz .LBB31_183
.LBB31_134:                             ;   in Loop: Header=BB31_63 Depth=1
	s_or_b32 exec_lo, exec_lo, s15
	v_mov_b32_e32 v3, s16
	s_and_saveexec_b32 s15, s14
.LBB31_135:                             ;   in Loop: Header=BB31_63 Depth=1
	v_lshrrev_b32_e32 v3, 24, v5
	s_delay_alu instid0(VALU_DEP_1)
	v_and_or_b32 v3, 0x80, v3, v6
.LBB31_136:                             ;   in Loop: Header=BB31_63 Depth=1
	s_or_b32 exec_lo, exec_lo, s15
.LBB31_137:                             ;   in Loop: Header=BB31_63 Depth=1
	s_delay_alu instid0(SALU_CYCLE_1)
	s_or_b32 exec_lo, exec_lo, s13
	v_lshlrev_b32_e32 v6, 16, v4
	v_lshlrev_b32_e32 v2, 8, v2
	v_lshlrev_b64 v[4:5], 2, v[11:12]
	v_and_b32_e32 v7, 0xff, v15
	v_add_nc_u32_e32 v0, s2, v0
	v_perm_b32 v6, v3, v6, 0x4020c0c
	v_and_b32_e32 v8, 0xff00, v2
	s_mov_b32 s14, -1
	v_add_co_u32 v2, vcc_lo, s0, v4
	v_add_co_ci_u32_e32 v3, vcc_lo, s1, v5, vcc_lo
	s_delay_alu instid0(VALU_DEP_3)
	v_or3_b32 v4, v6, v8, v7
	s_mov_b32 s13, exec_lo
	global_store_b32 v[2:3], v4, off
	v_cmpx_gt_u32_e64 s8, v0
	s_cbranch_execz .LBB31_60
; %bb.138:                              ;   in Loop: Header=BB31_63 Depth=1
	v_lshlrev_b64 v[4:5], 4, v[0:1]
	v_bfe_u32 v8, v0, 4, 26
	s_mov_b32 s14, exec_lo
	s_delay_alu instid0(VALU_DEP_1) | instskip(NEXT) | instid1(VALU_DEP_3)
	v_mad_u64_u32 v[2:3], null, v13, v8, 0
	v_add_co_u32 v6, vcc_lo, s28, v4
	s_delay_alu instid0(VALU_DEP_4)
	v_add_co_ci_u32_e32 v7, vcc_lo, s29, v5, vcc_lo
	v_add_co_u32 v20, vcc_lo, s30, v4
	v_add_co_ci_u32_e32 v21, vcc_lo, s31, v5, vcc_lo
	v_mad_u64_u32 v[11:12], null, v14, v8, v[3:4]
	global_load_b128 v[6:9], v[6:7], off
	global_load_b128 v[16:19], v[20:21], off
	v_add_co_u32 v4, vcc_lo, s10, v4
	v_add_co_ci_u32_e32 v5, vcc_lo, s11, v5, vcc_lo
	s_waitcnt vmcnt(0)
	v_dual_mov_b32 v3, v11 :: v_dual_add_f32 v6, v6, v16
	s_delay_alu instid0(VALU_DEP_1)
	v_lshlrev_b64 v[11:12], 2, v[2:3]
	global_load_b128 v[2:5], v[4:5], off
	v_dual_add_f32 v8, v8, v18 :: v_dual_add_f32 v9, v9, v19
	v_add_f32_e32 v7, v7, v17
	v_add_co_u32 v11, vcc_lo, s4, v11
	v_add_co_ci_u32_e32 v12, vcc_lo, s5, v12, vcc_lo
	global_store_b128 v[20:21], v[6:9], off
	global_load_b32 v12, v[11:12], off
	v_mul_f32_e32 v11, v28, v6
	s_waitcnt vmcnt(1)
	s_delay_alu instid0(VALU_DEP_1) | instskip(SKIP_1) | instid1(VALU_DEP_1)
	v_mul_f32_e32 v2, v2, v11
	s_waitcnt vmcnt(0)
	v_div_scale_f32 v11, null, v12, v12, v2
	v_div_scale_f32 v22, vcc_lo, v2, v12, v2
	s_delay_alu instid0(VALU_DEP_2) | instskip(SKIP_2) | instid1(VALU_DEP_1)
	v_rcp_f32_e32 v15, v11
	s_waitcnt_depctr 0xfff
	v_fma_f32 v16, -v11, v15, 1.0
	v_fmac_f32_e32 v15, v16, v15
	s_delay_alu instid0(VALU_DEP_1) | instskip(NEXT) | instid1(VALU_DEP_1)
	v_mul_f32_e32 v16, v22, v15
	v_fma_f32 v23, -v11, v16, v22
	s_delay_alu instid0(VALU_DEP_1) | instskip(NEXT) | instid1(VALU_DEP_1)
	v_fmac_f32_e32 v16, v23, v15
	v_fma_f32 v11, -v11, v16, v22
	s_delay_alu instid0(VALU_DEP_1) | instskip(NEXT) | instid1(VALU_DEP_1)
	v_div_fmas_f32 v11, v11, v15, v16
	v_div_fixup_f32 v2, v11, v12, v2
	v_mov_b32_e32 v11, 0x80
	s_delay_alu instid0(VALU_DEP_2) | instskip(SKIP_1) | instid1(VALU_DEP_2)
	v_minmax_f32 v15, v2, s7, 0xc3600000
	v_mov_b32_e32 v2, 0x80
	v_and_b32_e32 v16, 0x7fffffff, v15
	s_delay_alu instid0(VALU_DEP_1)
	v_cmpx_gt_u32_e32 0x43800000, v16
	s_cbranch_execz .LBB31_144
; %bb.139:                              ;   in Loop: Header=BB31_63 Depth=1
	s_mov_b32 s15, 0
	s_mov_b32 s16, exec_lo
                                        ; implicit-def: $vgpr6
	v_cmpx_lt_u32_e32 0x3bffffff, v16
	s_xor_b32 s16, exec_lo, s16
	s_cbranch_execnz .LBB31_184
; %bb.140:                              ;   in Loop: Header=BB31_63 Depth=1
	s_or_saveexec_b32 s16, s16
                                        ; implicit-def: $sgpr17
	s_delay_alu instid0(SALU_CYCLE_1)
	s_xor_b32 exec_lo, exec_lo, s16
	s_cbranch_execnz .LBB31_185
.LBB31_141:                             ;   in Loop: Header=BB31_63 Depth=1
	s_or_b32 exec_lo, exec_lo, s16
	v_mov_b32_e32 v2, s17
	s_and_saveexec_b32 s16, s15
.LBB31_142:                             ;   in Loop: Header=BB31_63 Depth=1
	v_lshrrev_b32_e32 v2, 24, v15
	s_delay_alu instid0(VALU_DEP_1)
	v_and_or_b32 v2, 0x80, v2, v6
.LBB31_143:                             ;   in Loop: Header=BB31_63 Depth=1
	s_or_b32 exec_lo, exec_lo, s16
.LBB31_144:                             ;   in Loop: Header=BB31_63 Depth=1
	s_delay_alu instid0(SALU_CYCLE_1) | instskip(SKIP_2) | instid1(VALU_DEP_1)
	s_or_b32 exec_lo, exec_lo, s14
	v_mul_f32_e32 v6, v28, v7
	s_mov_b32 s14, exec_lo
	v_mul_f32_e32 v3, v3, v6
	s_delay_alu instid0(VALU_DEP_1) | instskip(NEXT) | instid1(VALU_DEP_1)
	v_div_scale_f32 v6, null, v12, v12, v3
	v_rcp_f32_e32 v7, v6
	s_waitcnt_depctr 0xfff
	v_fma_f32 v15, -v6, v7, 1.0
	s_delay_alu instid0(VALU_DEP_1) | instskip(SKIP_1) | instid1(VALU_DEP_1)
	v_fmac_f32_e32 v7, v15, v7
	v_div_scale_f32 v15, vcc_lo, v3, v12, v3
	v_mul_f32_e32 v16, v15, v7
	s_delay_alu instid0(VALU_DEP_1) | instskip(NEXT) | instid1(VALU_DEP_1)
	v_fma_f32 v17, -v6, v16, v15
	v_fmac_f32_e32 v16, v17, v7
	s_delay_alu instid0(VALU_DEP_1) | instskip(NEXT) | instid1(VALU_DEP_1)
	v_fma_f32 v6, -v6, v16, v15
	v_div_fmas_f32 v6, v6, v7, v16
	s_delay_alu instid0(VALU_DEP_1) | instskip(NEXT) | instid1(VALU_DEP_1)
	v_div_fixup_f32 v3, v6, v12, v3
	v_minmax_f32 v3, v3, s7, 0xc3600000
	s_delay_alu instid0(VALU_DEP_1) | instskip(NEXT) | instid1(VALU_DEP_1)
	v_and_b32_e32 v6, 0x7fffffff, v3
	v_cmpx_gt_u32_e32 0x43800000, v6
	s_cbranch_execz .LBB31_150
; %bb.145:                              ;   in Loop: Header=BB31_63 Depth=1
	v_cmp_lt_u32_e32 vcc_lo, 0x3bffffff, v6
	s_mov_b32 s15, 0
                                        ; implicit-def: $vgpr6
	s_and_saveexec_b32 s16, vcc_lo
	s_delay_alu instid0(SALU_CYCLE_1)
	s_xor_b32 s16, exec_lo, s16
	s_cbranch_execnz .LBB31_186
; %bb.146:                              ;   in Loop: Header=BB31_63 Depth=1
	s_or_saveexec_b32 s16, s16
                                        ; implicit-def: $sgpr17
	s_delay_alu instid0(SALU_CYCLE_1)
	s_xor_b32 exec_lo, exec_lo, s16
	s_cbranch_execnz .LBB31_187
.LBB31_147:                             ;   in Loop: Header=BB31_63 Depth=1
	s_or_b32 exec_lo, exec_lo, s16
	v_mov_b32_e32 v11, s17
	s_and_saveexec_b32 s16, s15
.LBB31_148:                             ;   in Loop: Header=BB31_63 Depth=1
	v_lshrrev_b32_e32 v3, 24, v3
	s_delay_alu instid0(VALU_DEP_1)
	v_and_or_b32 v11, 0x80, v3, v6
.LBB31_149:                             ;   in Loop: Header=BB31_63 Depth=1
	s_or_b32 exec_lo, exec_lo, s16
.LBB31_150:                             ;   in Loop: Header=BB31_63 Depth=1
	s_delay_alu instid0(SALU_CYCLE_1) | instskip(SKIP_2) | instid1(VALU_DEP_1)
	s_or_b32 exec_lo, exec_lo, s14
	v_mul_f32_e32 v3, v28, v8
	s_mov_b32 s14, exec_lo
	v_mul_f32_e32 v3, v4, v3
	s_delay_alu instid0(VALU_DEP_1) | instskip(SKIP_1) | instid1(VALU_DEP_2)
	v_div_scale_f32 v4, null, v12, v12, v3
	v_div_scale_f32 v8, vcc_lo, v3, v12, v3
	v_rcp_f32_e32 v6, v4
	s_waitcnt_depctr 0xfff
	v_fma_f32 v7, -v4, v6, 1.0
	s_delay_alu instid0(VALU_DEP_1) | instskip(NEXT) | instid1(VALU_DEP_1)
	v_fmac_f32_e32 v6, v7, v6
	v_mul_f32_e32 v7, v8, v6
	s_delay_alu instid0(VALU_DEP_1) | instskip(NEXT) | instid1(VALU_DEP_1)
	v_fma_f32 v15, -v4, v7, v8
	v_fmac_f32_e32 v7, v15, v6
	s_delay_alu instid0(VALU_DEP_1) | instskip(NEXT) | instid1(VALU_DEP_1)
	v_fma_f32 v4, -v4, v7, v8
	v_div_fmas_f32 v4, v4, v6, v7
	s_delay_alu instid0(VALU_DEP_1) | instskip(SKIP_1) | instid1(VALU_DEP_2)
	v_div_fixup_f32 v3, v4, v12, v3
	v_mov_b32_e32 v4, 0x80
	v_minmax_f32 v6, v3, s7, 0xc3600000
	v_mov_b32_e32 v3, 0x80
	s_delay_alu instid0(VALU_DEP_2) | instskip(NEXT) | instid1(VALU_DEP_1)
	v_and_b32_e32 v7, 0x7fffffff, v6
	v_cmpx_gt_u32_e32 0x43800000, v7
	s_cbranch_execz .LBB31_156
; %bb.151:                              ;   in Loop: Header=BB31_63 Depth=1
	v_cmp_lt_u32_e32 vcc_lo, 0x3bffffff, v7
	s_mov_b32 s15, 0
                                        ; implicit-def: $vgpr7
	s_and_saveexec_b32 s16, vcc_lo
	s_delay_alu instid0(SALU_CYCLE_1)
	s_xor_b32 s16, exec_lo, s16
	s_cbranch_execnz .LBB31_188
; %bb.152:                              ;   in Loop: Header=BB31_63 Depth=1
	s_or_saveexec_b32 s16, s16
                                        ; implicit-def: $sgpr17
	s_delay_alu instid0(SALU_CYCLE_1)
	s_xor_b32 exec_lo, exec_lo, s16
	s_cbranch_execnz .LBB31_189
.LBB31_153:                             ;   in Loop: Header=BB31_63 Depth=1
	s_or_b32 exec_lo, exec_lo, s16
	v_mov_b32_e32 v4, s17
	s_and_saveexec_b32 s16, s15
.LBB31_154:                             ;   in Loop: Header=BB31_63 Depth=1
	v_lshrrev_b32_e32 v4, 24, v6
	s_delay_alu instid0(VALU_DEP_1)
	v_and_or_b32 v4, 0x80, v4, v7
.LBB31_155:                             ;   in Loop: Header=BB31_63 Depth=1
	s_or_b32 exec_lo, exec_lo, s16
.LBB31_156:                             ;   in Loop: Header=BB31_63 Depth=1
	s_delay_alu instid0(SALU_CYCLE_1) | instskip(SKIP_2) | instid1(VALU_DEP_1)
	s_or_b32 exec_lo, exec_lo, s14
	v_mul_f32_e32 v6, v28, v9
	s_mov_b32 s14, exec_lo
	v_mul_f32_e32 v5, v5, v6
	s_delay_alu instid0(VALU_DEP_1) | instskip(NEXT) | instid1(VALU_DEP_1)
	v_div_scale_f32 v6, null, v12, v12, v5
	v_rcp_f32_e32 v7, v6
	s_waitcnt_depctr 0xfff
	v_fma_f32 v8, -v6, v7, 1.0
	s_delay_alu instid0(VALU_DEP_1) | instskip(SKIP_1) | instid1(VALU_DEP_1)
	v_fmac_f32_e32 v7, v8, v7
	v_div_scale_f32 v8, vcc_lo, v5, v12, v5
	v_mul_f32_e32 v9, v8, v7
	s_delay_alu instid0(VALU_DEP_1) | instskip(NEXT) | instid1(VALU_DEP_1)
	v_fma_f32 v15, -v6, v9, v8
	v_fmac_f32_e32 v9, v15, v7
	s_delay_alu instid0(VALU_DEP_1) | instskip(NEXT) | instid1(VALU_DEP_1)
	v_fma_f32 v6, -v6, v9, v8
	v_div_fmas_f32 v6, v6, v7, v9
	s_delay_alu instid0(VALU_DEP_1) | instskip(NEXT) | instid1(VALU_DEP_1)
	v_div_fixup_f32 v5, v6, v12, v5
	v_minmax_f32 v5, v5, s7, 0xc3600000
	s_delay_alu instid0(VALU_DEP_1) | instskip(NEXT) | instid1(VALU_DEP_1)
	v_and_b32_e32 v6, 0x7fffffff, v5
	v_cmpx_gt_u32_e32 0x43800000, v6
	s_cbranch_execz .LBB31_59
; %bb.157:                              ;   in Loop: Header=BB31_63 Depth=1
	v_cmp_lt_u32_e32 vcc_lo, 0x3bffffff, v6
	s_mov_b32 s15, 0
                                        ; implicit-def: $vgpr6
	s_and_saveexec_b32 s16, vcc_lo
	s_delay_alu instid0(SALU_CYCLE_1)
	s_xor_b32 s16, exec_lo, s16
	s_cbranch_execnz .LBB31_190
; %bb.158:                              ;   in Loop: Header=BB31_63 Depth=1
	s_or_saveexec_b32 s16, s16
                                        ; implicit-def: $sgpr17
	s_delay_alu instid0(SALU_CYCLE_1)
	s_xor_b32 exec_lo, exec_lo, s16
	s_cbranch_execnz .LBB31_191
.LBB31_159:                             ;   in Loop: Header=BB31_63 Depth=1
	s_or_b32 exec_lo, exec_lo, s16
	v_mov_b32_e32 v3, s17
	s_and_saveexec_b32 s16, s15
	s_cbranch_execz .LBB31_58
	s_branch .LBB31_192
.LBB31_160:                             ;   in Loop: Header=BB31_63 Depth=1
	v_bfe_u32 v6, v12, 20, 1
	s_mov_b32 s12, exec_lo
	s_delay_alu instid0(VALU_DEP_1) | instskip(NEXT) | instid1(VALU_DEP_1)
	v_add3_u32 v6, v12, v6, 0x487ffff
	v_lshrrev_b32_e32 v6, 20, v6
	s_or_saveexec_b32 s13, s13
                                        ; implicit-def: $sgpr14
	s_delay_alu instid0(SALU_CYCLE_1)
	s_xor_b32 exec_lo, exec_lo, s13
	s_cbranch_execz .LBB31_66
.LBB31_161:                             ;   in Loop: Header=BB31_63 Depth=1
	v_add_f32_e64 v6, 0x46000000, |v12|
	s_and_not1_b32 s12, s12, exec_lo
	s_mov_b32 s14, 0
	s_delay_alu instid0(VALU_DEP_1) | instskip(NEXT) | instid1(VALU_DEP_1)
	v_and_b32_e32 v6, 0xff, v6
	v_cmp_ne_u32_e32 vcc_lo, 0, v6
	s_and_b32 s15, vcc_lo, exec_lo
	s_delay_alu instid0(SALU_CYCLE_1)
	s_or_b32 s12, s12, s15
	s_or_b32 exec_lo, exec_lo, s13
	v_mov_b32_e32 v10, s14
	s_and_saveexec_b32 s13, s12
	s_cbranch_execnz .LBB31_67
	s_branch .LBB31_68
.LBB31_162:                             ;   in Loop: Header=BB31_63 Depth=1
	v_bfe_u32 v2, v3, 20, 1
	s_mov_b32 s12, exec_lo
	s_delay_alu instid0(VALU_DEP_1) | instskip(NEXT) | instid1(VALU_DEP_1)
	v_add3_u32 v2, v3, v2, 0x487ffff
	v_lshrrev_b32_e32 v6, 20, v2
	s_or_saveexec_b32 s13, s13
                                        ; implicit-def: $sgpr14
	s_delay_alu instid0(SALU_CYCLE_1)
	s_xor_b32 exec_lo, exec_lo, s13
	s_cbranch_execz .LBB31_72
.LBB31_163:                             ;   in Loop: Header=BB31_63 Depth=1
	v_add_f32_e64 v2, 0x46000000, |v3|
	s_and_not1_b32 s12, s12, exec_lo
	s_mov_b32 s14, 0
	s_delay_alu instid0(VALU_DEP_1) | instskip(NEXT) | instid1(VALU_DEP_1)
	v_and_b32_e32 v6, 0xff, v2
	v_cmp_ne_u32_e32 vcc_lo, 0, v6
	s_and_b32 s15, vcc_lo, exec_lo
	s_delay_alu instid0(SALU_CYCLE_1)
	s_or_b32 s12, s12, s15
	s_or_b32 exec_lo, exec_lo, s13
	v_mov_b32_e32 v2, s14
	s_and_saveexec_b32 s13, s12
	s_cbranch_execnz .LBB31_73
	s_branch .LBB31_74
.LBB31_164:                             ;   in Loop: Header=BB31_63 Depth=1
	v_bfe_u32 v4, v6, 20, 1
	s_mov_b32 s12, exec_lo
	s_delay_alu instid0(VALU_DEP_1) | instskip(NEXT) | instid1(VALU_DEP_1)
	v_add3_u32 v4, v6, v4, 0x487ffff
	v_lshrrev_b32_e32 v7, 20, v4
	s_or_saveexec_b32 s13, s13
                                        ; implicit-def: $sgpr14
	s_delay_alu instid0(SALU_CYCLE_1)
	s_xor_b32 exec_lo, exec_lo, s13
	s_cbranch_execz .LBB31_78
.LBB31_165:                             ;   in Loop: Header=BB31_63 Depth=1
	v_add_f32_e64 v4, 0x46000000, |v6|
	s_and_not1_b32 s12, s12, exec_lo
	s_mov_b32 s14, 0
	s_delay_alu instid0(VALU_DEP_1) | instskip(NEXT) | instid1(VALU_DEP_1)
	v_and_b32_e32 v7, 0xff, v4
	v_cmp_ne_u32_e32 vcc_lo, 0, v7
	s_and_b32 s15, vcc_lo, exec_lo
	s_delay_alu instid0(SALU_CYCLE_1)
	s_or_b32 s12, s12, s15
	s_or_b32 exec_lo, exec_lo, s13
	v_mov_b32_e32 v4, s14
	s_and_saveexec_b32 s13, s12
	s_cbranch_execnz .LBB31_79
	s_branch .LBB31_80
.LBB31_166:                             ;   in Loop: Header=BB31_63 Depth=1
	v_bfe_u32 v3, v5, 20, 1
	s_mov_b32 s12, exec_lo
	s_delay_alu instid0(VALU_DEP_1) | instskip(NEXT) | instid1(VALU_DEP_1)
	v_add3_u32 v3, v5, v3, 0x487ffff
	v_lshrrev_b32_e32 v6, 20, v3
	s_or_saveexec_b32 s13, s13
                                        ; implicit-def: $sgpr14
	s_delay_alu instid0(SALU_CYCLE_1)
	s_xor_b32 exec_lo, exec_lo, s13
	s_cbranch_execz .LBB31_84
.LBB31_167:                             ;   in Loop: Header=BB31_63 Depth=1
	v_add_f32_e64 v3, 0x46000000, |v5|
	s_and_not1_b32 s12, s12, exec_lo
	s_mov_b32 s14, 0
	s_delay_alu instid0(VALU_DEP_1) | instskip(NEXT) | instid1(VALU_DEP_1)
	v_and_b32_e32 v6, 0xff, v3
	v_cmp_ne_u32_e32 vcc_lo, 0, v6
	s_and_b32 s15, vcc_lo, exec_lo
	s_delay_alu instid0(SALU_CYCLE_1)
	s_or_b32 s12, s12, s15
	s_or_b32 exec_lo, exec_lo, s13
	v_mov_b32_e32 v3, s14
	s_and_saveexec_b32 s13, s12
	s_cbranch_execnz .LBB31_85
	s_branch .LBB31_86
.LBB31_168:                             ;   in Loop: Header=BB31_63 Depth=1
	v_bfe_u32 v6, v16, 20, 1
	s_mov_b32 s13, exec_lo
	s_delay_alu instid0(VALU_DEP_1) | instskip(NEXT) | instid1(VALU_DEP_1)
	v_add3_u32 v6, v16, v6, 0x487ffff
	v_lshrrev_b32_e32 v6, 20, v6
	s_or_saveexec_b32 s14, s14
                                        ; implicit-def: $sgpr15
	s_delay_alu instid0(SALU_CYCLE_1)
	s_xor_b32 exec_lo, exec_lo, s14
	s_cbranch_execz .LBB31_91
.LBB31_169:                             ;   in Loop: Header=BB31_63 Depth=1
	v_add_f32_e64 v6, 0x46000000, |v16|
	s_and_not1_b32 s13, s13, exec_lo
	s_mov_b32 s15, 0
	s_delay_alu instid0(VALU_DEP_1) | instskip(NEXT) | instid1(VALU_DEP_1)
	v_and_b32_e32 v6, 0xff, v6
	v_cmp_ne_u32_e32 vcc_lo, 0, v6
	s_and_b32 s16, vcc_lo, exec_lo
	s_delay_alu instid0(SALU_CYCLE_1)
	s_or_b32 s13, s13, s16
	s_or_b32 exec_lo, exec_lo, s14
	v_mov_b32_e32 v12, s15
	s_and_saveexec_b32 s14, s13
	s_cbranch_execnz .LBB31_92
	s_branch .LBB31_93
.LBB31_170:                             ;   in Loop: Header=BB31_63 Depth=1
	v_bfe_u32 v2, v3, 20, 1
	s_mov_b32 s13, exec_lo
	s_delay_alu instid0(VALU_DEP_1) | instskip(NEXT) | instid1(VALU_DEP_1)
	v_add3_u32 v2, v3, v2, 0x487ffff
	v_lshrrev_b32_e32 v6, 20, v2
	s_or_saveexec_b32 s14, s14
                                        ; implicit-def: $sgpr15
	s_delay_alu instid0(SALU_CYCLE_1)
	s_xor_b32 exec_lo, exec_lo, s14
	s_cbranch_execz .LBB31_97
.LBB31_171:                             ;   in Loop: Header=BB31_63 Depth=1
	v_add_f32_e64 v2, 0x46000000, |v3|
	s_and_not1_b32 s13, s13, exec_lo
	s_mov_b32 s15, 0
	s_delay_alu instid0(VALU_DEP_1) | instskip(NEXT) | instid1(VALU_DEP_1)
	v_and_b32_e32 v6, 0xff, v2
	v_cmp_ne_u32_e32 vcc_lo, 0, v6
	s_and_b32 s16, vcc_lo, exec_lo
	s_delay_alu instid0(SALU_CYCLE_1)
	s_or_b32 s13, s13, s16
	s_or_b32 exec_lo, exec_lo, s14
	v_mov_b32_e32 v2, s15
	s_and_saveexec_b32 s14, s13
	s_cbranch_execnz .LBB31_98
	s_branch .LBB31_99
.LBB31_172:                             ;   in Loop: Header=BB31_63 Depth=1
	v_bfe_u32 v4, v6, 20, 1
	s_mov_b32 s13, exec_lo
	s_delay_alu instid0(VALU_DEP_1) | instskip(NEXT) | instid1(VALU_DEP_1)
	v_add3_u32 v4, v6, v4, 0x487ffff
	v_lshrrev_b32_e32 v7, 20, v4
	s_or_saveexec_b32 s14, s14
                                        ; implicit-def: $sgpr15
	s_delay_alu instid0(SALU_CYCLE_1)
	s_xor_b32 exec_lo, exec_lo, s14
	s_cbranch_execz .LBB31_103
.LBB31_173:                             ;   in Loop: Header=BB31_63 Depth=1
	v_add_f32_e64 v4, 0x46000000, |v6|
	s_and_not1_b32 s13, s13, exec_lo
	s_mov_b32 s15, 0
	s_delay_alu instid0(VALU_DEP_1) | instskip(NEXT) | instid1(VALU_DEP_1)
	v_and_b32_e32 v7, 0xff, v4
	v_cmp_ne_u32_e32 vcc_lo, 0, v7
	s_and_b32 s16, vcc_lo, exec_lo
	s_delay_alu instid0(SALU_CYCLE_1)
	s_or_b32 s13, s13, s16
	s_or_b32 exec_lo, exec_lo, s14
	v_mov_b32_e32 v4, s15
	s_and_saveexec_b32 s14, s13
	s_cbranch_execnz .LBB31_104
	s_branch .LBB31_105
.LBB31_174:                             ;   in Loop: Header=BB31_63 Depth=1
	v_bfe_u32 v3, v5, 20, 1
	s_mov_b32 s13, exec_lo
	s_delay_alu instid0(VALU_DEP_1) | instskip(NEXT) | instid1(VALU_DEP_1)
	v_add3_u32 v3, v5, v3, 0x487ffff
	v_lshrrev_b32_e32 v6, 20, v3
	s_or_saveexec_b32 s14, s14
                                        ; implicit-def: $sgpr15
	s_delay_alu instid0(SALU_CYCLE_1)
	s_xor_b32 exec_lo, exec_lo, s14
	s_cbranch_execz .LBB31_109
.LBB31_175:                             ;   in Loop: Header=BB31_63 Depth=1
	v_add_f32_e64 v3, 0x46000000, |v5|
	s_and_not1_b32 s13, s13, exec_lo
	s_mov_b32 s15, 0
	s_delay_alu instid0(VALU_DEP_1) | instskip(NEXT) | instid1(VALU_DEP_1)
	v_and_b32_e32 v6, 0xff, v3
	v_cmp_ne_u32_e32 vcc_lo, 0, v6
	s_and_b32 s16, vcc_lo, exec_lo
	s_delay_alu instid0(SALU_CYCLE_1)
	s_or_b32 s13, s13, s16
	s_or_b32 exec_lo, exec_lo, s14
	v_mov_b32_e32 v3, s15
	s_and_saveexec_b32 s14, s13
	s_cbranch_execnz .LBB31_110
	s_branch .LBB31_111
.LBB31_176:                             ;   in Loop: Header=BB31_63 Depth=1
	v_bfe_u32 v6, v17, 20, 1
	s_mov_b32 s14, exec_lo
	s_delay_alu instid0(VALU_DEP_1) | instskip(NEXT) | instid1(VALU_DEP_1)
	v_add3_u32 v6, v17, v6, 0x487ffff
	v_lshrrev_b32_e32 v6, 20, v6
	s_or_saveexec_b32 s15, s15
                                        ; implicit-def: $sgpr16
	s_delay_alu instid0(SALU_CYCLE_1)
	s_xor_b32 exec_lo, exec_lo, s15
	s_cbranch_execz .LBB31_116
.LBB31_177:                             ;   in Loop: Header=BB31_63 Depth=1
	v_add_f32_e64 v6, 0x46000000, |v17|
	s_and_not1_b32 s14, s14, exec_lo
	s_mov_b32 s16, 0
	s_delay_alu instid0(VALU_DEP_1) | instskip(NEXT) | instid1(VALU_DEP_1)
	v_and_b32_e32 v6, 0xff, v6
	v_cmp_ne_u32_e32 vcc_lo, 0, v6
	s_and_b32 s17, vcc_lo, exec_lo
	s_delay_alu instid0(SALU_CYCLE_1)
	s_or_b32 s14, s14, s17
	s_or_b32 exec_lo, exec_lo, s15
	v_mov_b32_e32 v15, s16
	s_and_saveexec_b32 s15, s14
	s_cbranch_execnz .LBB31_117
	s_branch .LBB31_118
.LBB31_178:                             ;   in Loop: Header=BB31_63 Depth=1
	v_bfe_u32 v2, v3, 20, 1
	s_mov_b32 s14, exec_lo
	s_delay_alu instid0(VALU_DEP_1) | instskip(NEXT) | instid1(VALU_DEP_1)
	v_add3_u32 v2, v3, v2, 0x487ffff
	v_lshrrev_b32_e32 v6, 20, v2
	s_or_saveexec_b32 s15, s15
                                        ; implicit-def: $sgpr16
	s_delay_alu instid0(SALU_CYCLE_1)
	s_xor_b32 exec_lo, exec_lo, s15
	s_cbranch_execz .LBB31_122
.LBB31_179:                             ;   in Loop: Header=BB31_63 Depth=1
	v_add_f32_e64 v2, 0x46000000, |v3|
	s_and_not1_b32 s14, s14, exec_lo
	s_mov_b32 s16, 0
	s_delay_alu instid0(VALU_DEP_1) | instskip(NEXT) | instid1(VALU_DEP_1)
	v_and_b32_e32 v6, 0xff, v2
	v_cmp_ne_u32_e32 vcc_lo, 0, v6
	s_and_b32 s17, vcc_lo, exec_lo
	s_delay_alu instid0(SALU_CYCLE_1)
	s_or_b32 s14, s14, s17
	s_or_b32 exec_lo, exec_lo, s15
	v_mov_b32_e32 v2, s16
	s_and_saveexec_b32 s15, s14
	s_cbranch_execnz .LBB31_123
	s_branch .LBB31_124
.LBB31_180:                             ;   in Loop: Header=BB31_63 Depth=1
	v_bfe_u32 v4, v6, 20, 1
	s_mov_b32 s14, exec_lo
	s_delay_alu instid0(VALU_DEP_1) | instskip(NEXT) | instid1(VALU_DEP_1)
	v_add3_u32 v4, v6, v4, 0x487ffff
	v_lshrrev_b32_e32 v7, 20, v4
	s_or_saveexec_b32 s15, s15
                                        ; implicit-def: $sgpr16
	s_delay_alu instid0(SALU_CYCLE_1)
	s_xor_b32 exec_lo, exec_lo, s15
	s_cbranch_execz .LBB31_128
.LBB31_181:                             ;   in Loop: Header=BB31_63 Depth=1
	v_add_f32_e64 v4, 0x46000000, |v6|
	s_and_not1_b32 s14, s14, exec_lo
	s_mov_b32 s16, 0
	s_delay_alu instid0(VALU_DEP_1) | instskip(NEXT) | instid1(VALU_DEP_1)
	v_and_b32_e32 v7, 0xff, v4
	v_cmp_ne_u32_e32 vcc_lo, 0, v7
	s_and_b32 s17, vcc_lo, exec_lo
	s_delay_alu instid0(SALU_CYCLE_1)
	s_or_b32 s14, s14, s17
	s_or_b32 exec_lo, exec_lo, s15
	v_mov_b32_e32 v4, s16
	s_and_saveexec_b32 s15, s14
	s_cbranch_execnz .LBB31_129
	s_branch .LBB31_130
.LBB31_182:                             ;   in Loop: Header=BB31_63 Depth=1
	v_bfe_u32 v3, v5, 20, 1
	s_mov_b32 s14, exec_lo
	s_delay_alu instid0(VALU_DEP_1) | instskip(NEXT) | instid1(VALU_DEP_1)
	v_add3_u32 v3, v5, v3, 0x487ffff
	v_lshrrev_b32_e32 v6, 20, v3
	s_or_saveexec_b32 s15, s15
                                        ; implicit-def: $sgpr16
	s_delay_alu instid0(SALU_CYCLE_1)
	s_xor_b32 exec_lo, exec_lo, s15
	s_cbranch_execz .LBB31_134
.LBB31_183:                             ;   in Loop: Header=BB31_63 Depth=1
	v_add_f32_e64 v3, 0x46000000, |v5|
	s_and_not1_b32 s14, s14, exec_lo
	s_mov_b32 s16, 0
	s_delay_alu instid0(VALU_DEP_1) | instskip(NEXT) | instid1(VALU_DEP_1)
	v_and_b32_e32 v6, 0xff, v3
	v_cmp_ne_u32_e32 vcc_lo, 0, v6
	s_and_b32 s17, vcc_lo, exec_lo
	s_delay_alu instid0(SALU_CYCLE_1)
	s_or_b32 s14, s14, s17
	s_or_b32 exec_lo, exec_lo, s15
	v_mov_b32_e32 v3, s16
	s_and_saveexec_b32 s15, s14
	s_cbranch_execnz .LBB31_135
	s_branch .LBB31_136
.LBB31_184:                             ;   in Loop: Header=BB31_63 Depth=1
	v_bfe_u32 v2, v15, 20, 1
	s_mov_b32 s15, exec_lo
	s_delay_alu instid0(VALU_DEP_1) | instskip(NEXT) | instid1(VALU_DEP_1)
	v_add3_u32 v2, v15, v2, 0x487ffff
	v_lshrrev_b32_e32 v6, 20, v2
	s_or_saveexec_b32 s16, s16
                                        ; implicit-def: $sgpr17
	s_delay_alu instid0(SALU_CYCLE_1)
	s_xor_b32 exec_lo, exec_lo, s16
	s_cbranch_execz .LBB31_141
.LBB31_185:                             ;   in Loop: Header=BB31_63 Depth=1
	v_add_f32_e64 v2, 0x46000000, |v15|
	s_and_not1_b32 s15, s15, exec_lo
	s_mov_b32 s17, 0
	s_delay_alu instid0(VALU_DEP_1) | instskip(NEXT) | instid1(VALU_DEP_1)
	v_and_b32_e32 v6, 0xff, v2
	v_cmp_ne_u32_e32 vcc_lo, 0, v6
	s_and_b32 s18, vcc_lo, exec_lo
	s_delay_alu instid0(SALU_CYCLE_1)
	s_or_b32 s15, s15, s18
	s_or_b32 exec_lo, exec_lo, s16
	v_mov_b32_e32 v2, s17
	s_and_saveexec_b32 s16, s15
	s_cbranch_execnz .LBB31_142
	s_branch .LBB31_143
.LBB31_186:                             ;   in Loop: Header=BB31_63 Depth=1
	v_bfe_u32 v6, v3, 20, 1
	s_mov_b32 s15, exec_lo
	s_delay_alu instid0(VALU_DEP_1) | instskip(NEXT) | instid1(VALU_DEP_1)
	v_add3_u32 v6, v3, v6, 0x487ffff
	v_lshrrev_b32_e32 v6, 20, v6
	s_or_saveexec_b32 s16, s16
                                        ; implicit-def: $sgpr17
	s_delay_alu instid0(SALU_CYCLE_1)
	s_xor_b32 exec_lo, exec_lo, s16
	s_cbranch_execz .LBB31_147
.LBB31_187:                             ;   in Loop: Header=BB31_63 Depth=1
	v_add_f32_e64 v6, 0x46000000, |v3|
	s_and_not1_b32 s15, s15, exec_lo
	s_mov_b32 s17, 0
	s_delay_alu instid0(VALU_DEP_1) | instskip(NEXT) | instid1(VALU_DEP_1)
	v_and_b32_e32 v6, 0xff, v6
	v_cmp_ne_u32_e32 vcc_lo, 0, v6
	s_and_b32 s18, vcc_lo, exec_lo
	s_delay_alu instid0(SALU_CYCLE_1)
	s_or_b32 s15, s15, s18
	s_or_b32 exec_lo, exec_lo, s16
	v_mov_b32_e32 v11, s17
	s_and_saveexec_b32 s16, s15
	s_cbranch_execnz .LBB31_148
	s_branch .LBB31_149
.LBB31_188:                             ;   in Loop: Header=BB31_63 Depth=1
	v_bfe_u32 v4, v6, 20, 1
	s_mov_b32 s15, exec_lo
	s_delay_alu instid0(VALU_DEP_1) | instskip(NEXT) | instid1(VALU_DEP_1)
	v_add3_u32 v4, v6, v4, 0x487ffff
	v_lshrrev_b32_e32 v7, 20, v4
	s_or_saveexec_b32 s16, s16
                                        ; implicit-def: $sgpr17
	s_delay_alu instid0(SALU_CYCLE_1)
	s_xor_b32 exec_lo, exec_lo, s16
	s_cbranch_execz .LBB31_153
.LBB31_189:                             ;   in Loop: Header=BB31_63 Depth=1
	v_add_f32_e64 v4, 0x46000000, |v6|
	s_and_not1_b32 s15, s15, exec_lo
	s_mov_b32 s17, 0
	s_delay_alu instid0(VALU_DEP_1) | instskip(NEXT) | instid1(VALU_DEP_1)
	v_and_b32_e32 v7, 0xff, v4
	v_cmp_ne_u32_e32 vcc_lo, 0, v7
	s_and_b32 s18, vcc_lo, exec_lo
	s_delay_alu instid0(SALU_CYCLE_1)
	s_or_b32 s15, s15, s18
	s_or_b32 exec_lo, exec_lo, s16
	v_mov_b32_e32 v4, s17
	s_and_saveexec_b32 s16, s15
	s_cbranch_execnz .LBB31_154
	s_branch .LBB31_155
.LBB31_190:                             ;   in Loop: Header=BB31_63 Depth=1
	v_bfe_u32 v3, v5, 20, 1
	s_mov_b32 s15, exec_lo
	s_delay_alu instid0(VALU_DEP_1) | instskip(NEXT) | instid1(VALU_DEP_1)
	v_add3_u32 v3, v5, v3, 0x487ffff
	v_lshrrev_b32_e32 v6, 20, v3
	s_or_saveexec_b32 s16, s16
                                        ; implicit-def: $sgpr17
	s_delay_alu instid0(SALU_CYCLE_1)
	s_xor_b32 exec_lo, exec_lo, s16
	s_cbranch_execz .LBB31_159
.LBB31_191:                             ;   in Loop: Header=BB31_63 Depth=1
	v_add_f32_e64 v3, 0x46000000, |v5|
	s_and_not1_b32 s15, s15, exec_lo
	s_mov_b32 s17, 0
	s_delay_alu instid0(VALU_DEP_1) | instskip(NEXT) | instid1(VALU_DEP_1)
	v_and_b32_e32 v6, 0xff, v3
	v_cmp_ne_u32_e32 vcc_lo, 0, v6
	s_and_b32 s18, vcc_lo, exec_lo
	s_delay_alu instid0(SALU_CYCLE_1)
	s_or_b32 s15, s15, s18
	s_or_b32 exec_lo, exec_lo, s16
	v_mov_b32_e32 v3, s17
	s_and_saveexec_b32 s16, s15
	s_cbranch_execz .LBB31_58
.LBB31_192:                             ;   in Loop: Header=BB31_63 Depth=1
	v_lshrrev_b32_e32 v3, 24, v5
	s_delay_alu instid0(VALU_DEP_1)
	v_and_or_b32 v3, 0x80, v3, v6
	s_branch .LBB31_58
.LBB31_193:
	s_nop 0
	s_sendmsg sendmsg(MSG_DEALLOC_VGPRS)
	s_endpgm
.LBB31_194:
                                        ; implicit-def: $vgpr3_vgpr4
	s_branch .LBB31_51
.LBB31_195:
                                        ; implicit-def: $vgpr1_vgpr2
	s_branch .LBB31_56
	.section	.rodata,"a",@progbits
	.p2align	6, 0x0
	.amdhsa_kernel _ZN4vllm31rms_norm_per_block_quant_kernelIfN3c1015Float8_e4m3fnuzELb1ELb1ELi64EEEvPT0_PfPKT_S8_PKffiiPS6_l
		.amdhsa_group_segment_fixed_size 4228
		.amdhsa_private_segment_fixed_size 0
		.amdhsa_kernarg_size 328
		.amdhsa_user_sgpr_count 15
		.amdhsa_user_sgpr_dispatch_ptr 0
		.amdhsa_user_sgpr_queue_ptr 0
		.amdhsa_user_sgpr_kernarg_segment_ptr 1
		.amdhsa_user_sgpr_dispatch_id 0
		.amdhsa_user_sgpr_private_segment_size 0
		.amdhsa_wavefront_size32 1
		.amdhsa_uses_dynamic_stack 0
		.amdhsa_enable_private_segment 0
		.amdhsa_system_sgpr_workgroup_id_x 1
		.amdhsa_system_sgpr_workgroup_id_y 0
		.amdhsa_system_sgpr_workgroup_id_z 0
		.amdhsa_system_sgpr_workgroup_info 0
		.amdhsa_system_vgpr_workitem_id 0
		.amdhsa_next_free_vgpr 37
		.amdhsa_next_free_sgpr 42
		.amdhsa_reserve_vcc 1
		.amdhsa_float_round_mode_32 0
		.amdhsa_float_round_mode_16_64 0
		.amdhsa_float_denorm_mode_32 3
		.amdhsa_float_denorm_mode_16_64 3
		.amdhsa_dx10_clamp 1
		.amdhsa_ieee_mode 1
		.amdhsa_fp16_overflow 0
		.amdhsa_workgroup_processor_mode 1
		.amdhsa_memory_ordered 1
		.amdhsa_forward_progress 0
		.amdhsa_shared_vgpr_count 0
		.amdhsa_exception_fp_ieee_invalid_op 0
		.amdhsa_exception_fp_denorm_src 0
		.amdhsa_exception_fp_ieee_div_zero 0
		.amdhsa_exception_fp_ieee_overflow 0
		.amdhsa_exception_fp_ieee_underflow 0
		.amdhsa_exception_fp_ieee_inexact 0
		.amdhsa_exception_int_div_zero 0
	.end_amdhsa_kernel
	.section	.text._ZN4vllm31rms_norm_per_block_quant_kernelIfN3c1015Float8_e4m3fnuzELb1ELb1ELi64EEEvPT0_PfPKT_S8_PKffiiPS6_l,"axG",@progbits,_ZN4vllm31rms_norm_per_block_quant_kernelIfN3c1015Float8_e4m3fnuzELb1ELb1ELi64EEEvPT0_PfPKT_S8_PKffiiPS6_l,comdat
.Lfunc_end31:
	.size	_ZN4vllm31rms_norm_per_block_quant_kernelIfN3c1015Float8_e4m3fnuzELb1ELb1ELi64EEEvPT0_PfPKT_S8_PKffiiPS6_l, .Lfunc_end31-_ZN4vllm31rms_norm_per_block_quant_kernelIfN3c1015Float8_e4m3fnuzELb1ELb1ELi64EEEvPT0_PfPKT_S8_PKffiiPS6_l
                                        ; -- End function
	.section	.AMDGPU.csdata,"",@progbits
; Kernel info:
; codeLenInByte = 12948
; NumSgprs: 44
; NumVgprs: 37
; ScratchSize: 0
; MemoryBound: 0
; FloatMode: 240
; IeeeMode: 1
; LDSByteSize: 4228 bytes/workgroup (compile time only)
; SGPRBlocks: 5
; VGPRBlocks: 4
; NumSGPRsForWavesPerEU: 44
; NumVGPRsForWavesPerEU: 37
; Occupancy: 16
; WaveLimiterHint : 0
; COMPUTE_PGM_RSRC2:SCRATCH_EN: 0
; COMPUTE_PGM_RSRC2:USER_SGPR: 15
; COMPUTE_PGM_RSRC2:TRAP_HANDLER: 0
; COMPUTE_PGM_RSRC2:TGID_X_EN: 1
; COMPUTE_PGM_RSRC2:TGID_Y_EN: 0
; COMPUTE_PGM_RSRC2:TGID_Z_EN: 0
; COMPUTE_PGM_RSRC2:TIDIG_COMP_CNT: 0
	.section	.text._ZN4vllm31rms_norm_per_block_quant_kernelIfaLb1ELb1ELi64EEEvPT0_PfPKT_S6_PKffiiPS4_l,"axG",@progbits,_ZN4vllm31rms_norm_per_block_quant_kernelIfaLb1ELb1ELi64EEEvPT0_PfPKT_S6_PKffiiPS4_l,comdat
	.protected	_ZN4vllm31rms_norm_per_block_quant_kernelIfaLb1ELb1ELi64EEEvPT0_PfPKT_S6_PKffiiPS4_l ; -- Begin function _ZN4vllm31rms_norm_per_block_quant_kernelIfaLb1ELb1ELi64EEEvPT0_PfPKT_S6_PKffiiPS4_l
	.globl	_ZN4vllm31rms_norm_per_block_quant_kernelIfaLb1ELb1ELi64EEEvPT0_PfPKT_S6_PKffiiPS4_l
	.p2align	8
	.type	_ZN4vllm31rms_norm_per_block_quant_kernelIfaLb1ELb1ELi64EEEvPT0_PfPKT_S6_PKffiiPS4_l,@function
_ZN4vllm31rms_norm_per_block_quant_kernelIfaLb1ELb1ELi64EEEvPT0_PfPKT_S6_PKffiiPS4_l: ; @_ZN4vllm31rms_norm_per_block_quant_kernelIfaLb1ELb1ELi64EEEvPT0_PfPKT_S6_PKffiiPS4_l
; %bb.0:
	s_mov_b32 s16, s15
	s_clause 0x3
	s_load_b128 s[12:15], s[0:1], 0x28
	s_load_b256 s[4:11], s[0:1], 0x0
	s_load_b64 s[2:3], s[0:1], 0x38
	s_load_b32 s34, s[0:1], 0x48
	v_mov_b32_e32 v6, 0
	s_waitcnt lgkmcnt(0)
	s_ashr_i32 s15, s14, 31
	s_mul_hi_u32 s17, s14, s16
	s_mul_i32 s15, s15, s16
	s_ashr_i32 s19, s13, 31
	s_mul_i32 s20, s14, s16
	s_add_i32 s21, s17, s15
	s_mul_hi_u32 s18, s13, s16
	s_mul_i32 s15, s19, s16
	s_lshl_b64 s[20:21], s[20:21], 2
	s_mul_i32 s14, s13, s16
	s_add_i32 s15, s18, s15
	s_add_u32 s28, s8, s20
	s_addc_u32 s29, s9, s21
	s_lshl_b64 s[8:9], s[14:15], 2
	s_mov_b32 s17, 0
	s_add_u32 s30, s2, s8
	s_addc_u32 s31, s3, s9
	s_ashr_i32 s8, s13, 2
	s_add_u32 s20, s0, 0x48
	v_cmp_gt_u32_e64 s2, s8, v0
	s_mov_b32 s18, s13
	s_addc_u32 s21, s1, 0
	s_delay_alu instid0(VALU_DEP_1)
	s_and_saveexec_b32 s3, s2
	s_cbranch_execz .LBB32_10
; %bb.1:
	s_cmp_lt_u32 s16, s34
	v_mov_b32_e32 v2, 0
	s_cselect_b32 s9, 12, 18
                                        ; implicit-def: $sgpr13
	v_mov_b32_e32 v1, v0
	s_add_u32 s22, s20, s9
	s_addc_u32 s23, s21, 0
	s_mov_b32 s9, s17
	global_load_u16 v7, v2, s[22:23]
	s_waitcnt vmcnt(0)
	v_lshlrev_b32_e32 v9, 1, v7
	v_mul_lo_u32 v8, v7, 3
	v_add_nc_u32_e32 v10, v7, v7
	v_mov_b32_e32 v6, v2
	s_branch .LBB32_5
.LBB32_2:                               ;   in Loop: Header=BB32_5 Depth=1
	s_or_b32 exec_lo, exec_lo, s24
	s_delay_alu instid0(SALU_CYCLE_1)
	s_or_not1_b32 s24, s25, exec_lo
.LBB32_3:                               ;   in Loop: Header=BB32_5 Depth=1
	s_or_b32 exec_lo, exec_lo, s23
	s_delay_alu instid0(SALU_CYCLE_1) | instskip(SKIP_1) | instid1(SALU_CYCLE_1)
	s_and_not1_b32 s13, s13, exec_lo
	s_and_b32 s23, s24, exec_lo
	s_or_b32 s13, s13, s23
.LBB32_4:                               ;   in Loop: Header=BB32_5 Depth=1
	s_or_b32 exec_lo, exec_lo, s22
	s_delay_alu instid0(SALU_CYCLE_1) | instskip(NEXT) | instid1(SALU_CYCLE_1)
	s_and_b32 s22, exec_lo, s13
	s_or_b32 s9, s22, s9
	s_delay_alu instid0(SALU_CYCLE_1)
	s_and_not1_b32 exec_lo, exec_lo, s9
	s_cbranch_execz .LBB32_9
.LBB32_5:                               ; =>This Inner Loop Header: Depth=1
	v_lshlrev_b64 v[3:4], 4, v[1:2]
	s_or_b32 s13, s13, exec_lo
	s_mov_b32 s22, exec_lo
	s_delay_alu instid0(VALU_DEP_1) | instskip(NEXT) | instid1(VALU_DEP_2)
	v_add_co_u32 v11, vcc_lo, s28, v3
	v_add_co_ci_u32_e32 v12, vcc_lo, s29, v4, vcc_lo
	v_add_co_u32 v3, vcc_lo, s30, v3
	v_add_co_ci_u32_e32 v4, vcc_lo, s31, v4, vcc_lo
	global_load_b128 v[11:14], v[11:12], off
	global_load_b128 v[15:18], v[3:4], off
	s_waitcnt vmcnt(0)
	v_dual_add_f32 v3, v11, v15 :: v_dual_add_f32 v4, v12, v16
	s_delay_alu instid0(VALU_DEP_1) | instskip(NEXT) | instid1(VALU_DEP_1)
	v_dual_fmac_f32 v6, v3, v3 :: v_dual_add_f32 v3, v13, v17
	v_fmac_f32_e32 v6, v4, v4
	v_add_f32_e32 v4, v14, v18
	s_delay_alu instid0(VALU_DEP_2) | instskip(NEXT) | instid1(VALU_DEP_1)
	v_fmac_f32_e32 v6, v3, v3
	v_dual_fmac_f32 v6, v4, v4 :: v_dual_add_nc_u32 v3, v1, v7
	s_delay_alu instid0(VALU_DEP_1)
	v_cmpx_gt_u32_e64 s8, v3
	s_cbranch_execz .LBB32_4
; %bb.6:                                ;   in Loop: Header=BB32_5 Depth=1
	v_mov_b32_e32 v4, v2
	s_mov_b32 s24, -1
	s_mov_b32 s23, exec_lo
	s_delay_alu instid0(VALU_DEP_1) | instskip(NEXT) | instid1(VALU_DEP_1)
	v_lshlrev_b64 v[4:5], 4, v[3:4]
	v_add_co_u32 v11, vcc_lo, s28, v4
	s_delay_alu instid0(VALU_DEP_2)
	v_add_co_ci_u32_e32 v12, vcc_lo, s29, v5, vcc_lo
	v_add_co_u32 v4, vcc_lo, s30, v4
	v_add_co_ci_u32_e32 v5, vcc_lo, s31, v5, vcc_lo
	global_load_b128 v[11:14], v[11:12], off
	global_load_b128 v[15:18], v[4:5], off
	s_waitcnt vmcnt(0)
	v_dual_add_f32 v5, v12, v16 :: v_dual_add_f32 v4, v11, v15
	s_delay_alu instid0(VALU_DEP_1) | instskip(SKIP_1) | instid1(VALU_DEP_2)
	v_fmac_f32_e32 v6, v4, v4
	v_add_f32_e32 v4, v13, v17
	v_dual_fmac_f32 v6, v5, v5 :: v_dual_add_f32 v5, v14, v18
	s_delay_alu instid0(VALU_DEP_1) | instskip(SKIP_1) | instid1(VALU_DEP_2)
	v_fmac_f32_e32 v6, v4, v4
	v_add_nc_u32_e32 v4, v9, v1
	v_fmac_f32_e32 v6, v5, v5
	s_delay_alu instid0(VALU_DEP_2)
	v_cmpx_gt_u32_e64 s8, v4
	s_cbranch_execz .LBB32_3
; %bb.7:                                ;   in Loop: Header=BB32_5 Depth=1
	v_mov_b32_e32 v5, v2
	v_add_nc_u32_e32 v1, v8, v1
	s_mov_b32 s25, -1
	s_mov_b32 s24, exec_lo
	s_delay_alu instid0(VALU_DEP_2) | instskip(NEXT) | instid1(VALU_DEP_1)
	v_lshlrev_b64 v[4:5], 4, v[4:5]
	v_add_co_u32 v11, vcc_lo, s28, v4
	s_delay_alu instid0(VALU_DEP_2)
	v_add_co_ci_u32_e32 v12, vcc_lo, s29, v5, vcc_lo
	v_add_co_u32 v4, vcc_lo, s30, v4
	v_add_co_ci_u32_e32 v5, vcc_lo, s31, v5, vcc_lo
	global_load_b128 v[11:14], v[11:12], off
	global_load_b128 v[15:18], v[4:5], off
	s_waitcnt vmcnt(0)
	v_dual_add_f32 v4, v11, v15 :: v_dual_add_f32 v5, v12, v16
	s_delay_alu instid0(VALU_DEP_1) | instskip(SKIP_1) | instid1(VALU_DEP_2)
	v_fmac_f32_e32 v6, v4, v4
	v_add_f32_e32 v4, v13, v17
	v_dual_fmac_f32 v6, v5, v5 :: v_dual_add_f32 v5, v14, v18
	s_delay_alu instid0(VALU_DEP_1) | instskip(NEXT) | instid1(VALU_DEP_1)
	v_fmac_f32_e32 v6, v4, v4
	v_fmac_f32_e32 v6, v5, v5
	v_cmpx_gt_u32_e64 s8, v1
	s_xor_b32 s24, exec_lo, s24
	s_cbranch_execz .LBB32_2
; %bb.8:                                ;   in Loop: Header=BB32_5 Depth=1
	v_lshlrev_b64 v[4:5], 4, v[1:2]
	s_delay_alu instid0(VALU_DEP_1) | instskip(NEXT) | instid1(VALU_DEP_2)
	v_add_co_u32 v11, vcc_lo, s28, v4
	v_add_co_ci_u32_e32 v12, vcc_lo, s29, v5, vcc_lo
	v_add_co_u32 v4, vcc_lo, s30, v4
	v_add_co_ci_u32_e32 v5, vcc_lo, s31, v5, vcc_lo
	global_load_b128 v[11:14], v[11:12], off
	global_load_b128 v[15:18], v[4:5], off
	s_waitcnt vmcnt(0)
	v_dual_add_f32 v1, v11, v15 :: v_dual_add_f32 v4, v12, v16
	s_delay_alu instid0(VALU_DEP_1) | instskip(SKIP_2) | instid1(VALU_DEP_3)
	v_fmac_f32_e32 v6, v1, v1
	v_add3_u32 v1, v10, v7, v3
	v_add_f32_e32 v3, v14, v18
	v_dual_add_f32 v5, v13, v17 :: v_dual_fmac_f32 v6, v4, v4
	s_delay_alu instid0(VALU_DEP_3) | instskip(NEXT) | instid1(VALU_DEP_2)
	v_cmp_le_u32_e32 vcc_lo, s8, v1
	v_fmac_f32_e32 v6, v5, v5
	s_or_not1_b32 s25, vcc_lo, exec_lo
	s_delay_alu instid0(VALU_DEP_1)
	v_fmac_f32_e32 v6, v3, v3
	s_branch .LBB32_2
.LBB32_9:
	s_or_b32 exec_lo, exec_lo, s9
.LBB32_10:
	s_delay_alu instid0(SALU_CYCLE_1) | instskip(SKIP_4) | instid1(VALU_DEP_2)
	s_or_b32 exec_lo, exec_lo, s3
	v_mbcnt_lo_u32_b32 v1, -1, 0
	s_load_b32 s3, s[20:21], 0xc
	v_and_b32_e32 v7, 0x3e0, v0
	s_mov_b32 s9, exec_lo
	v_cmp_ne_u32_e32 vcc_lo, 31, v1
	v_add_nc_u32_e32 v3, 1, v1
	v_add_co_ci_u32_e32 v2, vcc_lo, 0, v1, vcc_lo
	v_cmp_gt_u32_e32 vcc_lo, 30, v1
	s_delay_alu instid0(VALU_DEP_2)
	v_lshlrev_b32_e32 v2, 2, v2
	v_cndmask_b32_e64 v5, 0, 1, vcc_lo
	ds_bpermute_b32 v4, v2, v6
	s_waitcnt lgkmcnt(0)
	s_and_b32 s3, s3, 0xffff
	v_lshlrev_b32_e32 v5, 1, v5
	v_sub_nc_u32_e64 v12, s3, v7 clamp
	s_delay_alu instid0(VALU_DEP_1) | instskip(SKIP_1) | instid1(VALU_DEP_4)
	v_cmp_lt_u32_e32 vcc_lo, v3, v12
	v_add_f32_e32 v7, v6, v4
	v_add_lshl_u32 v4, v5, v1, 2
	s_delay_alu instid0(VALU_DEP_2) | instskip(SKIP_2) | instid1(VALU_DEP_1)
	v_cndmask_b32_e32 v7, v6, v7, vcc_lo
	v_cmp_gt_u32_e32 vcc_lo, 28, v1
	v_cndmask_b32_e64 v5, 0, 1, vcc_lo
	v_lshlrev_b32_e32 v8, 2, v5
	ds_bpermute_b32 v6, v4, v7
	v_add_nc_u32_e32 v5, 2, v1
	s_delay_alu instid0(VALU_DEP_1) | instskip(SKIP_3) | instid1(VALU_DEP_2)
	v_cmp_lt_u32_e32 vcc_lo, v5, v12
	s_waitcnt lgkmcnt(0)
	v_add_f32_e32 v9, v7, v6
	v_add_lshl_u32 v6, v8, v1, 2
	v_cndmask_b32_e32 v9, v7, v9, vcc_lo
	v_cmp_gt_u32_e32 vcc_lo, 24, v1
	ds_bpermute_b32 v8, v6, v9
	v_cndmask_b32_e64 v7, 0, 1, vcc_lo
	s_delay_alu instid0(VALU_DEP_1) | instskip(SKIP_1) | instid1(VALU_DEP_1)
	v_lshlrev_b32_e32 v10, 3, v7
	v_add_nc_u32_e32 v7, 4, v1
	v_cmp_lt_u32_e32 vcc_lo, v7, v12
	s_waitcnt lgkmcnt(0)
	v_add_f32_e32 v11, v9, v8
	v_add_lshl_u32 v8, v10, v1, 2
	s_delay_alu instid0(VALU_DEP_2) | instskip(SKIP_3) | instid1(VALU_DEP_1)
	v_cndmask_b32_e32 v11, v9, v11, vcc_lo
	v_cmp_gt_u32_e32 vcc_lo, 16, v1
	ds_bpermute_b32 v10, v8, v11
	v_cndmask_b32_e64 v9, 0, 1, vcc_lo
	v_lshlrev_b32_e32 v13, 4, v9
	v_add_nc_u32_e32 v9, 8, v1
	s_delay_alu instid0(VALU_DEP_1) | instskip(SKIP_3) | instid1(VALU_DEP_2)
	v_cmp_lt_u32_e32 vcc_lo, v9, v12
	s_waitcnt lgkmcnt(0)
	v_add_f32_e32 v14, v11, v10
	v_add_lshl_u32 v10, v13, v1, 2
	v_cndmask_b32_e32 v13, v11, v14, vcc_lo
	v_add_nc_u32_e32 v11, 16, v1
	ds_bpermute_b32 v14, v10, v13
	v_cmp_lt_u32_e32 vcc_lo, v11, v12
	s_waitcnt lgkmcnt(0)
	v_add_f32_e32 v14, v13, v14
	s_delay_alu instid0(VALU_DEP_1)
	v_cndmask_b32_e32 v12, v13, v14, vcc_lo
	v_cmpx_eq_u32_e32 0, v1
	s_cbranch_execz .LBB32_12
; %bb.11:
	v_lshrrev_b32_e32 v13, 3, v0
	s_delay_alu instid0(VALU_DEP_1)
	v_and_b32_e32 v13, 0x7c, v13
	ds_store_b32 v13, v12 offset:4096
.LBB32_12:
	s_or_b32 exec_lo, exec_lo, s9
	s_delay_alu instid0(SALU_CYCLE_1)
	s_mov_b32 s9, exec_lo
	s_waitcnt lgkmcnt(0)
	s_barrier
	buffer_gl0_inv
	v_cmpx_gt_u32_e32 32, v0
	s_cbranch_execz .LBB32_14
; %bb.13:
	v_lshlrev_b32_e32 v1, 2, v1
	s_add_i32 s3, s3, 31
	s_delay_alu instid0(SALU_CYCLE_1) | instskip(NEXT) | instid1(SALU_CYCLE_1)
	s_lshr_b32 s3, s3, 5
	v_cmp_gt_u32_e32 vcc_lo, s3, v3
	ds_load_b32 v1, v1 offset:4096
	s_waitcnt lgkmcnt(0)
	ds_bpermute_b32 v2, v2, v1
	s_waitcnt lgkmcnt(0)
	v_add_f32_e32 v2, v1, v2
	s_delay_alu instid0(VALU_DEP_1) | instskip(SKIP_4) | instid1(VALU_DEP_1)
	v_cndmask_b32_e32 v1, v1, v2, vcc_lo
	v_cmp_gt_u32_e32 vcc_lo, s3, v5
	ds_bpermute_b32 v2, v4, v1
	s_waitcnt lgkmcnt(0)
	v_add_f32_e32 v2, v1, v2
	v_cndmask_b32_e32 v1, v1, v2, vcc_lo
	v_cmp_gt_u32_e32 vcc_lo, s3, v7
	ds_bpermute_b32 v2, v6, v1
	s_waitcnt lgkmcnt(0)
	v_add_f32_e32 v2, v1, v2
	s_delay_alu instid0(VALU_DEP_1) | instskip(SKIP_4) | instid1(VALU_DEP_1)
	v_cndmask_b32_e32 v1, v1, v2, vcc_lo
	v_cmp_gt_u32_e32 vcc_lo, s3, v9
	ds_bpermute_b32 v2, v8, v1
	s_waitcnt lgkmcnt(0)
	v_add_f32_e32 v2, v1, v2
	v_cndmask_b32_e32 v1, v1, v2, vcc_lo
	v_cmp_gt_u32_e32 vcc_lo, s3, v11
	ds_bpermute_b32 v2, v10, v1
	s_waitcnt lgkmcnt(0)
	v_add_f32_e32 v2, v1, v2
	s_delay_alu instid0(VALU_DEP_1)
	v_cndmask_b32_e32 v12, v1, v2, vcc_lo
.LBB32_14:
	s_or_b32 exec_lo, exec_lo, s9
	s_delay_alu instid0(SALU_CYCLE_1)
	s_mov_b32 s3, exec_lo
	v_cmpx_eq_u32_e32 0, v0
	s_cbranch_execz .LBB32_16
; %bb.15:
	v_cvt_f32_i32_e32 v1, s18
	s_delay_alu instid0(VALU_DEP_1) | instskip(SKIP_1) | instid1(VALU_DEP_2)
	v_div_scale_f32 v2, null, v1, v1, v12
	v_div_scale_f32 v5, vcc_lo, v12, v1, v12
	v_rcp_f32_e32 v3, v2
	s_waitcnt_depctr 0xfff
	v_fma_f32 v4, -v2, v3, 1.0
	s_delay_alu instid0(VALU_DEP_1) | instskip(NEXT) | instid1(VALU_DEP_1)
	v_fmac_f32_e32 v3, v4, v3
	v_mul_f32_e32 v4, v5, v3
	s_delay_alu instid0(VALU_DEP_1) | instskip(NEXT) | instid1(VALU_DEP_1)
	v_fma_f32 v6, -v2, v4, v5
	v_fmac_f32_e32 v4, v6, v3
	s_delay_alu instid0(VALU_DEP_1) | instskip(NEXT) | instid1(VALU_DEP_1)
	v_fma_f32 v2, -v2, v4, v5
	v_div_fmas_f32 v2, v2, v3, v4
	s_delay_alu instid0(VALU_DEP_1) | instskip(NEXT) | instid1(VALU_DEP_1)
	v_div_fixup_f32 v1, v2, v1, v12
	v_add_f32_e32 v1, s12, v1
	s_delay_alu instid0(VALU_DEP_1) | instskip(SKIP_1) | instid1(VALU_DEP_2)
	v_mul_f32_e32 v2, 0x4b800000, v1
	v_cmp_gt_f32_e32 vcc_lo, 0x800000, v1
	v_cndmask_b32_e32 v1, v1, v2, vcc_lo
	s_delay_alu instid0(VALU_DEP_1) | instskip(SKIP_2) | instid1(VALU_DEP_1)
	v_rsq_f32_e32 v1, v1
	s_waitcnt_depctr 0xfff
	v_mul_f32_e32 v2, 0x45800000, v1
	v_dual_cndmask_b32 v1, v1, v2 :: v_dual_mov_b32 v2, 0
	ds_store_b32 v2, v1 offset:4224
.LBB32_16:
	s_or_b32 exec_lo, exec_lo, s3
	s_ashr_i32 s3, s18, 31
	v_mov_b32_e32 v4, 0
	s_lshr_b32 s3, s3, 26
	s_waitcnt lgkmcnt(0)
	s_add_i32 s3, s18, s3
	s_barrier
	s_ashr_i32 s12, s3, 6
	s_cmp_lt_u32 s16, s34
	buffer_gl0_inv
	s_cselect_b32 s9, 12, 18
	ds_load_b32 v28, v4 offset:4224
	s_add_u32 s20, s20, s9
	s_addc_u32 s21, s21, 0
	s_abs_i32 s9, s12
	global_load_u16 v1, v4, s[20:21]
	v_cvt_f32_u32_e32 v2, s9
	s_sub_i32 s20, 0, s9
	s_ashr_i32 s3, s3, 31
	s_delay_alu instid0(VALU_DEP_1) | instskip(SKIP_2) | instid1(VALU_DEP_1)
	v_rcp_iflag_f32_e32 v2, v2
	s_waitcnt_depctr 0xfff
	v_mul_f32_e32 v2, 0x4f7ffffe, v2
	v_cvt_u32_f32_e32 v2, v2
	s_delay_alu instid0(VALU_DEP_1) | instskip(NEXT) | instid1(VALU_DEP_1)
	v_readfirstlane_b32 s13, v2
	s_mul_i32 s20, s20, s13
	s_delay_alu instid0(SALU_CYCLE_1) | instskip(NEXT) | instid1(SALU_CYCLE_1)
	s_mul_hi_u32 s20, s13, s20
	s_add_i32 s13, s13, s20
	s_waitcnt vmcnt(0)
	v_readfirstlane_b32 s33, v1
	s_delay_alu instid0(VALU_DEP_1) | instskip(NEXT) | instid1(SALU_CYCLE_1)
	s_mul_hi_u32 s13, s33, s13
	s_mul_i32 s20, s13, s9
	s_add_i32 s21, s13, 1
	s_sub_i32 s20, s33, s20
	s_delay_alu instid0(SALU_CYCLE_1)
	s_sub_i32 s22, s20, s9
	s_cmp_ge_u32 s20, s9
	s_cselect_b32 s13, s21, s13
	s_cselect_b32 s20, s22, s20
	s_add_i32 s21, s13, 1
	s_cmp_ge_u32 s20, s9
	s_cselect_b32 s9, s21, s13
	s_delay_alu instid0(SALU_CYCLE_1) | instskip(NEXT) | instid1(SALU_CYCLE_1)
	s_xor_b32 s9, s9, s3
	s_sub_i32 s20, s9, s3
	s_delay_alu instid0(SALU_CYCLE_1) | instskip(SKIP_3) | instid1(VALU_DEP_1)
	s_abs_i32 s3, s20
	s_ashr_i32 s21, s20, 31
	v_cvt_f32_u32_e32 v1, s3
	s_sub_i32 s9, 0, s3
	v_rcp_iflag_f32_e32 v1, v1
	s_waitcnt_depctr 0xfff
	v_mul_f32_e32 v1, 0x4f7ffffe, v1
	s_delay_alu instid0(VALU_DEP_1) | instskip(NEXT) | instid1(VALU_DEP_1)
	v_cvt_u32_f32_e32 v1, v1
	v_mul_lo_u32 v2, s9, v1
	s_ashr_i32 s9, s8, 31
	s_delay_alu instid0(VALU_DEP_1) | instskip(NEXT) | instid1(VALU_DEP_1)
	v_mul_hi_u32 v2, v1, v2
	v_add_nc_u32_e32 v1, v1, v2
	s_delay_alu instid0(VALU_DEP_1) | instskip(NEXT) | instid1(VALU_DEP_1)
	v_mul_hi_u32 v1, v0, v1
	v_mul_lo_u32 v2, v1, s3
	v_add_nc_u32_e32 v3, 1, v1
	s_delay_alu instid0(VALU_DEP_2) | instskip(NEXT) | instid1(VALU_DEP_1)
	v_sub_nc_u32_e32 v2, v0, v2
	v_subrev_nc_u32_e32 v5, s3, v2
	v_cmp_le_u32_e32 vcc_lo, s3, v2
	s_delay_alu instid0(VALU_DEP_2) | instskip(NEXT) | instid1(VALU_DEP_1)
	v_dual_cndmask_b32 v2, v2, v5 :: v_dual_cndmask_b32 v1, v1, v3
	v_cmp_le_u32_e32 vcc_lo, s3, v2
	s_delay_alu instid0(VALU_DEP_2) | instskip(NEXT) | instid1(VALU_DEP_1)
	v_add_nc_u32_e32 v3, 1, v1
	v_cndmask_b32_e32 v1, v1, v3, vcc_lo
	s_delay_alu instid0(VALU_DEP_1) | instskip(NEXT) | instid1(VALU_DEP_1)
	v_xor_b32_e32 v1, s21, v1
	v_subrev_nc_u32_e32 v1, s21, v1
	s_delay_alu instid0(VALU_DEP_1) | instskip(SKIP_1) | instid1(VALU_DEP_2)
	v_ashrrev_i32_e32 v2, 31, v1
	v_mul_lo_u32 v3, v1, s20
	v_lshlrev_b64 v[7:8], 4, v[1:2]
	s_delay_alu instid0(VALU_DEP_2) | instskip(NEXT) | instid1(VALU_DEP_2)
	v_sub_nc_u32_e32 v3, v0, v3
	v_add_co_u32 v5, vcc_lo, v7, 16
	s_delay_alu instid0(VALU_DEP_3) | instskip(NEXT) | instid1(VALU_DEP_1)
	v_add_co_ci_u32_e32 v6, vcc_lo, 0, v8, vcc_lo
	v_cmp_gt_i64_e32 vcc_lo, s[8:9], v[5:6]
	v_cndmask_b32_e32 v6, s9, v6, vcc_lo
	v_cndmask_b32_e32 v5, s8, v5, vcc_lo
	v_add_co_u32 v7, vcc_lo, v7, v3
	v_add_co_ci_u32_e32 v8, vcc_lo, 0, v8, vcc_lo
	s_delay_alu instid0(VALU_DEP_3) | instskip(SKIP_2) | instid1(VALU_DEP_1)
	v_ashrrev_i32_e32 v10, 31, v5
	v_mov_b32_e32 v9, v5
	s_mov_b32 s9, exec_lo
	v_cmpx_lt_i64_e64 v[7:8], v[9:10]
	s_cbranch_execz .LBB32_26
; %bb.17:
	v_lshlrev_b64 v[11:12], 8, v[1:2]
	v_lshlrev_b64 v[13:14], 4, v[3:4]
	v_mov_b32_e32 v4, 0
	s_lshl_b64 s[22:23], s[20:21], 6
	s_mul_hi_i32 s13, s20, 3
	s_mul_i32 s35, s20, 3
	s_lshl_b64 s[24:25], s[20:21], 1
	v_add_co_u32 v21, vcc_lo, v11, v13
	v_add_co_ci_u32_e32 v22, vcc_lo, v12, v14, vcc_lo
	v_dual_mov_b32 v12, v8 :: v_dual_mov_b32 v11, v7
	s_lshl_b64 s[26:27], s[20:21], 4
	s_mov_b32 s36, 0
                                        ; implicit-def: $sgpr37
	s_branch .LBB32_21
.LBB32_18:                              ;   in Loop: Header=BB32_21 Depth=1
	s_or_b32 exec_lo, exec_lo, s40
	s_delay_alu instid0(SALU_CYCLE_1)
	s_or_not1_b32 s3, s3, exec_lo
.LBB32_19:                              ;   in Loop: Header=BB32_21 Depth=1
	s_or_b32 exec_lo, exec_lo, s39
	s_delay_alu instid0(SALU_CYCLE_1) | instskip(SKIP_1) | instid1(SALU_CYCLE_1)
	s_and_not1_b32 s37, s37, exec_lo
	s_and_b32 s3, s3, exec_lo
	s_or_b32 s37, s37, s3
.LBB32_20:                              ;   in Loop: Header=BB32_21 Depth=1
	s_or_b32 exec_lo, exec_lo, s38
	s_delay_alu instid0(SALU_CYCLE_1) | instskip(NEXT) | instid1(SALU_CYCLE_1)
	s_and_b32 s3, exec_lo, s37
	s_or_b32 s36, s3, s36
	s_delay_alu instid0(SALU_CYCLE_1)
	s_and_not1_b32 exec_lo, exec_lo, s36
	s_cbranch_execz .LBB32_25
.LBB32_21:                              ; =>This Inner Loop Header: Depth=1
	v_add_co_u32 v15, vcc_lo, s28, v21
	v_add_co_ci_u32_e32 v16, vcc_lo, s29, v22, vcc_lo
	v_add_co_u32 v19, vcc_lo, s30, v21
	v_add_co_ci_u32_e32 v20, vcc_lo, s31, v22, vcc_lo
	v_add_co_u32 v17, vcc_lo, s10, v21
	global_load_b128 v[23:26], v[15:16], off
	global_load_b128 v[29:32], v[19:20], off
	v_add_co_ci_u32_e32 v18, vcc_lo, s11, v22, vcc_lo
	s_or_b32 s37, s37, exec_lo
	s_mov_b32 s38, exec_lo
	global_load_b128 v[33:36], v[17:18], off
	s_waitcnt vmcnt(1)
	v_dual_add_f32 v13, v23, v29 :: v_dual_add_f32 v14, v24, v30
	v_dual_add_f32 v23, v25, v31 :: v_dual_add_f32 v24, v26, v32
	s_waitcnt lgkmcnt(0)
	s_delay_alu instid0(VALU_DEP_2) | instskip(NEXT) | instid1(VALU_DEP_3)
	v_mul_f32_e32 v14, v28, v14
	v_mul_f32_e32 v13, v28, v13
	s_delay_alu instid0(VALU_DEP_3) | instskip(SKIP_2) | instid1(VALU_DEP_3)
	v_mul_f32_e32 v23, v28, v23
	v_mul_f32_e32 v24, v28, v24
	s_waitcnt vmcnt(0)
	v_dual_mul_f32 v26, v34, v14 :: v_dual_mul_f32 v25, v33, v13
	s_delay_alu instid0(VALU_DEP_2) | instskip(SKIP_1) | instid1(VALU_DEP_3)
	v_dual_mul_f32 v23, v35, v23 :: v_dual_mul_f32 v24, v36, v24
	v_add_co_u32 v13, vcc_lo, v11, s20
	v_max3_f32 v4, v4, |v25|, |v26|
	v_add_co_ci_u32_e32 v14, vcc_lo, s21, v12, vcc_lo
	s_delay_alu instid0(VALU_DEP_2) | instskip(NEXT) | instid1(VALU_DEP_2)
	v_max3_f32 v4, v4, |v23|, |v24|
	v_cmpx_lt_i64_e64 v[13:14], v[9:10]
	s_cbranch_execz .LBB32_20
; %bb.22:                               ;   in Loop: Header=BB32_21 Depth=1
	v_add_co_u32 v15, vcc_lo, v15, s26
	v_add_co_ci_u32_e32 v16, vcc_lo, s27, v16, vcc_lo
	v_add_co_u32 v19, vcc_lo, v19, s26
	v_add_co_ci_u32_e32 v20, vcc_lo, s27, v20, vcc_lo
	v_add_co_u32 v17, vcc_lo, v17, s26
	global_load_b128 v[23:26], v[15:16], off
	global_load_b128 v[29:32], v[19:20], off
	v_add_co_ci_u32_e32 v18, vcc_lo, s27, v18, vcc_lo
	s_mov_b32 s3, -1
	s_mov_b32 s39, exec_lo
	global_load_b128 v[33:36], v[17:18], off
	s_waitcnt vmcnt(1)
	v_dual_add_f32 v23, v23, v29 :: v_dual_add_f32 v24, v24, v30
	v_dual_add_f32 v25, v25, v31 :: v_dual_add_f32 v26, v26, v32
	s_delay_alu instid0(VALU_DEP_2) | instskip(NEXT) | instid1(VALU_DEP_3)
	v_mul_f32_e32 v23, v28, v23
	v_mul_f32_e32 v24, v28, v24
	s_delay_alu instid0(VALU_DEP_3) | instskip(SKIP_1) | instid1(VALU_DEP_3)
	v_mul_f32_e32 v25, v28, v25
	s_waitcnt vmcnt(0)
	v_dual_mul_f32 v27, v33, v23 :: v_dual_mul_f32 v26, v28, v26
	s_delay_alu instid0(VALU_DEP_3) | instskip(NEXT) | instid1(VALU_DEP_3)
	v_mul_f32_e32 v29, v34, v24
	v_mul_f32_e32 v25, v35, v25
	v_add_co_u32 v23, vcc_lo, s24, v11
	s_delay_alu instid0(VALU_DEP_4) | instskip(NEXT) | instid1(VALU_DEP_4)
	v_mul_f32_e32 v26, v36, v26
	v_max3_f32 v4, v4, |v27|, |v29|
	v_add_co_ci_u32_e32 v24, vcc_lo, s25, v12, vcc_lo
	s_delay_alu instid0(VALU_DEP_2) | instskip(NEXT) | instid1(VALU_DEP_2)
	v_max3_f32 v4, v4, |v25|, |v26|
	v_cmpx_lt_i64_e64 v[23:24], v[9:10]
	s_cbranch_execz .LBB32_19
; %bb.23:                               ;   in Loop: Header=BB32_21 Depth=1
	v_add_co_u32 v15, vcc_lo, v15, s26
	v_add_co_ci_u32_e32 v16, vcc_lo, s27, v16, vcc_lo
	v_add_co_u32 v19, vcc_lo, v19, s26
	v_add_co_ci_u32_e32 v20, vcc_lo, s27, v20, vcc_lo
	v_add_co_u32 v17, vcc_lo, v17, s26
	global_load_b128 v[23:26], v[15:16], off
	global_load_b128 v[29:32], v[19:20], off
	v_add_co_ci_u32_e32 v18, vcc_lo, s27, v18, vcc_lo
	v_add_co_u32 v11, vcc_lo, s35, v11
	v_add_co_ci_u32_e32 v12, vcc_lo, s13, v12, vcc_lo
	global_load_b128 v[33:36], v[17:18], off
	v_cmp_lt_i64_e32 vcc_lo, v[11:12], v[9:10]
                                        ; implicit-def: $vgpr11_vgpr12
	s_waitcnt vmcnt(1)
	v_dual_add_f32 v23, v23, v29 :: v_dual_add_f32 v24, v24, v30
	v_dual_add_f32 v25, v25, v31 :: v_dual_add_f32 v26, v26, v32
	s_delay_alu instid0(VALU_DEP_2) | instskip(NEXT) | instid1(VALU_DEP_3)
	v_mul_f32_e32 v24, v28, v24
	v_mul_f32_e32 v23, v28, v23
	s_delay_alu instid0(VALU_DEP_3) | instskip(NEXT) | instid1(VALU_DEP_4)
	v_mul_f32_e32 v25, v28, v25
	v_mul_f32_e32 v26, v28, v26
	s_waitcnt vmcnt(0)
	s_delay_alu instid0(VALU_DEP_3) | instskip(NEXT) | instid1(VALU_DEP_3)
	v_dual_mul_f32 v24, v34, v24 :: v_dual_mul_f32 v23, v33, v23
	v_mul_f32_e32 v25, v35, v25
	s_delay_alu instid0(VALU_DEP_2) | instskip(SKIP_1) | instid1(VALU_DEP_1)
	v_max3_f32 v4, v4, |v23|, |v24|
	v_mul_f32_e32 v23, v36, v26
	v_max3_f32 v4, v4, |v25|, |v23|
	s_and_saveexec_b32 s40, vcc_lo
	s_delay_alu instid0(SALU_CYCLE_1)
	s_xor_b32 s40, exec_lo, s40
	s_cbranch_execz .LBB32_18
; %bb.24:                               ;   in Loop: Header=BB32_21 Depth=1
	v_add_co_u32 v11, vcc_lo, v15, s26
	v_add_co_ci_u32_e32 v12, vcc_lo, s27, v16, vcc_lo
	v_add_co_u32 v15, vcc_lo, v19, s26
	v_add_co_ci_u32_e32 v16, vcc_lo, s27, v20, vcc_lo
	s_add_u32 s3, s20, s20
	global_load_b128 v[23:26], v[11:12], off
	global_load_b128 v[29:32], v[15:16], off
	v_add_co_u32 v11, vcc_lo, v17, s26
	v_add_co_ci_u32_e32 v12, vcc_lo, s27, v18, vcc_lo
	s_addc_u32 s41, s21, s21
	s_add_u32 s3, s3, s20
	s_addc_u32 s41, s41, s21
	global_load_b128 v[15:18], v[11:12], off
	s_waitcnt vmcnt(1)
	v_dual_add_f32 v11, v23, v29 :: v_dual_add_f32 v12, v24, v30
	v_dual_add_f32 v19, v25, v31 :: v_dual_add_f32 v20, v26, v32
	s_delay_alu instid0(VALU_DEP_1) | instskip(NEXT) | instid1(VALU_DEP_2)
	v_mul_f32_e32 v19, v28, v19
	v_mul_f32_e32 v20, v28, v20
	s_delay_alu instid0(VALU_DEP_4) | instskip(SKIP_1) | instid1(VALU_DEP_1)
	v_mul_f32_e32 v11, v28, v11
	s_waitcnt vmcnt(0)
	v_dual_mul_f32 v12, v28, v12 :: v_dual_mul_f32 v15, v15, v11
	s_delay_alu instid0(VALU_DEP_1) | instskip(SKIP_3) | instid1(VALU_DEP_4)
	v_mul_f32_e32 v16, v16, v12
	v_add_co_u32 v11, vcc_lo, s3, v13
	v_add_co_ci_u32_e32 v12, vcc_lo, s41, v14, vcc_lo
	v_dual_mul_f32 v13, v17, v19 :: v_dual_mul_f32 v14, v18, v20
	v_max3_f32 v4, v4, |v15|, |v16|
	s_delay_alu instid0(VALU_DEP_3) | instskip(SKIP_1) | instid1(VALU_DEP_1)
	v_cmp_ge_i64_e32 vcc_lo, v[11:12], v[9:10]
	v_add_co_u32 v21, s3, v21, s22
	v_add_co_ci_u32_e64 v22, s3, s23, v22, s3
	s_delay_alu instid0(VALU_DEP_4)
	v_max3_f32 v4, v4, |v13|, |v14|
	s_or_not1_b32 s3, vcc_lo, exec_lo
	s_branch .LBB32_18
.LBB32_25:
	s_or_b32 exec_lo, exec_lo, s36
.LBB32_26:
	s_delay_alu instid0(SALU_CYCLE_1)
	s_or_b32 exec_lo, exec_lo, s9
	s_lshr_b32 s9, s33, 5
	v_lshlrev_b32_e32 v29, 2, v0
	v_cvt_f32_u32_e32 v9, s9
	s_sub_i32 s13, 0, s9
	s_add_i32 s22, s12, s9
	s_delay_alu instid0(SALU_CYCLE_1) | instskip(NEXT) | instid1(VALU_DEP_1)
	s_add_i32 s22, s22, -1
	v_rcp_iflag_f32_e32 v9, v9
	s_abs_i32 s23, s22
	s_ashr_i32 s22, s22, 31
	ds_store_b32 v29, v4
	s_waitcnt lgkmcnt(0)
	s_barrier
	buffer_gl0_inv
	v_mul_f32_e32 v9, 0x4f7ffffe, v9
	s_delay_alu instid0(VALU_DEP_1) | instskip(NEXT) | instid1(VALU_DEP_1)
	v_cvt_u32_f32_e32 v9, v9
	v_readfirstlane_b32 s3, v9
	s_delay_alu instid0(VALU_DEP_1) | instskip(NEXT) | instid1(SALU_CYCLE_1)
	s_mul_i32 s13, s13, s3
	s_mul_hi_u32 s13, s3, s13
	s_delay_alu instid0(SALU_CYCLE_1) | instskip(NEXT) | instid1(SALU_CYCLE_1)
	s_add_i32 s3, s3, s13
	s_mul_hi_u32 s3, s23, s3
	s_delay_alu instid0(SALU_CYCLE_1) | instskip(NEXT) | instid1(SALU_CYCLE_1)
	s_mul_i32 s13, s3, s9
	s_sub_i32 s13, s23, s13
	s_add_i32 s23, s3, 1
	s_sub_i32 s24, s13, s9
	s_cmp_ge_u32 s13, s9
	s_cselect_b32 s3, s23, s3
	s_cselect_b32 s13, s24, s13
	s_add_i32 s23, s3, 1
	s_cmp_ge_u32 s13, s9
	s_cselect_b32 s3, s23, s3
	s_delay_alu instid0(SALU_CYCLE_1) | instskip(NEXT) | instid1(SALU_CYCLE_1)
	s_xor_b32 s3, s3, s22
	s_sub_i32 s22, s3, s22
	s_delay_alu instid0(SALU_CYCLE_1) | instskip(NEXT) | instid1(SALU_CYCLE_1)
	s_ashr_i32 s23, s22, 31
	v_cmp_lt_i64_e64 s3, s[22:23], 1
	s_delay_alu instid0(VALU_DEP_1)
	s_and_b32 vcc_lo, exec_lo, s3
	s_cbranch_vccnz .LBB32_46
; %bb.27:
	v_lshrrev_b32_e32 v9, 5, v0
	v_and_b32_e32 v4, 31, v0
	s_ashr_i32 s13, s12, 31
	s_mov_b64 s[24:25], 0
	s_mov_b64 s[26:27], src_shared_base
	v_mul_lo_u32 v19, s20, v9
	v_add_co_u32 v11, s3, v4, 16
	s_delay_alu instid0(VALU_DEP_1) | instskip(SKIP_1) | instid1(VALU_DEP_1)
	v_add_co_ci_u32_e64 v12, null, 0, 0, s3
	v_add_co_u32 v13, s3, v4, 8
	v_add_co_ci_u32_e64 v14, null, 0, 0, s3
	v_add_co_u32 v15, s3, v4, 4
	v_dual_mov_b32 v10, 0 :: v_dual_lshlrev_b32 v21, 2, v19
	v_lshlrev_b32_e32 v22, 2, v4
	v_add_co_ci_u32_e64 v16, null, 0, 0, s3
	v_add_co_u32 v17, s3, v4, 2
	s_delay_alu instid0(VALU_DEP_1) | instskip(SKIP_1) | instid1(VALU_DEP_1)
	v_add_co_ci_u32_e64 v18, null, 0, 0, s3
	v_add_co_u32 v19, s3, v4, 1
	v_add_co_ci_u32_e64 v20, null, 0, 0, s3
	v_add3_u32 v30, v21, v22, 0x80
	s_mul_i32 s3, s20, s9
	s_delay_alu instid0(SALU_CYCLE_1)
	s_lshl_b32 s35, s3, 2
	s_branch .LBB32_30
.LBB32_28:                              ;   in Loop: Header=BB32_30 Depth=1
	s_or_b32 exec_lo, exec_lo, s3
	v_mov_b32_e32 v22, s27
	flat_load_b32 v21, v[21:22] glc dlc
	s_waitcnt vmcnt(0)
.LBB32_29:                              ;   in Loop: Header=BB32_30 Depth=1
	s_or_b32 exec_lo, exec_lo, s26
	s_add_u32 s24, s24, 1
	v_add_nc_u32_e32 v30, s35, v30
	s_addc_u32 s25, s25, 0
	s_delay_alu instid0(SALU_CYCLE_1)
	s_cmp_eq_u64 s[24:25], s[22:23]
	s_cbranch_scc1 .LBB32_46
.LBB32_30:                              ; =>This Loop Header: Depth=1
                                        ;     Child Loop BB32_33 Depth 2
	s_waitcnt lgkmcnt(0)
	v_mad_u64_u32 v[21:22], null, s24, s9, v[9:10]
	s_mov_b32 s26, exec_lo
	s_delay_alu instid0(VALU_DEP_1) | instskip(NEXT) | instid1(VALU_DEP_1)
	v_mad_u64_u32 v[23:24], null, s25, s9, v[22:23]
	v_mov_b32_e32 v22, v23
	s_delay_alu instid0(VALU_DEP_1)
	v_cmpx_gt_i64_e64 s[12:13], v[21:22]
	s_cbranch_execz .LBB32_29
; %bb.31:                               ;   in Loop: Header=BB32_30 Depth=1
	v_mul_lo_u32 v24, v22, s20
	v_mul_lo_u32 v25, v21, s21
	v_mad_u64_u32 v[22:23], null, v21, s20, 0
	s_delay_alu instid0(VALU_DEP_1) | instskip(NEXT) | instid1(VALU_DEP_2)
	v_add3_u32 v23, v23, v25, v24
	v_add_co_u32 v24, vcc_lo, v22, s20
	v_add_co_u32 v31, s3, v22, v4
	s_delay_alu instid0(VALU_DEP_3) | instskip(SKIP_2) | instid1(VALU_DEP_2)
	v_add_co_ci_u32_e32 v25, vcc_lo, s21, v23, vcc_lo
	v_add_co_ci_u32_e64 v21, s3, 0, v23, s3
	s_mov_b32 s3, exec_lo
	v_cmp_gt_i64_e32 vcc_lo, s[18:19], v[24:25]
	v_cndmask_b32_e32 v25, s19, v25, vcc_lo
	v_cndmask_b32_e32 v24, s18, v24, vcc_lo
	v_add_co_u32 v26, vcc_lo, v31, 32
	v_add_co_ci_u32_e32 v27, vcc_lo, 0, v21, vcc_lo
	v_lshlrev_b32_e32 v21, 2, v31
	s_delay_alu instid0(VALU_DEP_2)
	v_cmpx_lt_i64_e64 v[26:27], v[24:25]
	s_cbranch_execz .LBB32_34
; %bb.32:                               ;   in Loop: Header=BB32_30 Depth=1
	ds_load_b32 v33, v21
	v_mov_b32_e32 v32, v30
	s_mov_b32 s36, 0
.LBB32_33:                              ;   Parent Loop BB32_30 Depth=1
                                        ; =>  This Inner Loop Header: Depth=2
	ds_load_b32 v34, v32
	v_add_co_u32 v26, vcc_lo, v26, 32
	v_add_co_ci_u32_e32 v27, vcc_lo, 0, v27, vcc_lo
	s_waitcnt lgkmcnt(1)
	v_dual_max_f32 v33, v33, v33 :: v_dual_add_nc_u32 v32, 0x80, v32
	s_delay_alu instid0(VALU_DEP_2) | instskip(SKIP_3) | instid1(VALU_DEP_1)
	v_cmp_ge_i64_e32 vcc_lo, v[26:27], v[24:25]
	s_or_b32 s36, vcc_lo, s36
	s_waitcnt lgkmcnt(0)
	v_max_f32_e32 v34, v34, v34
	v_max_f32_e32 v33, v33, v34
	ds_store_b32 v21, v33
	s_and_not1_b32 exec_lo, exec_lo, s36
	s_cbranch_execnz .LBB32_33
.LBB32_34:                              ;   in Loop: Header=BB32_30 Depth=1
	s_or_b32 exec_lo, exec_lo, s3
	v_sub_co_u32 v22, vcc_lo, v24, v22
	v_sub_co_ci_u32_e32 v23, vcc_lo, v25, v23, vcc_lo
	s_mov_b32 s3, exec_lo
	s_delay_alu instid0(VALU_DEP_1) | instskip(SKIP_1) | instid1(VALU_DEP_1)
	v_cmp_gt_i64_e32 vcc_lo, 32, v[22:23]
	v_dual_cndmask_b32 v24, 0, v23 :: v_dual_cndmask_b32 v23, 32, v22
	v_cmpx_lt_i64_e64 v[11:12], v[23:24]
	s_cbranch_execz .LBB32_36
; %bb.35:                               ;   in Loop: Header=BB32_30 Depth=1
	v_dual_mov_b32 v22, s27 :: v_dual_add_nc_u32 v25, 64, v21
	v_mov_b32_e32 v26, s27
	flat_load_b32 v27, v[21:22] glc dlc
	s_waitcnt vmcnt(0)
	flat_load_b32 v25, v[25:26] glc dlc
	s_waitcnt vmcnt(0) lgkmcnt(0)
	v_dual_max_f32 v26, v27, v27 :: v_dual_max_f32 v25, v25, v25
	s_delay_alu instid0(VALU_DEP_1)
	v_max_f32_e32 v25, v26, v25
	flat_store_b32 v[21:22], v25 dlc
	s_waitcnt_vscnt null, 0x0
.LBB32_36:                              ;   in Loop: Header=BB32_30 Depth=1
	s_or_b32 exec_lo, exec_lo, s3
	s_delay_alu instid0(SALU_CYCLE_1)
	s_mov_b32 s3, exec_lo
	v_cmpx_lt_i64_e64 v[13:14], v[23:24]
	s_cbranch_execz .LBB32_38
; %bb.37:                               ;   in Loop: Header=BB32_30 Depth=1
	v_dual_mov_b32 v22, s27 :: v_dual_add_nc_u32 v25, 32, v21
	v_mov_b32_e32 v26, s27
	flat_load_b32 v27, v[21:22] glc dlc
	s_waitcnt vmcnt(0)
	flat_load_b32 v25, v[25:26] glc dlc
	s_waitcnt vmcnt(0) lgkmcnt(0)
	v_dual_max_f32 v26, v27, v27 :: v_dual_max_f32 v25, v25, v25
	s_delay_alu instid0(VALU_DEP_1)
	v_max_f32_e32 v25, v26, v25
	flat_store_b32 v[21:22], v25 dlc
	s_waitcnt_vscnt null, 0x0
.LBB32_38:                              ;   in Loop: Header=BB32_30 Depth=1
	s_or_b32 exec_lo, exec_lo, s3
	s_delay_alu instid0(SALU_CYCLE_1)
	s_mov_b32 s3, exec_lo
	v_cmpx_ge_i64_e64 v[15:16], v[23:24]
	s_xor_b32 s3, exec_lo, s3
; %bb.39:                               ;   in Loop: Header=BB32_30 Depth=1
                                        ; implicit-def: $vgpr21
; %bb.40:                               ;   in Loop: Header=BB32_30 Depth=1
	s_delay_alu instid0(SALU_CYCLE_1)
	s_and_not1_saveexec_b32 s3, s3
	s_cbranch_execz .LBB32_42
; %bb.41:                               ;   in Loop: Header=BB32_30 Depth=1
	v_dual_mov_b32 v22, s27 :: v_dual_add_nc_u32 v25, 16, v21
	v_mov_b32_e32 v26, s27
	flat_load_b32 v27, v[21:22] glc dlc
	s_waitcnt vmcnt(0)
	flat_load_b32 v25, v[25:26] glc dlc
	s_waitcnt vmcnt(0) lgkmcnt(0)
	v_dual_max_f32 v26, v27, v27 :: v_dual_max_f32 v25, v25, v25
	s_delay_alu instid0(VALU_DEP_1)
	v_max_f32_e32 v25, v26, v25
	flat_store_b32 v[21:22], v25 dlc
	s_waitcnt_vscnt null, 0x0
.LBB32_42:                              ;   in Loop: Header=BB32_30 Depth=1
	s_or_b32 exec_lo, exec_lo, s3
	v_lshlrev_b32_e32 v21, 2, v31
	s_mov_b32 s3, exec_lo
	v_cmpx_lt_i64_e64 v[17:18], v[23:24]
	s_cbranch_execz .LBB32_44
; %bb.43:                               ;   in Loop: Header=BB32_30 Depth=1
	s_delay_alu instid0(VALU_DEP_2)
	v_dual_mov_b32 v22, s27 :: v_dual_add_nc_u32 v25, 8, v21
	v_mov_b32_e32 v26, s27
	flat_load_b32 v27, v[21:22] glc dlc
	s_waitcnt vmcnt(0)
	flat_load_b32 v25, v[25:26] glc dlc
	s_waitcnt vmcnt(0) lgkmcnt(0)
	v_dual_max_f32 v26, v27, v27 :: v_dual_max_f32 v25, v25, v25
	s_delay_alu instid0(VALU_DEP_1)
	v_max_f32_e32 v25, v26, v25
	flat_store_b32 v[21:22], v25 dlc
	s_waitcnt_vscnt null, 0x0
.LBB32_44:                              ;   in Loop: Header=BB32_30 Depth=1
	s_or_b32 exec_lo, exec_lo, s3
	s_delay_alu instid0(SALU_CYCLE_1)
	s_mov_b32 s3, exec_lo
	v_cmpx_lt_i64_e64 v[19:20], v[23:24]
	s_cbranch_execz .LBB32_28
; %bb.45:                               ;   in Loop: Header=BB32_30 Depth=1
	v_dual_mov_b32 v22, s27 :: v_dual_add_nc_u32 v23, 4, v21
	v_mov_b32_e32 v24, s27
	flat_load_b32 v25, v[21:22] glc dlc
	s_waitcnt vmcnt(0)
	flat_load_b32 v23, v[23:24] glc dlc
	s_waitcnt vmcnt(0) lgkmcnt(0)
	v_dual_max_f32 v24, v25, v25 :: v_dual_max_f32 v23, v23, v23
	s_delay_alu instid0(VALU_DEP_1)
	v_max_f32_e32 v23, v24, v23
	flat_store_b32 v[21:22], v23 dlc
	s_waitcnt_vscnt null, 0x0
	s_branch .LBB32_28
.LBB32_46:
	s_load_b64 s[12:13], s[0:1], 0x40
	v_cmp_lt_i64_e32 vcc_lo, v[7:8], v[5:6]
	v_cmp_eq_u32_e64 s3, 0, v3
	s_waitcnt lgkmcnt(0)
	s_barrier
	buffer_gl0_inv
	s_and_b32 s9, s3, vcc_lo
	s_delay_alu instid0(SALU_CYCLE_1)
	s_and_saveexec_b32 s3, s9
	s_cbranch_execz .LBB32_53
; %bb.47:
	s_load_b64 s[0:1], s[0:1], 0x20
	ds_load_b32 v5, v29
	s_waitcnt lgkmcnt(0)
	s_cmp_eq_u64 s[0:1], 0
	s_cbranch_scc1 .LBB32_49
; %bb.48:
	s_load_b32 s0, s[0:1], 0x0
	v_max_f32_e32 v3, v5, v5
	s_waitcnt lgkmcnt(0)
	v_max_f32_e64 v4, s0, s0
	s_delay_alu instid0(VALU_DEP_1)
	v_min_f32_e32 v5, v3, v4
.LBB32_49:
	s_add_u32 s0, s12, s34
	s_addc_u32 s1, s13, 0
	s_add_u32 s18, s0, -1
	s_addc_u32 s19, s1, -1
	s_delay_alu instid0(SALU_CYCLE_1) | instskip(SKIP_1) | instid1(SALU_CYCLE_1)
	s_or_b64 s[20:21], s[18:19], s[12:13]
	s_mov_b32 s20, 0
	s_cmp_lg_u64 s[20:21], 0
	s_cbranch_scc0 .LBB32_66
; %bb.50:
	s_ashr_i32 s0, s13, 31
	s_delay_alu instid0(SALU_CYCLE_1) | instskip(SKIP_2) | instid1(SALU_CYCLE_1)
	s_add_u32 s22, s12, s0
	s_mov_b32 s1, s0
	s_addc_u32 s23, s13, s0
	s_xor_b64 s[0:1], s[22:23], s[0:1]
	s_delay_alu instid0(SALU_CYCLE_1) | instskip(SKIP_3) | instid1(VALU_DEP_1)
	v_cvt_f32_u32_e32 v3, s0
	v_cvt_f32_u32_e32 v4, s1
	s_sub_u32 s22, 0, s0
	s_subb_u32 s23, 0, s1
	v_fmamk_f32 v3, v4, 0x4f800000, v3
	s_delay_alu instid0(VALU_DEP_1) | instskip(SKIP_2) | instid1(VALU_DEP_1)
	v_rcp_f32_e32 v3, v3
	s_waitcnt_depctr 0xfff
	v_mul_f32_e32 v3, 0x5f7ffffc, v3
	v_mul_f32_e32 v4, 0x2f800000, v3
	s_delay_alu instid0(VALU_DEP_1) | instskip(NEXT) | instid1(VALU_DEP_1)
	v_trunc_f32_e32 v4, v4
	v_fmamk_f32 v3, v4, 0xcf800000, v3
	v_cvt_u32_f32_e32 v4, v4
	s_delay_alu instid0(VALU_DEP_2) | instskip(NEXT) | instid1(VALU_DEP_2)
	v_cvt_u32_f32_e32 v3, v3
	v_readfirstlane_b32 s9, v4
	s_delay_alu instid0(VALU_DEP_2) | instskip(NEXT) | instid1(VALU_DEP_2)
	v_readfirstlane_b32 s21, v3
	s_mul_i32 s24, s22, s9
	s_delay_alu instid0(VALU_DEP_1)
	s_mul_hi_u32 s26, s22, s21
	s_mul_i32 s25, s23, s21
	s_add_i32 s24, s26, s24
	s_mul_i32 s27, s22, s21
	s_add_i32 s24, s24, s25
	s_mul_hi_u32 s26, s21, s27
	s_mul_hi_u32 s35, s9, s27
	s_mul_i32 s25, s9, s27
	s_mul_hi_u32 s27, s21, s24
	s_mul_i32 s21, s21, s24
	s_mul_hi_u32 s36, s9, s24
	s_add_u32 s21, s26, s21
	s_addc_u32 s26, 0, s27
	s_add_u32 s21, s21, s25
	s_mul_i32 s24, s9, s24
	s_addc_u32 s21, s26, s35
	s_addc_u32 s25, s36, 0
	s_add_u32 s21, s21, s24
	s_addc_u32 s24, 0, s25
	v_add_co_u32 v3, s21, v3, s21
	s_delay_alu instid0(VALU_DEP_1) | instskip(SKIP_1) | instid1(VALU_DEP_1)
	s_cmp_lg_u32 s21, 0
	s_addc_u32 s9, s9, s24
	v_readfirstlane_b32 s21, v3
	s_mul_i32 s24, s22, s9
	s_delay_alu instid0(VALU_DEP_1)
	s_mul_hi_u32 s25, s22, s21
	s_mul_i32 s23, s23, s21
	s_add_i32 s24, s25, s24
	s_mul_i32 s22, s22, s21
	s_add_i32 s24, s24, s23
	s_mul_hi_u32 s25, s9, s22
	s_mul_i32 s26, s9, s22
	s_mul_hi_u32 s22, s21, s22
	s_mul_hi_u32 s27, s21, s24
	s_mul_i32 s21, s21, s24
	s_mul_hi_u32 s23, s9, s24
	s_add_u32 s21, s22, s21
	s_addc_u32 s22, 0, s27
	s_add_u32 s21, s21, s26
	s_mul_i32 s24, s9, s24
	s_addc_u32 s21, s22, s25
	s_addc_u32 s22, s23, 0
	s_add_u32 s21, s21, s24
	s_addc_u32 s22, 0, s22
	v_add_co_u32 v3, s21, v3, s21
	s_delay_alu instid0(VALU_DEP_1) | instskip(SKIP_2) | instid1(VALU_DEP_1)
	s_cmp_lg_u32 s21, 0
	s_addc_u32 s9, s9, s22
	s_ashr_i32 s22, s19, 31
	v_readfirstlane_b32 s21, v3
	s_add_u32 s24, s18, s22
	s_mov_b32 s23, s22
	s_addc_u32 s25, s19, s22
	s_delay_alu instid0(SALU_CYCLE_1) | instskip(NEXT) | instid1(SALU_CYCLE_1)
	s_xor_b64 s[24:25], s[24:25], s[22:23]
	s_mul_i32 s26, s24, s9
	s_mul_hi_u32 s27, s24, s21
	s_mul_hi_u32 s23, s24, s9
	;; [unrolled: 1-line block ×3, first 2 shown]
	s_mul_i32 s21, s25, s21
	s_add_u32 s26, s27, s26
	s_addc_u32 s23, 0, s23
	s_mul_hi_u32 s35, s25, s9
	s_add_u32 s21, s26, s21
	s_mul_i32 s9, s25, s9
	s_addc_u32 s21, s23, s36
	s_addc_u32 s23, s35, 0
	s_add_u32 s9, s21, s9
	s_addc_u32 s21, 0, s23
	s_mul_hi_u32 s23, s0, s9
	s_mul_i32 s21, s0, s21
	s_mul_i32 s26, s1, s9
	;; [unrolled: 1-line block ×3, first 2 shown]
	s_add_i32 s21, s23, s21
	v_sub_co_u32 v3, s9, s24, s9
	s_add_i32 s21, s21, s26
	s_delay_alu instid0(SALU_CYCLE_1) | instskip(SKIP_1) | instid1(VALU_DEP_1)
	s_sub_i32 s23, s25, s21
	s_cmp_lg_u32 s9, 0
	v_sub_co_u32 v4, s24, v3, s0
	s_subb_u32 s23, s23, s1
	s_cmp_lg_u32 s24, 0
	s_subb_u32 s26, s23, 0
	s_delay_alu instid0(VALU_DEP_1)
	v_cmp_le_u32_e32 vcc_lo, s0, v4
	s_cmp_ge_u32 s26, s1
	s_cselect_b32 s27, -1, 0
	s_cmp_eq_u32 s26, s1
	v_cndmask_b32_e64 v6, 0, -1, vcc_lo
	s_cselect_b32 vcc_lo, -1, 0
	s_cmp_lg_u32 s24, 0
	v_sub_co_u32 v7, s24, v4, s0
	s_subb_u32 s23, s23, s1
	s_cmp_lg_u32 s24, 0
	v_cndmask_b32_e32 v6, s27, v6, vcc_lo
	s_subb_u32 s23, s23, 0
	s_cmp_lg_u32 s9, 0
	v_cmp_le_u32_e32 vcc_lo, s0, v3
	s_subb_u32 s9, s25, s21
	s_delay_alu instid0(SALU_CYCLE_1)
	s_cmp_ge_u32 s9, s1
	v_cndmask_b32_e64 v8, 0, -1, vcc_lo
	s_cselect_b32 s21, -1, 0
	s_cmp_eq_u32 s9, s1
	v_cmp_ne_u32_e32 vcc_lo, 0, v6
	v_mov_b32_e32 v6, s23
	s_cselect_b32 s0, -1, 0
	s_delay_alu instid0(SALU_CYCLE_1) | instskip(SKIP_1) | instid1(VALU_DEP_3)
	v_cndmask_b32_e64 v8, s21, v8, s0
	v_cndmask_b32_e32 v4, v4, v7, vcc_lo
	v_cndmask_b32_e32 v6, s26, v6, vcc_lo
	s_delay_alu instid0(VALU_DEP_3) | instskip(NEXT) | instid1(VALU_DEP_3)
	v_cmp_ne_u32_e32 vcc_lo, 0, v8
	v_cndmask_b32_e32 v3, v3, v4, vcc_lo
	s_delay_alu instid0(VALU_DEP_3) | instskip(NEXT) | instid1(VALU_DEP_2)
	v_cndmask_b32_e32 v6, s9, v6, vcc_lo
	v_xor_b32_e32 v3, s22, v3
	s_delay_alu instid0(VALU_DEP_2) | instskip(NEXT) | instid1(VALU_DEP_2)
	v_xor_b32_e32 v4, s22, v6
	v_sub_co_u32 v3, vcc_lo, v3, s22
	s_delay_alu instid0(VALU_DEP_2)
	v_subrev_co_ci_u32_e32 v4, vcc_lo, s22, v4, vcc_lo
	s_and_not1_b32 vcc_lo, exec_lo, s20
	s_cbranch_vccnz .LBB32_52
.LBB32_51:
	v_cvt_f32_u32_e32 v3, s12
	s_sub_i32 s0, 0, s12
	s_delay_alu instid0(VALU_DEP_1) | instskip(SKIP_2) | instid1(VALU_DEP_1)
	v_rcp_iflag_f32_e32 v3, v3
	s_waitcnt_depctr 0xfff
	v_mul_f32_e32 v3, 0x4f7ffffe, v3
	v_cvt_u32_f32_e32 v3, v3
	s_delay_alu instid0(VALU_DEP_1) | instskip(NEXT) | instid1(VALU_DEP_1)
	v_mul_lo_u32 v4, s0, v3
	v_mul_hi_u32 v4, v3, v4
	s_delay_alu instid0(VALU_DEP_1) | instskip(NEXT) | instid1(VALU_DEP_1)
	v_add_nc_u32_e32 v3, v3, v4
	v_mul_hi_u32 v3, s18, v3
	s_delay_alu instid0(VALU_DEP_1) | instskip(NEXT) | instid1(VALU_DEP_1)
	v_mul_lo_u32 v3, v3, s12
	v_sub_nc_u32_e32 v3, s18, v3
	s_delay_alu instid0(VALU_DEP_1) | instskip(SKIP_1) | instid1(VALU_DEP_2)
	v_subrev_nc_u32_e32 v4, s12, v3
	v_cmp_le_u32_e32 vcc_lo, s12, v3
	v_cndmask_b32_e32 v3, v3, v4, vcc_lo
	s_delay_alu instid0(VALU_DEP_1) | instskip(SKIP_1) | instid1(VALU_DEP_2)
	v_subrev_nc_u32_e32 v4, s12, v3
	v_cmp_le_u32_e32 vcc_lo, s12, v3
	v_dual_cndmask_b32 v3, v3, v4 :: v_dual_mov_b32 v4, 0
.LBB32_52:
	v_div_scale_f32 v6, null, 0x42fe0000, 0x42fe0000, v5
	v_div_scale_f32 v9, vcc_lo, v5, 0x42fe0000, v5
	s_delay_alu instid0(VALU_DEP_3) | instskip(NEXT) | instid1(VALU_DEP_3)
	v_sub_co_u32 v10, s0, s18, v3
	v_rcp_f32_e32 v7, v6
	v_sub_co_ci_u32_e64 v3, s0, s19, v4, s0
	s_lshl_b64 s[0:1], s[16:17], 2
	s_delay_alu instid0(SALU_CYCLE_1) | instskip(NEXT) | instid1(VALU_DEP_1)
	s_add_u32 s0, s0, s6
	v_mul_lo_u32 v11, v3, v1
	s_addc_u32 s1, s1, s7
	s_waitcnt_depctr 0xfff
	v_fma_f32 v8, -v6, v7, 1.0
	s_delay_alu instid0(VALU_DEP_1) | instskip(NEXT) | instid1(VALU_DEP_1)
	v_fmac_f32_e32 v7, v8, v7
	v_mul_f32_e32 v8, v9, v7
	s_delay_alu instid0(VALU_DEP_1) | instskip(NEXT) | instid1(VALU_DEP_1)
	v_fma_f32 v4, -v6, v8, v9
	v_fmac_f32_e32 v8, v4, v7
	v_mul_lo_u32 v4, v10, v2
	v_mad_u64_u32 v[2:3], null, v10, v1, 0
	s_delay_alu instid0(VALU_DEP_3) | instskip(NEXT) | instid1(VALU_DEP_2)
	v_fma_f32 v1, -v6, v8, v9
	v_add3_u32 v3, v3, v4, v11
	s_delay_alu instid0(VALU_DEP_2) | instskip(NEXT) | instid1(VALU_DEP_1)
	v_div_fmas_f32 v1, v1, v7, v8
	v_div_fixup_f32 v4, v1, 0x42fe0000, v5
	s_delay_alu instid0(VALU_DEP_3) | instskip(NEXT) | instid1(VALU_DEP_2)
	v_lshlrev_b64 v[1:2], 2, v[2:3]
	v_max_f32_e32 v3, 0x34000000, v4
	s_delay_alu instid0(VALU_DEP_2) | instskip(NEXT) | instid1(VALU_DEP_3)
	v_add_co_u32 v1, vcc_lo, s0, v1
	v_add_co_ci_u32_e32 v2, vcc_lo, s1, v2, vcc_lo
	global_store_b32 v[1:2], v3, off
.LBB32_53:
	s_or_b32 exec_lo, exec_lo, s3
	s_waitcnt_vscnt null, 0x0
	s_barrier
	buffer_gl0_inv
	s_and_saveexec_b32 s0, s2
	s_cbranch_execz .LBB32_65
; %bb.54:
	s_add_u32 s0, s12, s34
	s_addc_u32 s1, s13, 0
	s_add_u32 s2, s0, -1
	s_addc_u32 s3, s1, -1
	s_delay_alu instid0(SALU_CYCLE_1) | instskip(SKIP_1) | instid1(SALU_CYCLE_1)
	s_or_b64 s[18:19], s[2:3], s[12:13]
	s_mov_b32 s18, 0
	s_cmp_lg_u64 s[18:19], 0
	s_cbranch_scc0 .LBB32_67
; %bb.55:
	s_ashr_i32 s0, s13, 31
	s_delay_alu instid0(SALU_CYCLE_1) | instskip(SKIP_2) | instid1(SALU_CYCLE_1)
	s_add_u32 s20, s12, s0
	s_mov_b32 s1, s0
	s_addc_u32 s21, s13, s0
	s_xor_b64 s[0:1], s[20:21], s[0:1]
	s_delay_alu instid0(SALU_CYCLE_1) | instskip(SKIP_3) | instid1(VALU_DEP_1)
	v_cvt_f32_u32_e32 v1, s0
	v_cvt_f32_u32_e32 v2, s1
	s_sub_u32 s19, 0, s0
	s_subb_u32 s20, 0, s1
	v_fmamk_f32 v1, v2, 0x4f800000, v1
	s_delay_alu instid0(VALU_DEP_1) | instskip(SKIP_2) | instid1(VALU_DEP_1)
	v_rcp_f32_e32 v1, v1
	s_waitcnt_depctr 0xfff
	v_mul_f32_e32 v1, 0x5f7ffffc, v1
	v_mul_f32_e32 v2, 0x2f800000, v1
	s_delay_alu instid0(VALU_DEP_1) | instskip(NEXT) | instid1(VALU_DEP_1)
	v_trunc_f32_e32 v2, v2
	v_fmamk_f32 v1, v2, 0xcf800000, v1
	v_cvt_u32_f32_e32 v2, v2
	s_delay_alu instid0(VALU_DEP_2) | instskip(NEXT) | instid1(VALU_DEP_2)
	v_cvt_u32_f32_e32 v1, v1
	v_readfirstlane_b32 s9, v2
	s_delay_alu instid0(VALU_DEP_2) | instskip(NEXT) | instid1(VALU_DEP_2)
	v_readfirstlane_b32 s13, v1
	s_mul_i32 s21, s19, s9
	s_delay_alu instid0(VALU_DEP_1)
	s_mul_hi_u32 s23, s19, s13
	s_mul_i32 s22, s20, s13
	s_add_i32 s21, s23, s21
	s_mul_i32 s24, s19, s13
	s_add_i32 s21, s21, s22
	s_mul_hi_u32 s23, s13, s24
	s_mul_hi_u32 s25, s9, s24
	s_mul_i32 s22, s9, s24
	s_mul_hi_u32 s24, s13, s21
	s_mul_i32 s13, s13, s21
	s_mul_hi_u32 s26, s9, s21
	s_add_u32 s13, s23, s13
	s_addc_u32 s23, 0, s24
	s_add_u32 s13, s13, s22
	s_mul_i32 s21, s9, s21
	s_addc_u32 s13, s23, s25
	s_addc_u32 s22, s26, 0
	s_add_u32 s13, s13, s21
	s_addc_u32 s21, 0, s22
	v_add_co_u32 v1, s13, v1, s13
	s_delay_alu instid0(VALU_DEP_1) | instskip(SKIP_1) | instid1(VALU_DEP_1)
	s_cmp_lg_u32 s13, 0
	s_addc_u32 s9, s9, s21
	v_readfirstlane_b32 s13, v1
	s_mul_i32 s21, s19, s9
	s_delay_alu instid0(VALU_DEP_1)
	s_mul_hi_u32 s22, s19, s13
	s_mul_i32 s20, s20, s13
	s_add_i32 s21, s22, s21
	s_mul_i32 s19, s19, s13
	s_add_i32 s21, s21, s20
	s_mul_hi_u32 s22, s9, s19
	s_mul_i32 s23, s9, s19
	s_mul_hi_u32 s19, s13, s19
	s_mul_hi_u32 s24, s13, s21
	s_mul_i32 s13, s13, s21
	s_mul_hi_u32 s20, s9, s21
	s_add_u32 s13, s19, s13
	s_addc_u32 s19, 0, s24
	s_add_u32 s13, s13, s23
	s_mul_i32 s21, s9, s21
	s_addc_u32 s13, s19, s22
	s_addc_u32 s19, s20, 0
	s_add_u32 s13, s13, s21
	s_addc_u32 s19, 0, s19
	v_add_co_u32 v1, s13, v1, s13
	s_delay_alu instid0(VALU_DEP_1) | instskip(SKIP_2) | instid1(VALU_DEP_1)
	s_cmp_lg_u32 s13, 0
	s_addc_u32 s9, s9, s19
	s_ashr_i32 s20, s3, 31
	v_readfirstlane_b32 s13, v1
	s_add_u32 s22, s2, s20
	s_mov_b32 s21, s20
	s_addc_u32 s23, s3, s20
	s_delay_alu instid0(SALU_CYCLE_1) | instskip(NEXT) | instid1(SALU_CYCLE_1)
	s_xor_b64 s[22:23], s[22:23], s[20:21]
	s_mul_i32 s21, s22, s9
	s_mul_hi_u32 s24, s22, s13
	s_mul_hi_u32 s19, s22, s9
	;; [unrolled: 1-line block ×3, first 2 shown]
	s_mul_i32 s13, s23, s13
	s_add_u32 s21, s24, s21
	s_addc_u32 s19, 0, s19
	s_mul_hi_u32 s25, s23, s9
	s_add_u32 s13, s21, s13
	s_mul_i32 s9, s23, s9
	s_addc_u32 s13, s19, s26
	s_addc_u32 s19, s25, 0
	s_add_u32 s9, s13, s9
	s_addc_u32 s13, 0, s19
	s_mul_hi_u32 s19, s0, s9
	s_mul_i32 s13, s0, s13
	s_mul_i32 s21, s1, s9
	;; [unrolled: 1-line block ×3, first 2 shown]
	s_add_i32 s13, s19, s13
	v_sub_co_u32 v1, s9, s22, s9
	s_add_i32 s13, s13, s21
	s_delay_alu instid0(SALU_CYCLE_1) | instskip(SKIP_1) | instid1(VALU_DEP_1)
	s_sub_i32 s19, s23, s13
	s_cmp_lg_u32 s9, 0
	v_sub_co_u32 v2, s21, v1, s0
	s_subb_u32 s19, s19, s1
	s_cmp_lg_u32 s21, 0
	s_subb_u32 s22, s19, 0
	s_delay_alu instid0(VALU_DEP_1)
	v_cmp_le_u32_e32 vcc_lo, s0, v2
	s_cmp_ge_u32 s22, s1
	s_cselect_b32 s24, -1, 0
	s_cmp_eq_u32 s22, s1
	v_cndmask_b32_e64 v3, 0, -1, vcc_lo
	s_cselect_b32 vcc_lo, -1, 0
	s_cmp_lg_u32 s21, 0
	v_sub_co_u32 v4, s21, v2, s0
	s_subb_u32 s19, s19, s1
	s_cmp_lg_u32 s21, 0
	v_cndmask_b32_e32 v3, s24, v3, vcc_lo
	s_subb_u32 s19, s19, 0
	s_cmp_lg_u32 s9, 0
	v_cmp_le_u32_e32 vcc_lo, s0, v1
	s_subb_u32 s9, s23, s13
	s_delay_alu instid0(SALU_CYCLE_1)
	s_cmp_ge_u32 s9, s1
	v_cndmask_b32_e64 v5, 0, -1, vcc_lo
	s_cselect_b32 s13, -1, 0
	s_cmp_eq_u32 s9, s1
	v_cmp_ne_u32_e32 vcc_lo, 0, v3
	v_mov_b32_e32 v3, s19
	s_cselect_b32 s0, -1, 0
	s_delay_alu instid0(SALU_CYCLE_1) | instskip(SKIP_1) | instid1(VALU_DEP_3)
	v_cndmask_b32_e64 v5, s13, v5, s0
	v_cndmask_b32_e32 v2, v2, v4, vcc_lo
	v_cndmask_b32_e32 v3, s22, v3, vcc_lo
	s_delay_alu instid0(VALU_DEP_3) | instskip(NEXT) | instid1(VALU_DEP_3)
	v_cmp_ne_u32_e32 vcc_lo, 0, v5
	v_cndmask_b32_e32 v1, v1, v2, vcc_lo
	s_delay_alu instid0(VALU_DEP_3) | instskip(NEXT) | instid1(VALU_DEP_2)
	v_cndmask_b32_e32 v3, s9, v3, vcc_lo
	v_xor_b32_e32 v1, s20, v1
	s_delay_alu instid0(VALU_DEP_2) | instskip(NEXT) | instid1(VALU_DEP_2)
	v_xor_b32_e32 v2, s20, v3
	v_sub_co_u32 v1, vcc_lo, v1, s20
	s_delay_alu instid0(VALU_DEP_2)
	v_subrev_co_ci_u32_e32 v2, vcc_lo, s20, v2, vcc_lo
	s_and_not1_b32 vcc_lo, exec_lo, s18
	s_cbranch_vccnz .LBB32_57
.LBB32_56:
	v_cvt_f32_u32_e32 v1, s12
	s_sub_i32 s0, 0, s12
	s_delay_alu instid0(VALU_DEP_1) | instskip(SKIP_2) | instid1(VALU_DEP_1)
	v_rcp_iflag_f32_e32 v1, v1
	s_waitcnt_depctr 0xfff
	v_mul_f32_e32 v1, 0x4f7ffffe, v1
	v_cvt_u32_f32_e32 v1, v1
	s_delay_alu instid0(VALU_DEP_1) | instskip(NEXT) | instid1(VALU_DEP_1)
	v_mul_lo_u32 v2, s0, v1
	v_mul_hi_u32 v2, v1, v2
	s_delay_alu instid0(VALU_DEP_1) | instskip(NEXT) | instid1(VALU_DEP_1)
	v_add_nc_u32_e32 v1, v1, v2
	v_mul_hi_u32 v1, s2, v1
	s_delay_alu instid0(VALU_DEP_1) | instskip(NEXT) | instid1(VALU_DEP_1)
	v_mul_lo_u32 v1, v1, s12
	v_sub_nc_u32_e32 v1, s2, v1
	s_delay_alu instid0(VALU_DEP_1) | instskip(SKIP_1) | instid1(VALU_DEP_2)
	v_subrev_nc_u32_e32 v2, s12, v1
	v_cmp_le_u32_e32 vcc_lo, s12, v1
	v_cndmask_b32_e32 v1, v1, v2, vcc_lo
	s_delay_alu instid0(VALU_DEP_1) | instskip(SKIP_1) | instid1(VALU_DEP_2)
	v_subrev_nc_u32_e32 v2, s12, v1
	v_cmp_le_u32_e32 vcc_lo, s12, v1
	v_dual_cndmask_b32 v1, v1, v2 :: v_dual_mov_b32 v2, 0
.LBB32_57:
	s_delay_alu instid0(VALU_DEP_1)
	v_sub_co_u32 v5, vcc_lo, s2, v1
	s_add_u32 s0, s4, s14
	s_addc_u32 s1, s5, s15
	s_lshl_b64 s[4:5], s[16:17], 2
	v_sub_co_ci_u32_e32 v6, vcc_lo, s3, v2, vcc_lo
	v_mov_b32_e32 v1, 0
	s_add_u32 s4, s6, s4
	s_addc_u32 s5, s7, s5
	s_mul_i32 s2, s33, 3
	s_lshl_b32 s3, s33, 1
	s_mov_b32 s6, 0
	s_add_i32 s7, s33, s33
                                        ; implicit-def: $sgpr9
	s_branch .LBB32_61
.LBB32_58:                              ;   in Loop: Header=BB32_61 Depth=1
	s_or_b32 exec_lo, exec_lo, s14
	s_delay_alu instid0(SALU_CYCLE_1)
	s_or_not1_b32 s14, s15, exec_lo
.LBB32_59:                              ;   in Loop: Header=BB32_61 Depth=1
	s_or_b32 exec_lo, exec_lo, s13
	s_delay_alu instid0(SALU_CYCLE_1) | instskip(SKIP_1) | instid1(SALU_CYCLE_1)
	s_and_not1_b32 s9, s9, exec_lo
	s_and_b32 s13, s14, exec_lo
	s_or_b32 s9, s9, s13
.LBB32_60:                              ;   in Loop: Header=BB32_61 Depth=1
	s_or_b32 exec_lo, exec_lo, s12
	s_delay_alu instid0(SALU_CYCLE_1) | instskip(NEXT) | instid1(SALU_CYCLE_1)
	s_and_b32 s12, exec_lo, s9
	s_or_b32 s6, s12, s6
	s_delay_alu instid0(SALU_CYCLE_1)
	s_and_not1_b32 exec_lo, exec_lo, s6
	s_cbranch_execz .LBB32_65
.LBB32_61:                              ; =>This Inner Loop Header: Depth=1
	v_bfe_u32 v4, v0, 4, 26
	s_or_b32 s9, s9, exec_lo
	s_mov_b32 s12, exec_lo
	s_delay_alu instid0(VALU_DEP_1) | instskip(NEXT) | instid1(VALU_DEP_1)
	v_mad_u64_u32 v[2:3], null, v5, v4, 0
	v_mad_u64_u32 v[7:8], null, v6, v4, v[3:4]
	s_delay_alu instid0(VALU_DEP_1) | instskip(NEXT) | instid1(VALU_DEP_1)
	v_mov_b32_e32 v3, v7
	v_lshlrev_b64 v[2:3], 2, v[2:3]
	s_delay_alu instid0(VALU_DEP_1) | instskip(NEXT) | instid1(VALU_DEP_2)
	v_add_co_u32 v2, vcc_lo, s4, v2
	v_add_co_ci_u32_e32 v3, vcc_lo, s5, v3, vcc_lo
	global_load_b32 v4, v[2:3], off
	v_lshlrev_b64 v[2:3], 4, v[0:1]
	s_delay_alu instid0(VALU_DEP_1) | instskip(NEXT) | instid1(VALU_DEP_2)
	v_add_co_u32 v7, vcc_lo, s28, v2
	v_add_co_ci_u32_e32 v8, vcc_lo, s29, v3, vcc_lo
	v_add_co_u32 v19, vcc_lo, s30, v2
	v_add_co_ci_u32_e32 v20, vcc_lo, s31, v3, vcc_lo
	global_load_b128 v[7:10], v[7:8], off
	global_load_b128 v[11:14], v[19:20], off
	v_add_co_u32 v2, vcc_lo, s10, v2
	v_add_co_ci_u32_e32 v3, vcc_lo, s11, v3, vcc_lo
	global_load_b128 v[15:18], v[2:3], off
	s_waitcnt vmcnt(3)
	v_div_scale_f32 v2, null, v4, v4, 1.0
	v_div_scale_f32 v22, vcc_lo, 1.0, v4, 1.0
	s_delay_alu instid0(VALU_DEP_2) | instskip(SKIP_4) | instid1(VALU_DEP_2)
	v_rcp_f32_e32 v3, v2
	s_waitcnt_depctr 0xfff
	v_fma_f32 v21, -v2, v3, 1.0
	s_waitcnt vmcnt(1)
	v_add_f32_e32 v8, v8, v12
	v_dual_add_f32 v10, v10, v14 :: v_dual_fmac_f32 v3, v21, v3
	s_delay_alu instid0(VALU_DEP_1) | instskip(NEXT) | instid1(VALU_DEP_1)
	v_dual_mul_f32 v12, v28, v8 :: v_dual_mul_f32 v21, v22, v3
	v_fma_f32 v23, -v2, v21, v22
	s_delay_alu instid0(VALU_DEP_1) | instskip(NEXT) | instid1(VALU_DEP_1)
	v_fmac_f32_e32 v21, v23, v3
	v_fma_f32 v2, -v2, v21, v22
	s_delay_alu instid0(VALU_DEP_1) | instskip(NEXT) | instid1(VALU_DEP_1)
	v_div_fmas_f32 v2, v2, v3, v21
	v_div_fixup_f32 v2, v2, v4, 1.0
	s_waitcnt vmcnt(0)
	v_dual_mul_f32 v4, v16, v12 :: v_dual_add_f32 v9, v9, v13
	v_mul_f32_e32 v13, v28, v10
	s_delay_alu instid0(VALU_DEP_2) | instskip(NEXT) | instid1(VALU_DEP_1)
	v_dual_add_f32 v7, v7, v11 :: v_dual_mul_f32 v4, v4, v2
	v_dual_mul_f32 v12, v18, v13 :: v_dual_mul_f32 v3, v28, v7
	global_store_b128 v[19:20], v[7:10], off
	v_rndne_f32_e32 v4, v4
	v_mul_f32_e32 v11, v28, v9
	v_mul_f32_e32 v3, v15, v3
	s_delay_alu instid0(VALU_DEP_2) | instskip(NEXT) | instid1(VALU_DEP_2)
	v_mul_f32_e32 v11, v17, v11
	v_mul_f32_e32 v3, v3, v2
	s_delay_alu instid0(VALU_DEP_2) | instskip(SKIP_1) | instid1(VALU_DEP_3)
	v_mul_f32_e32 v11, v11, v2
	v_mul_f32_e32 v2, v12, v2
	v_rndne_f32_e32 v3, v3
	s_delay_alu instid0(VALU_DEP_3) | instskip(NEXT) | instid1(VALU_DEP_3)
	v_rndne_f32_e32 v11, v11
	v_rndne_f32_e32 v2, v2
	s_delay_alu instid0(VALU_DEP_2)
	v_cmp_nlt_f32_e32 vcc_lo, 0x42fe0000, v11
	v_cndmask_b32_e32 v12, 0x42fe0000, v11, vcc_lo
	v_cmp_nlt_f32_e32 vcc_lo, 0x42fe0000, v3
	v_cndmask_b32_e32 v13, 0x42fe0000, v3, vcc_lo
	;; [unrolled: 2-line block ×3, first 2 shown]
	v_cmp_ngt_f32_e32 vcc_lo, 0xc3000000, v11
	v_cndmask_b32_e32 v11, 0xc3000000, v12, vcc_lo
	v_cmp_nlt_f32_e32 vcc_lo, 0x42fe0000, v2
	s_delay_alu instid0(VALU_DEP_2) | instskip(SKIP_2) | instid1(VALU_DEP_3)
	v_cvt_i32_f32_e32 v11, v11
	v_cndmask_b32_e32 v12, 0x42fe0000, v2, vcc_lo
	v_cmp_ngt_f32_e32 vcc_lo, 0xc3000000, v4
	v_and_b32_e32 v11, 0xff, v11
	v_cndmask_b32_e32 v4, 0xc3000000, v14, vcc_lo
	v_cmp_ngt_f32_e32 vcc_lo, 0xc3000000, v3
	s_delay_alu instid0(VALU_DEP_3) | instskip(NEXT) | instid1(VALU_DEP_3)
	v_lshlrev_b32_e32 v11, 16, v11
	v_cvt_i32_f32_e32 v4, v4
	v_cndmask_b32_e32 v3, 0xc3000000, v13, vcc_lo
	v_cmp_ngt_f32_e32 vcc_lo, 0xc3000000, v2
	s_delay_alu instid0(VALU_DEP_3) | instskip(SKIP_1) | instid1(VALU_DEP_4)
	v_and_b32_e32 v13, 0xff, v4
	v_cndmask_b32_e32 v2, 0xc3000000, v12, vcc_lo
	v_cvt_i32_f32_e32 v12, v3
	v_lshlrev_b64 v[3:4], 2, v[0:1]
	s_delay_alu instid0(VALU_DEP_4) | instskip(NEXT) | instid1(VALU_DEP_4)
	v_lshlrev_b32_e32 v13, 8, v13
	v_cvt_i32_f32_e32 v2, v2
	s_delay_alu instid0(VALU_DEP_4) | instskip(NEXT) | instid1(VALU_DEP_4)
	v_and_b32_e32 v12, 0xff, v12
	v_add_co_u32 v3, vcc_lo, s0, v3
	s_delay_alu instid0(VALU_DEP_3) | instskip(SKIP_2) | instid1(VALU_DEP_3)
	v_lshl_or_b32 v11, v2, 24, v11
	v_add_nc_u32_e32 v2, s33, v0
	v_add_co_ci_u32_e32 v4, vcc_lo, s1, v4, vcc_lo
	v_or3_b32 v11, v11, v13, v12
	global_store_b32 v[3:4], v11, off
	v_cmpx_gt_u32_e64 s8, v2
	s_cbranch_execz .LBB32_60
; %bb.62:                               ;   in Loop: Header=BB32_61 Depth=1
	v_bfe_u32 v9, v2, 4, 26
	s_mov_b32 s14, -1
	s_mov_b32 s13, exec_lo
	s_delay_alu instid0(VALU_DEP_1) | instskip(NEXT) | instid1(VALU_DEP_1)
	v_mad_u64_u32 v[3:4], null, v5, v9, 0
	v_mad_u64_u32 v[7:8], null, v6, v9, v[4:5]
	s_delay_alu instid0(VALU_DEP_1) | instskip(NEXT) | instid1(VALU_DEP_1)
	v_mov_b32_e32 v4, v7
	v_lshlrev_b64 v[3:4], 2, v[3:4]
	s_delay_alu instid0(VALU_DEP_1) | instskip(NEXT) | instid1(VALU_DEP_2)
	v_add_co_u32 v3, vcc_lo, s4, v3
	v_add_co_ci_u32_e32 v4, vcc_lo, s5, v4, vcc_lo
	global_load_b32 v4, v[3:4], off
	v_mov_b32_e32 v3, v1
	s_delay_alu instid0(VALU_DEP_1) | instskip(NEXT) | instid1(VALU_DEP_1)
	v_lshlrev_b64 v[15:16], 4, v[2:3]
	v_add_co_u32 v7, vcc_lo, s28, v15
	s_delay_alu instid0(VALU_DEP_2)
	v_add_co_ci_u32_e32 v8, vcc_lo, s29, v16, vcc_lo
	v_add_co_u32 v19, vcc_lo, s30, v15
	v_add_co_ci_u32_e32 v20, vcc_lo, s31, v16, vcc_lo
	global_load_b128 v[7:10], v[7:8], off
	global_load_b128 v[11:14], v[19:20], off
	v_add_co_u32 v15, vcc_lo, s10, v15
	v_add_co_ci_u32_e32 v16, vcc_lo, s11, v16, vcc_lo
	global_load_b128 v[15:18], v[15:16], off
	s_waitcnt vmcnt(3)
	v_div_scale_f32 v21, null, v4, v4, 1.0
	v_div_scale_f32 v24, vcc_lo, 1.0, v4, 1.0
	s_delay_alu instid0(VALU_DEP_2) | instskip(SKIP_3) | instid1(VALU_DEP_1)
	v_rcp_f32_e32 v22, v21
	s_waitcnt_depctr 0xfff
	v_fma_f32 v23, -v21, v22, 1.0
	s_waitcnt vmcnt(1)
	v_dual_fmac_f32 v22, v23, v22 :: v_dual_add_f32 v9, v9, v13
	v_dual_add_f32 v7, v7, v11 :: v_dual_add_f32 v8, v8, v12
	v_add_f32_e32 v10, v10, v14
	s_delay_alu instid0(VALU_DEP_3) | instskip(NEXT) | instid1(VALU_DEP_4)
	v_mul_f32_e32 v12, v28, v9
	v_mul_f32_e32 v23, v24, v22
	s_delay_alu instid0(VALU_DEP_4)
	v_mul_f32_e32 v13, v28, v7
	global_store_b128 v[19:20], v[7:10], off
	v_mul_f32_e32 v14, v28, v8
	s_waitcnt vmcnt(0)
	v_mul_f32_e32 v12, v17, v12
	v_fma_f32 v25, -v21, v23, v24
	s_delay_alu instid0(VALU_DEP_1) | instskip(NEXT) | instid1(VALU_DEP_1)
	v_fmac_f32_e32 v23, v25, v22
	v_fma_f32 v11, -v21, v23, v24
	s_delay_alu instid0(VALU_DEP_1) | instskip(NEXT) | instid1(VALU_DEP_1)
	v_div_fmas_f32 v11, v11, v22, v23
	v_div_fixup_f32 v4, v11, v4, 1.0
	v_mul_f32_e32 v11, v15, v13
	v_mul_f32_e32 v21, v28, v10
	;; [unrolled: 1-line block ×3, first 2 shown]
	s_delay_alu instid0(VALU_DEP_4) | instskip(NEXT) | instid1(VALU_DEP_3)
	v_mul_f32_e32 v12, v12, v4
	v_dual_mul_f32 v11, v11, v4 :: v_dual_mul_f32 v14, v18, v21
	s_delay_alu instid0(VALU_DEP_3) | instskip(NEXT) | instid1(VALU_DEP_3)
	v_mul_f32_e32 v13, v13, v4
	v_rndne_f32_e32 v12, v12
	s_delay_alu instid0(VALU_DEP_3) | instskip(NEXT) | instid1(VALU_DEP_4)
	v_rndne_f32_e32 v11, v11
	v_mul_f32_e32 v4, v14, v4
	s_delay_alu instid0(VALU_DEP_4) | instskip(NEXT) | instid1(VALU_DEP_4)
	v_rndne_f32_e32 v13, v13
	v_cmp_nlt_f32_e32 vcc_lo, 0x42fe0000, v12
	s_delay_alu instid0(VALU_DEP_3)
	v_rndne_f32_e32 v4, v4
	v_cndmask_b32_e32 v14, 0x42fe0000, v12, vcc_lo
	v_cmp_nlt_f32_e32 vcc_lo, 0x42fe0000, v11
	v_cndmask_b32_e32 v15, 0x42fe0000, v11, vcc_lo
	v_cmp_nlt_f32_e32 vcc_lo, 0x42fe0000, v13
	v_cndmask_b32_e32 v16, 0x42fe0000, v13, vcc_lo
	v_cmp_ngt_f32_e32 vcc_lo, 0xc3000000, v12
	v_cndmask_b32_e32 v12, 0xc3000000, v14, vcc_lo
	v_cmp_nlt_f32_e32 vcc_lo, 0x42fe0000, v4
	s_delay_alu instid0(VALU_DEP_2) | instskip(SKIP_2) | instid1(VALU_DEP_3)
	v_cvt_i32_f32_e32 v12, v12
	v_cndmask_b32_e32 v14, 0x42fe0000, v4, vcc_lo
	v_cmp_ngt_f32_e32 vcc_lo, 0xc3000000, v13
	v_and_b32_e32 v12, 0xff, v12
	v_cndmask_b32_e32 v13, 0xc3000000, v16, vcc_lo
	v_cmp_ngt_f32_e32 vcc_lo, 0xc3000000, v11
	s_delay_alu instid0(VALU_DEP_2) | instskip(SKIP_3) | instid1(VALU_DEP_4)
	v_cvt_i32_f32_e32 v13, v13
	v_cndmask_b32_e32 v11, 0xc3000000, v15, vcc_lo
	v_lshlrev_b32_e32 v15, 16, v12
	v_cmp_ngt_f32_e32 vcc_lo, 0xc3000000, v4
	v_and_b32_e32 v13, 0xff, v13
	v_cndmask_b32_e32 v4, 0xc3000000, v14, vcc_lo
	v_cvt_i32_f32_e32 v14, v11
	v_lshlrev_b64 v[11:12], 2, v[2:3]
	s_delay_alu instid0(VALU_DEP_4) | instskip(SKIP_4) | instid1(VALU_DEP_3)
	v_lshlrev_b32_e32 v13, 8, v13
	v_add_nc_u32_e32 v3, s3, v0
	v_cvt_i32_f32_e32 v4, v4
	v_and_b32_e32 v14, 0xff, v14
	v_add_co_u32 v11, vcc_lo, s0, v11
	v_lshl_or_b32 v4, v4, 24, v15
	v_add_co_ci_u32_e32 v12, vcc_lo, s1, v12, vcc_lo
	s_delay_alu instid0(VALU_DEP_2)
	v_or3_b32 v4, v4, v13, v14
	global_store_b32 v[11:12], v4, off
	v_cmpx_gt_u32_e64 s8, v3
	s_cbranch_execz .LBB32_59
; %bb.63:                               ;   in Loop: Header=BB32_61 Depth=1
	v_bfe_u32 v10, v3, 4, 26
	v_add_nc_u32_e32 v0, s2, v0
	s_mov_b32 s15, -1
	s_mov_b32 s14, exec_lo
	s_delay_alu instid0(VALU_DEP_2) | instskip(NEXT) | instid1(VALU_DEP_1)
	v_mad_u64_u32 v[7:8], null, v5, v10, 0
	v_mov_b32_e32 v4, v8
	s_delay_alu instid0(VALU_DEP_1) | instskip(NEXT) | instid1(VALU_DEP_1)
	v_mad_u64_u32 v[8:9], null, v6, v10, v[4:5]
	v_lshlrev_b64 v[7:8], 2, v[7:8]
	s_delay_alu instid0(VALU_DEP_1) | instskip(NEXT) | instid1(VALU_DEP_2)
	v_add_co_u32 v7, vcc_lo, s4, v7
	v_add_co_ci_u32_e32 v8, vcc_lo, s5, v8, vcc_lo
	global_load_b32 v21, v[7:8], off
	s_waitcnt vmcnt(0)
	v_div_scale_f32 v22, null, v21, v21, 1.0
	s_delay_alu instid0(VALU_DEP_1) | instskip(SKIP_2) | instid1(VALU_DEP_1)
	v_rcp_f32_e32 v23, v22
	s_waitcnt_depctr 0xfff
	v_fma_f32 v24, -v22, v23, 1.0
	v_dual_mov_b32 v4, v1 :: v_dual_fmac_f32 v23, v24, v23
	s_delay_alu instid0(VALU_DEP_1) | instskip(SKIP_1) | instid1(VALU_DEP_2)
	v_lshlrev_b64 v[15:16], 4, v[3:4]
	v_lshlrev_b64 v[3:4], 2, v[3:4]
	v_add_co_u32 v7, vcc_lo, s28, v15
	s_delay_alu instid0(VALU_DEP_3)
	v_add_co_ci_u32_e32 v8, vcc_lo, s29, v16, vcc_lo
	v_add_co_u32 v19, vcc_lo, s30, v15
	v_add_co_ci_u32_e32 v20, vcc_lo, s31, v16, vcc_lo
	global_load_b128 v[7:10], v[7:8], off
	global_load_b128 v[11:14], v[19:20], off
	v_add_co_u32 v15, vcc_lo, s10, v15
	v_add_co_ci_u32_e32 v16, vcc_lo, s11, v16, vcc_lo
	v_div_scale_f32 v25, vcc_lo, 1.0, v21, 1.0
	global_load_b128 v[15:18], v[15:16], off
	s_waitcnt vmcnt(1)
	v_dual_add_f32 v7, v7, v11 :: v_dual_add_f32 v8, v8, v12
	v_dual_add_f32 v9, v9, v13 :: v_dual_add_f32 v10, v10, v14
	s_delay_alu instid0(VALU_DEP_2)
	v_mul_f32_e32 v13, v28, v7
	v_mul_f32_e32 v24, v25, v23
	global_store_b128 v[19:20], v[7:10], off
	s_waitcnt vmcnt(0)
	v_mul_f32_e32 v13, v15, v13
	v_fma_f32 v26, -v22, v24, v25
	s_delay_alu instid0(VALU_DEP_1) | instskip(NEXT) | instid1(VALU_DEP_1)
	v_fmac_f32_e32 v24, v26, v23
	v_fma_f32 v11, -v22, v24, v25
	s_delay_alu instid0(VALU_DEP_1) | instskip(NEXT) | instid1(VALU_DEP_1)
	v_div_fmas_f32 v11, v11, v23, v24
	v_div_fixup_f32 v11, v11, v21, 1.0
	v_mul_f32_e32 v14, v28, v8
	v_mul_f32_e32 v22, v28, v10
	s_delay_alu instid0(VALU_DEP_3) | instskip(NEXT) | instid1(VALU_DEP_3)
	v_dual_mul_f32 v12, v28, v9 :: v_dual_mul_f32 v13, v13, v11
	v_mul_f32_e32 v14, v16, v14
	s_delay_alu instid0(VALU_DEP_3) | instskip(NEXT) | instid1(VALU_DEP_3)
	v_mul_f32_e32 v15, v18, v22
	v_rndne_f32_e32 v13, v13
	s_delay_alu instid0(VALU_DEP_3) | instskip(NEXT) | instid1(VALU_DEP_1)
	v_mul_f32_e32 v14, v14, v11
	v_rndne_f32_e32 v14, v14
	v_mul_f32_e32 v12, v17, v12
	s_delay_alu instid0(VALU_DEP_1) | instskip(SKIP_1) | instid1(VALU_DEP_2)
	v_mul_f32_e32 v12, v12, v11
	v_mul_f32_e32 v11, v15, v11
	v_rndne_f32_e32 v12, v12
	s_delay_alu instid0(VALU_DEP_2) | instskip(NEXT) | instid1(VALU_DEP_2)
	v_rndne_f32_e32 v11, v11
	v_cmp_nlt_f32_e32 vcc_lo, 0x42fe0000, v12
	v_cndmask_b32_e32 v15, 0x42fe0000, v12, vcc_lo
	v_cmp_nlt_f32_e32 vcc_lo, 0x42fe0000, v13
	v_cndmask_b32_e32 v16, 0x42fe0000, v13, vcc_lo
	;; [unrolled: 2-line block ×3, first 2 shown]
	v_cmp_ngt_f32_e32 vcc_lo, 0xc3000000, v12
	v_cndmask_b32_e32 v12, 0xc3000000, v15, vcc_lo
	v_cmp_nlt_f32_e32 vcc_lo, 0x42fe0000, v11
	s_delay_alu instid0(VALU_DEP_2) | instskip(SKIP_2) | instid1(VALU_DEP_3)
	v_cvt_i32_f32_e32 v12, v12
	v_cndmask_b32_e32 v15, 0x42fe0000, v11, vcc_lo
	v_cmp_ngt_f32_e32 vcc_lo, 0xc3000000, v14
	v_and_b32_e32 v12, 0xff, v12
	v_cndmask_b32_e32 v14, 0xc3000000, v17, vcc_lo
	v_cmp_ngt_f32_e32 vcc_lo, 0xc3000000, v13
	s_delay_alu instid0(VALU_DEP_3) | instskip(NEXT) | instid1(VALU_DEP_3)
	v_lshlrev_b32_e32 v12, 16, v12
	v_cvt_i32_f32_e32 v14, v14
	v_cndmask_b32_e32 v13, 0xc3000000, v16, vcc_lo
	v_cmp_ngt_f32_e32 vcc_lo, 0xc3000000, v11
	s_delay_alu instid0(VALU_DEP_3) | instskip(NEXT) | instid1(VALU_DEP_3)
	v_and_b32_e32 v14, 0xff, v14
	v_cvt_i32_f32_e32 v13, v13
	v_cndmask_b32_e32 v11, 0xc3000000, v15, vcc_lo
	v_add_co_u32 v3, vcc_lo, s0, v3
	s_delay_alu instid0(VALU_DEP_4) | instskip(NEXT) | instid1(VALU_DEP_4)
	v_lshlrev_b32_e32 v14, 8, v14
	v_and_b32_e32 v13, 0xff, v13
	s_delay_alu instid0(VALU_DEP_4) | instskip(SKIP_1) | instid1(VALU_DEP_2)
	v_cvt_i32_f32_e32 v11, v11
	v_add_co_ci_u32_e32 v4, vcc_lo, s1, v4, vcc_lo
	v_lshl_or_b32 v11, v11, 24, v12
	s_delay_alu instid0(VALU_DEP_1)
	v_or3_b32 v11, v11, v14, v13
	global_store_b32 v[3:4], v11, off
	v_cmpx_gt_u32_e64 s8, v0
	s_cbranch_execz .LBB32_58
; %bb.64:                               ;   in Loop: Header=BB32_61 Depth=1
	v_bfe_u32 v9, v0, 4, 26
	s_delay_alu instid0(VALU_DEP_1) | instskip(NEXT) | instid1(VALU_DEP_1)
	v_mad_u64_u32 v[3:4], null, v5, v9, 0
	v_mad_u64_u32 v[7:8], null, v6, v9, v[4:5]
	s_delay_alu instid0(VALU_DEP_1) | instskip(NEXT) | instid1(VALU_DEP_1)
	v_mov_b32_e32 v4, v7
	v_lshlrev_b64 v[3:4], 2, v[3:4]
	s_delay_alu instid0(VALU_DEP_1) | instskip(NEXT) | instid1(VALU_DEP_2)
	v_add_co_u32 v3, vcc_lo, s4, v3
	v_add_co_ci_u32_e32 v4, vcc_lo, s5, v4, vcc_lo
	global_load_b32 v21, v[3:4], off
	v_lshlrev_b64 v[3:4], 4, v[0:1]
	s_delay_alu instid0(VALU_DEP_1) | instskip(NEXT) | instid1(VALU_DEP_2)
	v_add_co_u32 v7, vcc_lo, s28, v3
	v_add_co_ci_u32_e32 v8, vcc_lo, s29, v4, vcc_lo
	v_add_co_u32 v19, vcc_lo, s30, v3
	v_add_co_ci_u32_e32 v20, vcc_lo, s31, v4, vcc_lo
	global_load_b128 v[7:10], v[7:8], off
	global_load_b128 v[11:14], v[19:20], off
	v_add_co_u32 v3, vcc_lo, s10, v3
	v_add_co_ci_u32_e32 v4, vcc_lo, s11, v4, vcc_lo
	global_load_b128 v[15:18], v[3:4], off
	s_waitcnt vmcnt(3)
	v_div_scale_f32 v3, null, v21, v21, 1.0
	v_div_scale_f32 v23, vcc_lo, 1.0, v21, 1.0
	s_delay_alu instid0(VALU_DEP_2) | instskip(SKIP_4) | instid1(VALU_DEP_2)
	v_rcp_f32_e32 v4, v3
	s_waitcnt_depctr 0xfff
	v_fma_f32 v22, -v3, v4, 1.0
	s_waitcnt vmcnt(1)
	v_add_f32_e32 v9, v9, v13
	v_dual_add_f32 v7, v7, v11 :: v_dual_fmac_f32 v4, v22, v4
	s_delay_alu instid0(VALU_DEP_1) | instskip(SKIP_1) | instid1(VALU_DEP_1)
	v_dual_mul_f32 v11, v28, v9 :: v_dual_mul_f32 v22, v23, v4
	s_waitcnt vmcnt(0)
	v_mul_f32_e32 v11, v17, v11
	s_delay_alu instid0(VALU_DEP_2) | instskip(NEXT) | instid1(VALU_DEP_1)
	v_fma_f32 v24, -v3, v22, v23
	v_fmac_f32_e32 v22, v24, v4
	s_delay_alu instid0(VALU_DEP_1) | instskip(NEXT) | instid1(VALU_DEP_1)
	v_fma_f32 v3, -v3, v22, v23
	v_div_fmas_f32 v3, v3, v4, v22
	s_delay_alu instid0(VALU_DEP_1) | instskip(NEXT) | instid1(VALU_DEP_1)
	v_div_fixup_f32 v3, v3, v21, 1.0
	v_dual_add_f32 v10, v10, v14 :: v_dual_mul_f32 v11, v11, v3
	s_delay_alu instid0(VALU_DEP_1) | instskip(SKIP_1) | instid1(VALU_DEP_3)
	v_mul_f32_e32 v13, v28, v10
	v_add_f32_e32 v8, v8, v12
	v_rndne_f32_e32 v11, v11
	s_delay_alu instid0(VALU_DEP_2) | instskip(SKIP_3) | instid1(VALU_DEP_1)
	v_dual_mul_f32 v13, v18, v13 :: v_dual_mul_f32 v12, v28, v8
	global_store_b128 v[19:20], v[7:10], off
	v_cmp_nlt_f32_e32 vcc_lo, 0x42fe0000, v11
	v_mul_f32_e32 v12, v16, v12
	v_mul_f32_e32 v12, v12, v3
	s_delay_alu instid0(VALU_DEP_1) | instskip(SKIP_1) | instid1(VALU_DEP_1)
	v_rndne_f32_e32 v12, v12
	v_mul_f32_e32 v4, v28, v7
	v_mul_f32_e32 v4, v15, v4
	s_delay_alu instid0(VALU_DEP_1) | instskip(SKIP_2) | instid1(VALU_DEP_3)
	v_mul_f32_e32 v4, v4, v3
	v_mul_f32_e32 v3, v13, v3
	v_cndmask_b32_e32 v13, 0x42fe0000, v11, vcc_lo
	v_rndne_f32_e32 v4, v4
	s_delay_alu instid0(VALU_DEP_3) | instskip(NEXT) | instid1(VALU_DEP_2)
	v_rndne_f32_e32 v3, v3
	v_cmp_nlt_f32_e32 vcc_lo, 0x42fe0000, v4
	v_cndmask_b32_e32 v14, 0x42fe0000, v4, vcc_lo
	v_cmp_nlt_f32_e32 vcc_lo, 0x42fe0000, v12
	v_cndmask_b32_e32 v15, 0x42fe0000, v12, vcc_lo
	v_cmp_ngt_f32_e32 vcc_lo, 0xc3000000, v11
	v_cndmask_b32_e32 v11, 0xc3000000, v13, vcc_lo
	v_cmp_nlt_f32_e32 vcc_lo, 0x42fe0000, v3
	s_delay_alu instid0(VALU_DEP_2) | instskip(SKIP_2) | instid1(VALU_DEP_3)
	v_cvt_i32_f32_e32 v11, v11
	v_cndmask_b32_e32 v13, 0x42fe0000, v3, vcc_lo
	v_cmp_ngt_f32_e32 vcc_lo, 0xc3000000, v12
	v_and_b32_e32 v11, 0xff, v11
	v_cndmask_b32_e32 v12, 0xc3000000, v15, vcc_lo
	v_cmp_ngt_f32_e32 vcc_lo, 0xc3000000, v4
	s_delay_alu instid0(VALU_DEP_3) | instskip(NEXT) | instid1(VALU_DEP_3)
	v_lshlrev_b32_e32 v11, 16, v11
	v_cvt_i32_f32_e32 v12, v12
	v_cndmask_b32_e32 v4, 0xc3000000, v14, vcc_lo
	v_cmp_ngt_f32_e32 vcc_lo, 0xc3000000, v3
	s_delay_alu instid0(VALU_DEP_3) | instskip(NEXT) | instid1(VALU_DEP_1)
	v_and_b32_e32 v12, 0xff, v12
	v_dual_cndmask_b32 v3, 0xc3000000, v13 :: v_dual_lshlrev_b32 v12, 8, v12
	s_delay_alu instid0(VALU_DEP_4) | instskip(NEXT) | instid1(VALU_DEP_2)
	v_cvt_i32_f32_e32 v13, v4
	v_cvt_i32_f32_e32 v14, v3
	v_lshlrev_b64 v[3:4], 2, v[0:1]
	v_add3_u32 v0, s7, s33, v2
	s_delay_alu instid0(VALU_DEP_4) | instskip(NEXT) | instid1(VALU_DEP_4)
	v_and_b32_e32 v13, 0xff, v13
	v_lshl_or_b32 v11, v14, 24, v11
	s_delay_alu instid0(VALU_DEP_4) | instskip(SKIP_2) | instid1(VALU_DEP_4)
	v_add_co_u32 v2, vcc_lo, s0, v3
	v_add_co_ci_u32_e32 v3, vcc_lo, s1, v4, vcc_lo
	v_cmp_le_u32_e32 vcc_lo, s8, v0
	v_or3_b32 v4, v11, v12, v13
	s_or_not1_b32 s15, vcc_lo, exec_lo
	global_store_b32 v[2:3], v4, off
	s_branch .LBB32_58
.LBB32_65:
	s_nop 0
	s_sendmsg sendmsg(MSG_DEALLOC_VGPRS)
	s_endpgm
.LBB32_66:
                                        ; implicit-def: $vgpr3_vgpr4
	s_branch .LBB32_51
.LBB32_67:
                                        ; implicit-def: $vgpr1_vgpr2
	s_branch .LBB32_56
	.section	.rodata,"a",@progbits
	.p2align	6, 0x0
	.amdhsa_kernel _ZN4vllm31rms_norm_per_block_quant_kernelIfaLb1ELb1ELi64EEEvPT0_PfPKT_S6_PKffiiPS4_l
		.amdhsa_group_segment_fixed_size 4228
		.amdhsa_private_segment_fixed_size 0
		.amdhsa_kernarg_size 328
		.amdhsa_user_sgpr_count 15
		.amdhsa_user_sgpr_dispatch_ptr 0
		.amdhsa_user_sgpr_queue_ptr 0
		.amdhsa_user_sgpr_kernarg_segment_ptr 1
		.amdhsa_user_sgpr_dispatch_id 0
		.amdhsa_user_sgpr_private_segment_size 0
		.amdhsa_wavefront_size32 1
		.amdhsa_uses_dynamic_stack 0
		.amdhsa_enable_private_segment 0
		.amdhsa_system_sgpr_workgroup_id_x 1
		.amdhsa_system_sgpr_workgroup_id_y 0
		.amdhsa_system_sgpr_workgroup_id_z 0
		.amdhsa_system_sgpr_workgroup_info 0
		.amdhsa_system_vgpr_workitem_id 0
		.amdhsa_next_free_vgpr 37
		.amdhsa_next_free_sgpr 42
		.amdhsa_reserve_vcc 1
		.amdhsa_float_round_mode_32 0
		.amdhsa_float_round_mode_16_64 0
		.amdhsa_float_denorm_mode_32 3
		.amdhsa_float_denorm_mode_16_64 3
		.amdhsa_dx10_clamp 1
		.amdhsa_ieee_mode 1
		.amdhsa_fp16_overflow 0
		.amdhsa_workgroup_processor_mode 1
		.amdhsa_memory_ordered 1
		.amdhsa_forward_progress 0
		.amdhsa_shared_vgpr_count 0
		.amdhsa_exception_fp_ieee_invalid_op 0
		.amdhsa_exception_fp_denorm_src 0
		.amdhsa_exception_fp_ieee_div_zero 0
		.amdhsa_exception_fp_ieee_overflow 0
		.amdhsa_exception_fp_ieee_underflow 0
		.amdhsa_exception_fp_ieee_inexact 0
		.amdhsa_exception_int_div_zero 0
	.end_amdhsa_kernel
	.section	.text._ZN4vllm31rms_norm_per_block_quant_kernelIfaLb1ELb1ELi64EEEvPT0_PfPKT_S6_PKffiiPS4_l,"axG",@progbits,_ZN4vllm31rms_norm_per_block_quant_kernelIfaLb1ELb1ELi64EEEvPT0_PfPKT_S6_PKffiiPS4_l,comdat
.Lfunc_end32:
	.size	_ZN4vllm31rms_norm_per_block_quant_kernelIfaLb1ELb1ELi64EEEvPT0_PfPKT_S6_PKffiiPS4_l, .Lfunc_end32-_ZN4vllm31rms_norm_per_block_quant_kernelIfaLb1ELb1ELi64EEEvPT0_PfPKT_S6_PKffiiPS4_l
                                        ; -- End function
	.section	.AMDGPU.csdata,"",@progbits
; Kernel info:
; codeLenInByte = 8656
; NumSgprs: 44
; NumVgprs: 37
; ScratchSize: 0
; MemoryBound: 0
; FloatMode: 240
; IeeeMode: 1
; LDSByteSize: 4228 bytes/workgroup (compile time only)
; SGPRBlocks: 5
; VGPRBlocks: 4
; NumSGPRsForWavesPerEU: 44
; NumVGPRsForWavesPerEU: 37
; Occupancy: 16
; WaveLimiterHint : 0
; COMPUTE_PGM_RSRC2:SCRATCH_EN: 0
; COMPUTE_PGM_RSRC2:USER_SGPR: 15
; COMPUTE_PGM_RSRC2:TRAP_HANDLER: 0
; COMPUTE_PGM_RSRC2:TGID_X_EN: 1
; COMPUTE_PGM_RSRC2:TGID_Y_EN: 0
; COMPUTE_PGM_RSRC2:TGID_Z_EN: 0
; COMPUTE_PGM_RSRC2:TIDIG_COMP_CNT: 0
	.section	.text._ZN4vllm31rms_norm_per_block_quant_kernelIfN3c1013Float8_e4m3fnELb1ELb0ELi64EEEvPT0_PfPKT_S8_PKffiiPS6_l,"axG",@progbits,_ZN4vllm31rms_norm_per_block_quant_kernelIfN3c1013Float8_e4m3fnELb1ELb0ELi64EEEvPT0_PfPKT_S8_PKffiiPS6_l,comdat
	.protected	_ZN4vllm31rms_norm_per_block_quant_kernelIfN3c1013Float8_e4m3fnELb1ELb0ELi64EEEvPT0_PfPKT_S8_PKffiiPS6_l ; -- Begin function _ZN4vllm31rms_norm_per_block_quant_kernelIfN3c1013Float8_e4m3fnELb1ELb0ELi64EEEvPT0_PfPKT_S8_PKffiiPS6_l
	.globl	_ZN4vllm31rms_norm_per_block_quant_kernelIfN3c1013Float8_e4m3fnELb1ELb0ELi64EEEvPT0_PfPKT_S8_PKffiiPS6_l
	.p2align	8
	.type	_ZN4vllm31rms_norm_per_block_quant_kernelIfN3c1013Float8_e4m3fnELb1ELb0ELi64EEEvPT0_PfPKT_S8_PKffiiPS6_l,@function
_ZN4vllm31rms_norm_per_block_quant_kernelIfN3c1013Float8_e4m3fnELb1ELb0ELi64EEEvPT0_PfPKT_S8_PKffiiPS6_l: ; @_ZN4vllm31rms_norm_per_block_quant_kernelIfN3c1013Float8_e4m3fnELb1ELb0ELi64EEEvPT0_PfPKT_S8_PKffiiPS6_l
; %bb.0:
	s_clause 0x2
	s_load_b128 s[16:19], s[0:1], 0x28
	s_load_b256 s[4:11], s[0:1], 0x0
	s_load_b64 s[2:3], s[0:1], 0x38
	v_mov_b32_e32 v6, 0
	s_waitcnt lgkmcnt(0)
	s_ashr_i32 s12, s18, 31
	s_mul_hi_u32 s13, s18, s15
	s_mul_i32 s20, s18, s15
	s_mul_i32 s18, s12, s15
	s_ashr_i32 s19, s17, 31
	s_add_i32 s21, s13, s18
	s_mul_hi_u32 s14, s17, s15
	s_mul_i32 s13, s19, s15
	s_lshl_b64 s[20:21], s[20:21], 2
	s_mul_i32 s12, s17, s15
	s_add_i32 s13, s14, s13
	s_add_u32 s28, s8, s20
	s_addc_u32 s29, s9, s21
	s_lshl_b64 s[8:9], s[12:13], 2
	s_mov_b32 s18, s17
	s_add_u32 s30, s2, s8
	s_addc_u32 s31, s3, s9
	s_ashr_i32 s8, s17, 2
	s_add_u32 s20, s0, 0x48
	v_cmp_gt_u32_e64 s2, s8, v0
	s_mov_b32 s3, 0
	s_addc_u32 s21, s1, 0
	s_delay_alu instid0(VALU_DEP_1)
	s_and_saveexec_b32 s9, s2
	s_cbranch_execz .LBB33_10
; %bb.1:
	s_load_b32 s14, s[20:21], 0x0
	v_dual_mov_b32 v2, 0 :: v_dual_mov_b32 v1, v0
	s_waitcnt lgkmcnt(0)
	s_cmp_lt_u32 s15, s14
	s_cselect_b32 s14, 12, 18
	s_delay_alu instid0(SALU_CYCLE_1)
	s_add_u32 s22, s20, s14
	s_addc_u32 s23, s21, 0
                                        ; implicit-def: $sgpr14
	global_load_u16 v7, v2, s[22:23]
	s_waitcnt vmcnt(0)
	v_lshlrev_b32_e32 v9, 1, v7
	v_mul_lo_u32 v8, v7, 3
	v_add_nc_u32_e32 v10, v7, v7
	v_mov_b32_e32 v6, v2
	s_branch .LBB33_5
.LBB33_2:                               ;   in Loop: Header=BB33_5 Depth=1
	s_or_b32 exec_lo, exec_lo, s23
	s_delay_alu instid0(SALU_CYCLE_1)
	s_or_not1_b32 s23, s24, exec_lo
.LBB33_3:                               ;   in Loop: Header=BB33_5 Depth=1
	s_or_b32 exec_lo, exec_lo, s22
	s_delay_alu instid0(SALU_CYCLE_1) | instskip(SKIP_1) | instid1(SALU_CYCLE_1)
	s_and_not1_b32 s14, s14, exec_lo
	s_and_b32 s22, s23, exec_lo
	s_or_b32 s14, s14, s22
.LBB33_4:                               ;   in Loop: Header=BB33_5 Depth=1
	s_or_b32 exec_lo, exec_lo, s17
	s_delay_alu instid0(SALU_CYCLE_1) | instskip(NEXT) | instid1(SALU_CYCLE_1)
	s_and_b32 s17, exec_lo, s14
	s_or_b32 s3, s17, s3
	s_delay_alu instid0(SALU_CYCLE_1)
	s_and_not1_b32 exec_lo, exec_lo, s3
	s_cbranch_execz .LBB33_9
.LBB33_5:                               ; =>This Inner Loop Header: Depth=1
	v_lshlrev_b64 v[3:4], 4, v[1:2]
	s_or_b32 s14, s14, exec_lo
	s_mov_b32 s17, exec_lo
	s_delay_alu instid0(VALU_DEP_1) | instskip(NEXT) | instid1(VALU_DEP_2)
	v_add_co_u32 v11, vcc_lo, s28, v3
	v_add_co_ci_u32_e32 v12, vcc_lo, s29, v4, vcc_lo
	v_add_co_u32 v3, vcc_lo, s30, v3
	v_add_co_ci_u32_e32 v4, vcc_lo, s31, v4, vcc_lo
	global_load_b128 v[11:14], v[11:12], off
	global_load_b128 v[15:18], v[3:4], off
	s_waitcnt vmcnt(0)
	v_dual_add_f32 v3, v11, v15 :: v_dual_add_f32 v4, v12, v16
	s_delay_alu instid0(VALU_DEP_1) | instskip(NEXT) | instid1(VALU_DEP_1)
	v_dual_fmac_f32 v6, v3, v3 :: v_dual_add_f32 v3, v13, v17
	v_fmac_f32_e32 v6, v4, v4
	v_add_f32_e32 v4, v14, v18
	s_delay_alu instid0(VALU_DEP_2) | instskip(NEXT) | instid1(VALU_DEP_1)
	v_fmac_f32_e32 v6, v3, v3
	v_dual_fmac_f32 v6, v4, v4 :: v_dual_add_nc_u32 v3, v1, v7
	s_delay_alu instid0(VALU_DEP_1)
	v_cmpx_gt_u32_e64 s8, v3
	s_cbranch_execz .LBB33_4
; %bb.6:                                ;   in Loop: Header=BB33_5 Depth=1
	v_mov_b32_e32 v4, v2
	s_mov_b32 s23, -1
	s_mov_b32 s22, exec_lo
	s_delay_alu instid0(VALU_DEP_1) | instskip(NEXT) | instid1(VALU_DEP_1)
	v_lshlrev_b64 v[4:5], 4, v[3:4]
	v_add_co_u32 v11, vcc_lo, s28, v4
	s_delay_alu instid0(VALU_DEP_2)
	v_add_co_ci_u32_e32 v12, vcc_lo, s29, v5, vcc_lo
	v_add_co_u32 v4, vcc_lo, s30, v4
	v_add_co_ci_u32_e32 v5, vcc_lo, s31, v5, vcc_lo
	global_load_b128 v[11:14], v[11:12], off
	global_load_b128 v[15:18], v[4:5], off
	s_waitcnt vmcnt(0)
	v_dual_add_f32 v5, v12, v16 :: v_dual_add_f32 v4, v11, v15
	s_delay_alu instid0(VALU_DEP_1) | instskip(SKIP_1) | instid1(VALU_DEP_2)
	v_fmac_f32_e32 v6, v4, v4
	v_add_f32_e32 v4, v13, v17
	v_dual_fmac_f32 v6, v5, v5 :: v_dual_add_f32 v5, v14, v18
	s_delay_alu instid0(VALU_DEP_1) | instskip(SKIP_1) | instid1(VALU_DEP_2)
	v_fmac_f32_e32 v6, v4, v4
	v_add_nc_u32_e32 v4, v9, v1
	v_fmac_f32_e32 v6, v5, v5
	s_delay_alu instid0(VALU_DEP_2)
	v_cmpx_gt_u32_e64 s8, v4
	s_cbranch_execz .LBB33_3
; %bb.7:                                ;   in Loop: Header=BB33_5 Depth=1
	v_mov_b32_e32 v5, v2
	v_add_nc_u32_e32 v1, v8, v1
	s_mov_b32 s24, -1
	s_mov_b32 s23, exec_lo
	s_delay_alu instid0(VALU_DEP_2) | instskip(NEXT) | instid1(VALU_DEP_1)
	v_lshlrev_b64 v[4:5], 4, v[4:5]
	v_add_co_u32 v11, vcc_lo, s28, v4
	s_delay_alu instid0(VALU_DEP_2)
	v_add_co_ci_u32_e32 v12, vcc_lo, s29, v5, vcc_lo
	v_add_co_u32 v4, vcc_lo, s30, v4
	v_add_co_ci_u32_e32 v5, vcc_lo, s31, v5, vcc_lo
	global_load_b128 v[11:14], v[11:12], off
	global_load_b128 v[15:18], v[4:5], off
	s_waitcnt vmcnt(0)
	v_dual_add_f32 v4, v11, v15 :: v_dual_add_f32 v5, v12, v16
	s_delay_alu instid0(VALU_DEP_1) | instskip(SKIP_1) | instid1(VALU_DEP_2)
	v_fmac_f32_e32 v6, v4, v4
	v_add_f32_e32 v4, v13, v17
	v_dual_fmac_f32 v6, v5, v5 :: v_dual_add_f32 v5, v14, v18
	s_delay_alu instid0(VALU_DEP_1) | instskip(NEXT) | instid1(VALU_DEP_1)
	v_fmac_f32_e32 v6, v4, v4
	v_fmac_f32_e32 v6, v5, v5
	v_cmpx_gt_u32_e64 s8, v1
	s_xor_b32 s23, exec_lo, s23
	s_cbranch_execz .LBB33_2
; %bb.8:                                ;   in Loop: Header=BB33_5 Depth=1
	v_lshlrev_b64 v[4:5], 4, v[1:2]
	s_delay_alu instid0(VALU_DEP_1) | instskip(NEXT) | instid1(VALU_DEP_2)
	v_add_co_u32 v11, vcc_lo, s28, v4
	v_add_co_ci_u32_e32 v12, vcc_lo, s29, v5, vcc_lo
	v_add_co_u32 v4, vcc_lo, s30, v4
	v_add_co_ci_u32_e32 v5, vcc_lo, s31, v5, vcc_lo
	global_load_b128 v[11:14], v[11:12], off
	global_load_b128 v[15:18], v[4:5], off
	s_waitcnt vmcnt(0)
	v_dual_add_f32 v1, v11, v15 :: v_dual_add_f32 v4, v12, v16
	s_delay_alu instid0(VALU_DEP_1) | instskip(SKIP_2) | instid1(VALU_DEP_3)
	v_fmac_f32_e32 v6, v1, v1
	v_add3_u32 v1, v10, v7, v3
	v_add_f32_e32 v3, v14, v18
	v_dual_add_f32 v5, v13, v17 :: v_dual_fmac_f32 v6, v4, v4
	s_delay_alu instid0(VALU_DEP_3) | instskip(NEXT) | instid1(VALU_DEP_2)
	v_cmp_le_u32_e32 vcc_lo, s8, v1
	v_fmac_f32_e32 v6, v5, v5
	s_or_not1_b32 s24, vcc_lo, exec_lo
	s_delay_alu instid0(VALU_DEP_1)
	v_fmac_f32_e32 v6, v3, v3
	s_branch .LBB33_2
.LBB33_9:
	s_or_b32 exec_lo, exec_lo, s3
.LBB33_10:
	s_delay_alu instid0(SALU_CYCLE_1) | instskip(SKIP_3) | instid1(VALU_DEP_2)
	s_or_b32 exec_lo, exec_lo, s9
	v_mbcnt_lo_u32_b32 v1, -1, 0
	s_load_b32 s3, s[20:21], 0xc
	v_and_b32_e32 v7, 0x3e0, v0
	v_cmp_ne_u32_e32 vcc_lo, 31, v1
	v_add_nc_u32_e32 v3, 1, v1
	v_add_co_ci_u32_e32 v2, vcc_lo, 0, v1, vcc_lo
	v_cmp_gt_u32_e32 vcc_lo, 30, v1
	s_delay_alu instid0(VALU_DEP_2)
	v_lshlrev_b32_e32 v2, 2, v2
	v_cndmask_b32_e64 v5, 0, 1, vcc_lo
	ds_bpermute_b32 v4, v2, v6
	s_waitcnt lgkmcnt(0)
	s_and_b32 s33, s3, 0xffff
	v_lshlrev_b32_e32 v5, 1, v5
	v_sub_nc_u32_e64 v12, s33, v7 clamp
	s_mov_b32 s3, exec_lo
	s_delay_alu instid0(VALU_DEP_1) | instskip(SKIP_2) | instid1(VALU_DEP_2)
	v_cmp_lt_u32_e32 vcc_lo, v3, v12
	v_add_f32_e32 v7, v6, v4
	v_add_lshl_u32 v4, v5, v1, 2
	v_cndmask_b32_e32 v7, v6, v7, vcc_lo
	v_cmp_gt_u32_e32 vcc_lo, 28, v1
	v_cndmask_b32_e64 v5, 0, 1, vcc_lo
	s_delay_alu instid0(VALU_DEP_1) | instskip(SKIP_2) | instid1(VALU_DEP_1)
	v_lshlrev_b32_e32 v8, 2, v5
	ds_bpermute_b32 v6, v4, v7
	v_add_nc_u32_e32 v5, 2, v1
	v_cmp_lt_u32_e32 vcc_lo, v5, v12
	s_waitcnt lgkmcnt(0)
	v_add_f32_e32 v9, v7, v6
	v_add_lshl_u32 v6, v8, v1, 2
	s_delay_alu instid0(VALU_DEP_2) | instskip(SKIP_3) | instid1(VALU_DEP_1)
	v_cndmask_b32_e32 v9, v7, v9, vcc_lo
	v_cmp_gt_u32_e32 vcc_lo, 24, v1
	ds_bpermute_b32 v8, v6, v9
	v_cndmask_b32_e64 v7, 0, 1, vcc_lo
	v_lshlrev_b32_e32 v10, 3, v7
	v_add_nc_u32_e32 v7, 4, v1
	s_delay_alu instid0(VALU_DEP_1) | instskip(SKIP_3) | instid1(VALU_DEP_2)
	v_cmp_lt_u32_e32 vcc_lo, v7, v12
	s_waitcnt lgkmcnt(0)
	v_add_f32_e32 v11, v9, v8
	v_add_lshl_u32 v8, v10, v1, 2
	v_cndmask_b32_e32 v11, v9, v11, vcc_lo
	v_cmp_gt_u32_e32 vcc_lo, 16, v1
	ds_bpermute_b32 v10, v8, v11
	v_cndmask_b32_e64 v9, 0, 1, vcc_lo
	s_delay_alu instid0(VALU_DEP_1) | instskip(SKIP_1) | instid1(VALU_DEP_1)
	v_lshlrev_b32_e32 v13, 4, v9
	v_add_nc_u32_e32 v9, 8, v1
	v_cmp_lt_u32_e32 vcc_lo, v9, v12
	s_waitcnt lgkmcnt(0)
	v_add_f32_e32 v14, v11, v10
	v_add_lshl_u32 v10, v13, v1, 2
	s_delay_alu instid0(VALU_DEP_2)
	v_cndmask_b32_e32 v13, v11, v14, vcc_lo
	v_add_nc_u32_e32 v11, 16, v1
	ds_bpermute_b32 v14, v10, v13
	v_cmp_lt_u32_e32 vcc_lo, v11, v12
	s_waitcnt lgkmcnt(0)
	v_add_f32_e32 v14, v13, v14
	s_delay_alu instid0(VALU_DEP_1)
	v_cndmask_b32_e32 v12, v13, v14, vcc_lo
	v_cmpx_eq_u32_e32 0, v1
	s_cbranch_execz .LBB33_12
; %bb.11:
	v_lshrrev_b32_e32 v13, 3, v0
	s_delay_alu instid0(VALU_DEP_1)
	v_and_b32_e32 v13, 0x7c, v13
	ds_store_b32 v13, v12 offset:4096
.LBB33_12:
	s_or_b32 exec_lo, exec_lo, s3
	s_delay_alu instid0(SALU_CYCLE_1)
	s_mov_b32 s3, exec_lo
	s_waitcnt lgkmcnt(0)
	s_barrier
	buffer_gl0_inv
	v_cmpx_gt_u32_e32 32, v0
	s_cbranch_execz .LBB33_14
; %bb.13:
	v_lshlrev_b32_e32 v1, 2, v1
	s_add_i32 s9, s33, 31
	s_delay_alu instid0(SALU_CYCLE_1) | instskip(NEXT) | instid1(SALU_CYCLE_1)
	s_lshr_b32 s9, s9, 5
	v_cmp_gt_u32_e32 vcc_lo, s9, v3
	ds_load_b32 v1, v1 offset:4096
	s_waitcnt lgkmcnt(0)
	ds_bpermute_b32 v2, v2, v1
	s_waitcnt lgkmcnt(0)
	v_add_f32_e32 v2, v1, v2
	s_delay_alu instid0(VALU_DEP_1) | instskip(SKIP_4) | instid1(VALU_DEP_1)
	v_cndmask_b32_e32 v1, v1, v2, vcc_lo
	v_cmp_gt_u32_e32 vcc_lo, s9, v5
	ds_bpermute_b32 v2, v4, v1
	s_waitcnt lgkmcnt(0)
	v_add_f32_e32 v2, v1, v2
	v_cndmask_b32_e32 v1, v1, v2, vcc_lo
	v_cmp_gt_u32_e32 vcc_lo, s9, v7
	ds_bpermute_b32 v2, v6, v1
	s_waitcnt lgkmcnt(0)
	v_add_f32_e32 v2, v1, v2
	s_delay_alu instid0(VALU_DEP_1) | instskip(SKIP_4) | instid1(VALU_DEP_1)
	v_cndmask_b32_e32 v1, v1, v2, vcc_lo
	v_cmp_gt_u32_e32 vcc_lo, s9, v9
	ds_bpermute_b32 v2, v8, v1
	s_waitcnt lgkmcnt(0)
	v_add_f32_e32 v2, v1, v2
	v_cndmask_b32_e32 v1, v1, v2, vcc_lo
	v_cmp_gt_u32_e32 vcc_lo, s9, v11
	ds_bpermute_b32 v2, v10, v1
	s_waitcnt lgkmcnt(0)
	v_add_f32_e32 v2, v1, v2
	s_delay_alu instid0(VALU_DEP_1)
	v_cndmask_b32_e32 v12, v1, v2, vcc_lo
.LBB33_14:
	s_or_b32 exec_lo, exec_lo, s3
	s_delay_alu instid0(SALU_CYCLE_1)
	s_mov_b32 s3, exec_lo
	v_cmpx_eq_u32_e32 0, v0
	s_cbranch_execz .LBB33_16
; %bb.15:
	v_cvt_f32_i32_e32 v1, s18
	s_delay_alu instid0(VALU_DEP_1) | instskip(SKIP_1) | instid1(VALU_DEP_2)
	v_div_scale_f32 v2, null, v1, v1, v12
	v_div_scale_f32 v5, vcc_lo, v12, v1, v12
	v_rcp_f32_e32 v3, v2
	s_waitcnt_depctr 0xfff
	v_fma_f32 v4, -v2, v3, 1.0
	s_delay_alu instid0(VALU_DEP_1) | instskip(NEXT) | instid1(VALU_DEP_1)
	v_fmac_f32_e32 v3, v4, v3
	v_mul_f32_e32 v4, v5, v3
	s_delay_alu instid0(VALU_DEP_1) | instskip(NEXT) | instid1(VALU_DEP_1)
	v_fma_f32 v6, -v2, v4, v5
	v_fmac_f32_e32 v4, v6, v3
	s_delay_alu instid0(VALU_DEP_1) | instskip(NEXT) | instid1(VALU_DEP_1)
	v_fma_f32 v2, -v2, v4, v5
	v_div_fmas_f32 v2, v2, v3, v4
	s_delay_alu instid0(VALU_DEP_1) | instskip(NEXT) | instid1(VALU_DEP_1)
	v_div_fixup_f32 v1, v2, v1, v12
	v_add_f32_e32 v1, s16, v1
	s_delay_alu instid0(VALU_DEP_1) | instskip(SKIP_1) | instid1(VALU_DEP_2)
	v_mul_f32_e32 v2, 0x4b800000, v1
	v_cmp_gt_f32_e32 vcc_lo, 0x800000, v1
	v_cndmask_b32_e32 v1, v1, v2, vcc_lo
	s_delay_alu instid0(VALU_DEP_1) | instskip(SKIP_2) | instid1(VALU_DEP_1)
	v_rsq_f32_e32 v1, v1
	s_waitcnt_depctr 0xfff
	v_mul_f32_e32 v2, 0x45800000, v1
	v_dual_cndmask_b32 v1, v1, v2 :: v_dual_mov_b32 v2, 0
	ds_store_b32 v2, v1 offset:4224
.LBB33_16:
	s_or_b32 exec_lo, exec_lo, s3
	s_ashr_i32 s3, s18, 31
	s_waitcnt lgkmcnt(0)
	s_lshr_b32 s3, s3, 26
	s_barrier
	s_add_i32 s3, s18, s3
	buffer_gl0_inv
	s_ashr_i32 s16, s3, 6
	s_ashr_i32 s3, s3, 31
	s_abs_i32 s9, s16
	s_delay_alu instid0(SALU_CYCLE_1) | instskip(SKIP_1) | instid1(VALU_DEP_1)
	v_cvt_f32_u32_e32 v1, s9
	s_sub_i32 s17, 0, s9
	v_rcp_iflag_f32_e32 v1, v1
	s_waitcnt_depctr 0xfff
	v_mul_f32_e32 v1, 0x4f7ffffe, v1
	s_delay_alu instid0(VALU_DEP_1) | instskip(NEXT) | instid1(VALU_DEP_1)
	v_cvt_u32_f32_e32 v1, v1
	v_readfirstlane_b32 s14, v1
	s_delay_alu instid0(VALU_DEP_1) | instskip(NEXT) | instid1(SALU_CYCLE_1)
	s_mul_i32 s17, s17, s14
	s_mul_hi_u32 s17, s14, s17
	s_delay_alu instid0(SALU_CYCLE_1) | instskip(NEXT) | instid1(SALU_CYCLE_1)
	s_add_i32 s14, s14, s17
	s_mul_hi_u32 s14, s33, s14
	s_delay_alu instid0(SALU_CYCLE_1) | instskip(SKIP_2) | instid1(SALU_CYCLE_1)
	s_mul_i32 s17, s14, s9
	s_add_i32 s20, s14, 1
	s_sub_i32 s17, s33, s17
	s_sub_i32 s21, s17, s9
	s_cmp_ge_u32 s17, s9
	s_cselect_b32 s14, s20, s14
	s_cselect_b32 s17, s21, s17
	s_add_i32 s20, s14, 1
	s_cmp_ge_u32 s17, s9
	s_cselect_b32 s9, s20, s14
	s_delay_alu instid0(SALU_CYCLE_1) | instskip(NEXT) | instid1(SALU_CYCLE_1)
	s_xor_b32 s9, s9, s3
	s_sub_i32 s20, s9, s3
	s_delay_alu instid0(SALU_CYCLE_1) | instskip(SKIP_3) | instid1(VALU_DEP_1)
	s_abs_i32 s3, s20
	s_ashr_i32 s21, s20, 31
	v_cvt_f32_u32_e32 v1, s3
	s_sub_i32 s9, 0, s3
	v_rcp_iflag_f32_e32 v1, v1
	s_waitcnt_depctr 0xfff
	v_mul_f32_e32 v1, 0x4f7ffffe, v1
	s_delay_alu instid0(VALU_DEP_1) | instskip(NEXT) | instid1(VALU_DEP_1)
	v_cvt_u32_f32_e32 v1, v1
	v_mul_lo_u32 v2, s9, v1
	s_ashr_i32 s9, s8, 31
	s_delay_alu instid0(VALU_DEP_1) | instskip(NEXT) | instid1(VALU_DEP_1)
	v_mul_hi_u32 v2, v1, v2
	v_add_nc_u32_e32 v1, v1, v2
	s_delay_alu instid0(VALU_DEP_1) | instskip(NEXT) | instid1(VALU_DEP_1)
	v_mul_hi_u32 v1, v0, v1
	v_mul_lo_u32 v2, v1, s3
	v_add_nc_u32_e32 v3, 1, v1
	s_delay_alu instid0(VALU_DEP_2) | instskip(NEXT) | instid1(VALU_DEP_1)
	v_sub_nc_u32_e32 v2, v0, v2
	v_subrev_nc_u32_e32 v4, s3, v2
	v_cmp_le_u32_e32 vcc_lo, s3, v2
	s_delay_alu instid0(VALU_DEP_2) | instskip(NEXT) | instid1(VALU_DEP_1)
	v_dual_cndmask_b32 v1, v1, v3 :: v_dual_cndmask_b32 v2, v2, v4
	v_dual_mov_b32 v4, 0 :: v_dual_add_nc_u32 v3, 1, v1
	s_delay_alu instid0(VALU_DEP_2) | instskip(SKIP_2) | instid1(VALU_DEP_1)
	v_cmp_le_u32_e32 vcc_lo, s3, v2
	ds_load_b32 v28, v4 offset:4224
	v_cndmask_b32_e32 v1, v1, v3, vcc_lo
	v_xor_b32_e32 v1, s21, v1
	s_delay_alu instid0(VALU_DEP_1) | instskip(NEXT) | instid1(VALU_DEP_1)
	v_subrev_nc_u32_e32 v1, s21, v1
	v_ashrrev_i32_e32 v2, 31, v1
	v_mul_lo_u32 v3, v1, s20
	s_delay_alu instid0(VALU_DEP_2) | instskip(NEXT) | instid1(VALU_DEP_2)
	v_lshlrev_b64 v[7:8], 4, v[1:2]
	v_sub_nc_u32_e32 v3, v0, v3
	s_delay_alu instid0(VALU_DEP_2) | instskip(NEXT) | instid1(VALU_DEP_3)
	v_add_co_u32 v5, vcc_lo, v7, 16
	v_add_co_ci_u32_e32 v6, vcc_lo, 0, v8, vcc_lo
	s_delay_alu instid0(VALU_DEP_1) | instskip(SKIP_4) | instid1(VALU_DEP_3)
	v_cmp_gt_i64_e32 vcc_lo, s[8:9], v[5:6]
	v_cndmask_b32_e32 v6, s9, v6, vcc_lo
	v_cndmask_b32_e32 v5, s8, v5, vcc_lo
	v_add_co_u32 v7, vcc_lo, v7, v3
	v_add_co_ci_u32_e32 v8, vcc_lo, 0, v8, vcc_lo
	v_ashrrev_i32_e32 v10, 31, v5
	v_mov_b32_e32 v9, v5
	s_mov_b32 s9, exec_lo
	s_delay_alu instid0(VALU_DEP_1)
	v_cmpx_lt_i64_e64 v[7:8], v[9:10]
	s_cbranch_execz .LBB33_26
; %bb.17:
	v_lshlrev_b64 v[11:12], 8, v[1:2]
	v_lshlrev_b64 v[13:14], 4, v[3:4]
	v_mov_b32_e32 v4, 0
	s_lshl_b64 s[22:23], s[20:21], 6
	s_mul_hi_i32 s14, s20, 3
	s_mul_i32 s17, s20, 3
	s_lshl_b64 s[24:25], s[20:21], 1
	v_add_co_u32 v21, vcc_lo, v11, v13
	v_add_co_ci_u32_e32 v22, vcc_lo, v12, v14, vcc_lo
	v_dual_mov_b32 v12, v8 :: v_dual_mov_b32 v11, v7
	s_lshl_b64 s[26:27], s[20:21], 4
	s_mov_b32 s34, 0
                                        ; implicit-def: $sgpr35
	s_branch .LBB33_21
.LBB33_18:                              ;   in Loop: Header=BB33_21 Depth=1
	s_or_b32 exec_lo, exec_lo, s38
	s_delay_alu instid0(SALU_CYCLE_1)
	s_or_not1_b32 s3, s3, exec_lo
.LBB33_19:                              ;   in Loop: Header=BB33_21 Depth=1
	s_or_b32 exec_lo, exec_lo, s37
	s_delay_alu instid0(SALU_CYCLE_1) | instskip(SKIP_1) | instid1(SALU_CYCLE_1)
	s_and_not1_b32 s35, s35, exec_lo
	s_and_b32 s3, s3, exec_lo
	s_or_b32 s35, s35, s3
.LBB33_20:                              ;   in Loop: Header=BB33_21 Depth=1
	s_or_b32 exec_lo, exec_lo, s36
	s_delay_alu instid0(SALU_CYCLE_1) | instskip(NEXT) | instid1(SALU_CYCLE_1)
	s_and_b32 s3, exec_lo, s35
	s_or_b32 s34, s3, s34
	s_delay_alu instid0(SALU_CYCLE_1)
	s_and_not1_b32 exec_lo, exec_lo, s34
	s_cbranch_execz .LBB33_25
.LBB33_21:                              ; =>This Inner Loop Header: Depth=1
	v_add_co_u32 v15, vcc_lo, s28, v21
	v_add_co_ci_u32_e32 v16, vcc_lo, s29, v22, vcc_lo
	v_add_co_u32 v19, vcc_lo, s30, v21
	v_add_co_ci_u32_e32 v20, vcc_lo, s31, v22, vcc_lo
	v_add_co_u32 v17, vcc_lo, s10, v21
	global_load_b128 v[23:26], v[15:16], off
	global_load_b128 v[29:32], v[19:20], off
	v_add_co_ci_u32_e32 v18, vcc_lo, s11, v22, vcc_lo
	s_or_b32 s35, s35, exec_lo
	s_mov_b32 s36, exec_lo
	global_load_b128 v[33:36], v[17:18], off
	s_waitcnt vmcnt(1)
	v_dual_add_f32 v13, v23, v29 :: v_dual_add_f32 v14, v24, v30
	v_dual_add_f32 v23, v25, v31 :: v_dual_add_f32 v24, v26, v32
	s_waitcnt lgkmcnt(0)
	s_delay_alu instid0(VALU_DEP_2) | instskip(NEXT) | instid1(VALU_DEP_3)
	v_mul_f32_e32 v14, v28, v14
	v_mul_f32_e32 v13, v28, v13
	s_delay_alu instid0(VALU_DEP_3) | instskip(SKIP_2) | instid1(VALU_DEP_3)
	v_mul_f32_e32 v23, v28, v23
	v_mul_f32_e32 v24, v28, v24
	s_waitcnt vmcnt(0)
	v_dual_mul_f32 v26, v34, v14 :: v_dual_mul_f32 v25, v33, v13
	s_delay_alu instid0(VALU_DEP_2) | instskip(SKIP_1) | instid1(VALU_DEP_3)
	v_dual_mul_f32 v23, v35, v23 :: v_dual_mul_f32 v24, v36, v24
	v_add_co_u32 v13, vcc_lo, v11, s20
	v_max3_f32 v4, v4, |v25|, |v26|
	v_add_co_ci_u32_e32 v14, vcc_lo, s21, v12, vcc_lo
	s_delay_alu instid0(VALU_DEP_2) | instskip(NEXT) | instid1(VALU_DEP_2)
	v_max3_f32 v4, v4, |v23|, |v24|
	v_cmpx_lt_i64_e64 v[13:14], v[9:10]
	s_cbranch_execz .LBB33_20
; %bb.22:                               ;   in Loop: Header=BB33_21 Depth=1
	v_add_co_u32 v15, vcc_lo, v15, s26
	v_add_co_ci_u32_e32 v16, vcc_lo, s27, v16, vcc_lo
	v_add_co_u32 v19, vcc_lo, v19, s26
	v_add_co_ci_u32_e32 v20, vcc_lo, s27, v20, vcc_lo
	v_add_co_u32 v17, vcc_lo, v17, s26
	global_load_b128 v[23:26], v[15:16], off
	global_load_b128 v[29:32], v[19:20], off
	v_add_co_ci_u32_e32 v18, vcc_lo, s27, v18, vcc_lo
	s_mov_b32 s3, -1
	s_mov_b32 s37, exec_lo
	global_load_b128 v[33:36], v[17:18], off
	s_waitcnt vmcnt(1)
	v_dual_add_f32 v23, v23, v29 :: v_dual_add_f32 v24, v24, v30
	v_dual_add_f32 v25, v25, v31 :: v_dual_add_f32 v26, v26, v32
	s_delay_alu instid0(VALU_DEP_2) | instskip(NEXT) | instid1(VALU_DEP_3)
	v_mul_f32_e32 v23, v28, v23
	v_mul_f32_e32 v24, v28, v24
	s_delay_alu instid0(VALU_DEP_3) | instskip(SKIP_1) | instid1(VALU_DEP_3)
	v_mul_f32_e32 v25, v28, v25
	s_waitcnt vmcnt(0)
	v_dual_mul_f32 v27, v33, v23 :: v_dual_mul_f32 v26, v28, v26
	s_delay_alu instid0(VALU_DEP_3) | instskip(NEXT) | instid1(VALU_DEP_3)
	v_mul_f32_e32 v29, v34, v24
	v_mul_f32_e32 v25, v35, v25
	v_add_co_u32 v23, vcc_lo, s24, v11
	s_delay_alu instid0(VALU_DEP_4) | instskip(NEXT) | instid1(VALU_DEP_4)
	v_mul_f32_e32 v26, v36, v26
	v_max3_f32 v4, v4, |v27|, |v29|
	v_add_co_ci_u32_e32 v24, vcc_lo, s25, v12, vcc_lo
	s_delay_alu instid0(VALU_DEP_2) | instskip(NEXT) | instid1(VALU_DEP_2)
	v_max3_f32 v4, v4, |v25|, |v26|
	v_cmpx_lt_i64_e64 v[23:24], v[9:10]
	s_cbranch_execz .LBB33_19
; %bb.23:                               ;   in Loop: Header=BB33_21 Depth=1
	v_add_co_u32 v15, vcc_lo, v15, s26
	v_add_co_ci_u32_e32 v16, vcc_lo, s27, v16, vcc_lo
	v_add_co_u32 v19, vcc_lo, v19, s26
	v_add_co_ci_u32_e32 v20, vcc_lo, s27, v20, vcc_lo
	v_add_co_u32 v17, vcc_lo, v17, s26
	global_load_b128 v[23:26], v[15:16], off
	global_load_b128 v[29:32], v[19:20], off
	v_add_co_ci_u32_e32 v18, vcc_lo, s27, v18, vcc_lo
	v_add_co_u32 v11, vcc_lo, s17, v11
	v_add_co_ci_u32_e32 v12, vcc_lo, s14, v12, vcc_lo
	global_load_b128 v[33:36], v[17:18], off
	v_cmp_lt_i64_e32 vcc_lo, v[11:12], v[9:10]
                                        ; implicit-def: $vgpr11_vgpr12
	s_waitcnt vmcnt(1)
	v_dual_add_f32 v23, v23, v29 :: v_dual_add_f32 v24, v24, v30
	v_dual_add_f32 v25, v25, v31 :: v_dual_add_f32 v26, v26, v32
	s_delay_alu instid0(VALU_DEP_2) | instskip(NEXT) | instid1(VALU_DEP_3)
	v_mul_f32_e32 v24, v28, v24
	v_mul_f32_e32 v23, v28, v23
	s_delay_alu instid0(VALU_DEP_3) | instskip(NEXT) | instid1(VALU_DEP_4)
	v_mul_f32_e32 v25, v28, v25
	v_mul_f32_e32 v26, v28, v26
	s_waitcnt vmcnt(0)
	s_delay_alu instid0(VALU_DEP_3) | instskip(NEXT) | instid1(VALU_DEP_3)
	v_dual_mul_f32 v24, v34, v24 :: v_dual_mul_f32 v23, v33, v23
	v_mul_f32_e32 v25, v35, v25
	s_delay_alu instid0(VALU_DEP_2) | instskip(SKIP_1) | instid1(VALU_DEP_1)
	v_max3_f32 v4, v4, |v23|, |v24|
	v_mul_f32_e32 v23, v36, v26
	v_max3_f32 v4, v4, |v25|, |v23|
	s_and_saveexec_b32 s38, vcc_lo
	s_delay_alu instid0(SALU_CYCLE_1)
	s_xor_b32 s38, exec_lo, s38
	s_cbranch_execz .LBB33_18
; %bb.24:                               ;   in Loop: Header=BB33_21 Depth=1
	v_add_co_u32 v11, vcc_lo, v15, s26
	v_add_co_ci_u32_e32 v12, vcc_lo, s27, v16, vcc_lo
	v_add_co_u32 v15, vcc_lo, v19, s26
	v_add_co_ci_u32_e32 v16, vcc_lo, s27, v20, vcc_lo
	s_add_u32 s3, s20, s20
	global_load_b128 v[23:26], v[11:12], off
	global_load_b128 v[29:32], v[15:16], off
	v_add_co_u32 v11, vcc_lo, v17, s26
	v_add_co_ci_u32_e32 v12, vcc_lo, s27, v18, vcc_lo
	s_addc_u32 s39, s21, s21
	s_add_u32 s3, s3, s20
	s_addc_u32 s39, s39, s21
	global_load_b128 v[15:18], v[11:12], off
	s_waitcnt vmcnt(1)
	v_dual_add_f32 v11, v23, v29 :: v_dual_add_f32 v12, v24, v30
	v_dual_add_f32 v19, v25, v31 :: v_dual_add_f32 v20, v26, v32
	s_delay_alu instid0(VALU_DEP_1) | instskip(NEXT) | instid1(VALU_DEP_2)
	v_mul_f32_e32 v19, v28, v19
	v_mul_f32_e32 v20, v28, v20
	s_delay_alu instid0(VALU_DEP_4) | instskip(SKIP_1) | instid1(VALU_DEP_1)
	v_mul_f32_e32 v11, v28, v11
	s_waitcnt vmcnt(0)
	v_dual_mul_f32 v12, v28, v12 :: v_dual_mul_f32 v15, v15, v11
	s_delay_alu instid0(VALU_DEP_1) | instskip(SKIP_3) | instid1(VALU_DEP_4)
	v_mul_f32_e32 v16, v16, v12
	v_add_co_u32 v11, vcc_lo, s3, v13
	v_add_co_ci_u32_e32 v12, vcc_lo, s39, v14, vcc_lo
	v_dual_mul_f32 v13, v17, v19 :: v_dual_mul_f32 v14, v18, v20
	v_max3_f32 v4, v4, |v15|, |v16|
	s_delay_alu instid0(VALU_DEP_3) | instskip(SKIP_1) | instid1(VALU_DEP_1)
	v_cmp_ge_i64_e32 vcc_lo, v[11:12], v[9:10]
	v_add_co_u32 v21, s3, v21, s22
	v_add_co_ci_u32_e64 v22, s3, s23, v22, s3
	s_delay_alu instid0(VALU_DEP_4)
	v_max3_f32 v4, v4, |v13|, |v14|
	s_or_not1_b32 s3, vcc_lo, exec_lo
	s_branch .LBB33_18
.LBB33_25:
	s_or_b32 exec_lo, exec_lo, s34
.LBB33_26:
	s_delay_alu instid0(SALU_CYCLE_1)
	s_or_b32 exec_lo, exec_lo, s9
	s_lshr_b32 s9, s33, 5
	v_lshlrev_b32_e32 v29, 2, v0
	v_cvt_f32_u32_e32 v9, s9
	s_sub_i32 s14, 0, s9
	s_add_i32 s17, s16, s9
	s_delay_alu instid0(SALU_CYCLE_1) | instskip(NEXT) | instid1(VALU_DEP_1)
	s_add_i32 s22, s17, -1
	v_rcp_iflag_f32_e32 v9, v9
	s_abs_i32 s23, s22
	s_ashr_i32 s17, s16, 31
	s_ashr_i32 s22, s22, 31
	ds_store_b32 v29, v4
	s_waitcnt lgkmcnt(0)
	s_barrier
	buffer_gl0_inv
	v_mul_f32_e32 v9, 0x4f7ffffe, v9
	s_delay_alu instid0(VALU_DEP_1) | instskip(NEXT) | instid1(VALU_DEP_1)
	v_cvt_u32_f32_e32 v9, v9
	v_readfirstlane_b32 s3, v9
	s_delay_alu instid0(VALU_DEP_1) | instskip(NEXT) | instid1(SALU_CYCLE_1)
	s_mul_i32 s14, s14, s3
	s_mul_hi_u32 s14, s3, s14
	s_delay_alu instid0(SALU_CYCLE_1) | instskip(NEXT) | instid1(SALU_CYCLE_1)
	s_add_i32 s3, s3, s14
	s_mul_hi_u32 s3, s23, s3
	s_delay_alu instid0(SALU_CYCLE_1) | instskip(NEXT) | instid1(SALU_CYCLE_1)
	s_mul_i32 s14, s3, s9
	s_sub_i32 s14, s23, s14
	s_add_i32 s23, s3, 1
	s_sub_i32 s24, s14, s9
	s_cmp_ge_u32 s14, s9
	s_cselect_b32 s3, s23, s3
	s_cselect_b32 s14, s24, s14
	s_add_i32 s23, s3, 1
	s_cmp_ge_u32 s14, s9
	s_cselect_b32 s3, s23, s3
	s_delay_alu instid0(SALU_CYCLE_1) | instskip(NEXT) | instid1(SALU_CYCLE_1)
	s_xor_b32 s3, s3, s22
	s_sub_i32 s22, s3, s22
	s_delay_alu instid0(SALU_CYCLE_1) | instskip(NEXT) | instid1(SALU_CYCLE_1)
	s_ashr_i32 s23, s22, 31
	v_cmp_lt_i64_e64 s3, s[22:23], 1
	s_delay_alu instid0(VALU_DEP_1)
	s_and_b32 vcc_lo, exec_lo, s3
	s_cbranch_vccnz .LBB33_46
; %bb.27:
	v_lshrrev_b32_e32 v9, 5, v0
	v_and_b32_e32 v4, 31, v0
	s_mov_b64 s[24:25], 0
	s_mov_b64 s[26:27], src_shared_base
	s_delay_alu instid0(VALU_DEP_2) | instskip(NEXT) | instid1(VALU_DEP_2)
	v_mul_lo_u32 v19, s20, v9
	v_add_co_u32 v11, s3, v4, 16
	s_delay_alu instid0(VALU_DEP_1) | instskip(SKIP_1) | instid1(VALU_DEP_1)
	v_add_co_ci_u32_e64 v12, null, 0, 0, s3
	v_add_co_u32 v13, s3, v4, 8
	v_add_co_ci_u32_e64 v14, null, 0, 0, s3
	v_add_co_u32 v15, s3, v4, 4
	v_dual_mov_b32 v10, 0 :: v_dual_lshlrev_b32 v21, 2, v19
	v_lshlrev_b32_e32 v22, 2, v4
	v_add_co_ci_u32_e64 v16, null, 0, 0, s3
	v_add_co_u32 v17, s3, v4, 2
	s_delay_alu instid0(VALU_DEP_1) | instskip(SKIP_1) | instid1(VALU_DEP_1)
	v_add_co_ci_u32_e64 v18, null, 0, 0, s3
	v_add_co_u32 v19, s3, v4, 1
	v_add_co_ci_u32_e64 v20, null, 0, 0, s3
	v_add3_u32 v30, v21, v22, 0x80
	s_mul_i32 s3, s20, s9
	s_delay_alu instid0(SALU_CYCLE_1)
	s_lshl_b32 s14, s3, 2
	s_branch .LBB33_30
.LBB33_28:                              ;   in Loop: Header=BB33_30 Depth=1
	s_or_b32 exec_lo, exec_lo, s3
	v_mov_b32_e32 v22, s27
	flat_load_b32 v21, v[21:22] glc dlc
	s_waitcnt vmcnt(0)
.LBB33_29:                              ;   in Loop: Header=BB33_30 Depth=1
	s_or_b32 exec_lo, exec_lo, s26
	s_add_u32 s24, s24, 1
	v_add_nc_u32_e32 v30, s14, v30
	s_addc_u32 s25, s25, 0
	s_delay_alu instid0(SALU_CYCLE_1)
	s_cmp_eq_u64 s[24:25], s[22:23]
	s_cbranch_scc1 .LBB33_46
.LBB33_30:                              ; =>This Loop Header: Depth=1
                                        ;     Child Loop BB33_33 Depth 2
	s_waitcnt lgkmcnt(0)
	v_mad_u64_u32 v[21:22], null, s24, s9, v[9:10]
	s_mov_b32 s26, exec_lo
	s_delay_alu instid0(VALU_DEP_1) | instskip(NEXT) | instid1(VALU_DEP_1)
	v_mad_u64_u32 v[23:24], null, s25, s9, v[22:23]
	v_mov_b32_e32 v22, v23
	s_delay_alu instid0(VALU_DEP_1)
	v_cmpx_gt_i64_e64 s[16:17], v[21:22]
	s_cbranch_execz .LBB33_29
; %bb.31:                               ;   in Loop: Header=BB33_30 Depth=1
	v_mul_lo_u32 v24, v22, s20
	v_mul_lo_u32 v25, v21, s21
	v_mad_u64_u32 v[22:23], null, v21, s20, 0
	s_delay_alu instid0(VALU_DEP_1) | instskip(NEXT) | instid1(VALU_DEP_2)
	v_add3_u32 v23, v23, v25, v24
	v_add_co_u32 v24, vcc_lo, v22, s20
	v_add_co_u32 v31, s3, v22, v4
	s_delay_alu instid0(VALU_DEP_3) | instskip(SKIP_2) | instid1(VALU_DEP_2)
	v_add_co_ci_u32_e32 v25, vcc_lo, s21, v23, vcc_lo
	v_add_co_ci_u32_e64 v21, s3, 0, v23, s3
	s_mov_b32 s3, exec_lo
	v_cmp_gt_i64_e32 vcc_lo, s[18:19], v[24:25]
	v_cndmask_b32_e32 v25, s19, v25, vcc_lo
	v_cndmask_b32_e32 v24, s18, v24, vcc_lo
	v_add_co_u32 v26, vcc_lo, v31, 32
	v_add_co_ci_u32_e32 v27, vcc_lo, 0, v21, vcc_lo
	v_lshlrev_b32_e32 v21, 2, v31
	s_delay_alu instid0(VALU_DEP_2)
	v_cmpx_lt_i64_e64 v[26:27], v[24:25]
	s_cbranch_execz .LBB33_34
; %bb.32:                               ;   in Loop: Header=BB33_30 Depth=1
	ds_load_b32 v33, v21
	v_mov_b32_e32 v32, v30
	s_mov_b32 s34, 0
.LBB33_33:                              ;   Parent Loop BB33_30 Depth=1
                                        ; =>  This Inner Loop Header: Depth=2
	ds_load_b32 v34, v32
	v_add_co_u32 v26, vcc_lo, v26, 32
	v_add_co_ci_u32_e32 v27, vcc_lo, 0, v27, vcc_lo
	s_waitcnt lgkmcnt(1)
	v_dual_max_f32 v33, v33, v33 :: v_dual_add_nc_u32 v32, 0x80, v32
	s_delay_alu instid0(VALU_DEP_2) | instskip(SKIP_3) | instid1(VALU_DEP_1)
	v_cmp_ge_i64_e32 vcc_lo, v[26:27], v[24:25]
	s_or_b32 s34, vcc_lo, s34
	s_waitcnt lgkmcnt(0)
	v_max_f32_e32 v34, v34, v34
	v_max_f32_e32 v33, v33, v34
	ds_store_b32 v21, v33
	s_and_not1_b32 exec_lo, exec_lo, s34
	s_cbranch_execnz .LBB33_33
.LBB33_34:                              ;   in Loop: Header=BB33_30 Depth=1
	s_or_b32 exec_lo, exec_lo, s3
	v_sub_co_u32 v22, vcc_lo, v24, v22
	v_sub_co_ci_u32_e32 v23, vcc_lo, v25, v23, vcc_lo
	s_mov_b32 s3, exec_lo
	s_delay_alu instid0(VALU_DEP_1) | instskip(SKIP_1) | instid1(VALU_DEP_1)
	v_cmp_gt_i64_e32 vcc_lo, 32, v[22:23]
	v_dual_cndmask_b32 v24, 0, v23 :: v_dual_cndmask_b32 v23, 32, v22
	v_cmpx_lt_i64_e64 v[11:12], v[23:24]
	s_cbranch_execz .LBB33_36
; %bb.35:                               ;   in Loop: Header=BB33_30 Depth=1
	v_dual_mov_b32 v22, s27 :: v_dual_add_nc_u32 v25, 64, v21
	v_mov_b32_e32 v26, s27
	flat_load_b32 v27, v[21:22] glc dlc
	s_waitcnt vmcnt(0)
	flat_load_b32 v25, v[25:26] glc dlc
	s_waitcnt vmcnt(0) lgkmcnt(0)
	v_dual_max_f32 v26, v27, v27 :: v_dual_max_f32 v25, v25, v25
	s_delay_alu instid0(VALU_DEP_1)
	v_max_f32_e32 v25, v26, v25
	flat_store_b32 v[21:22], v25 dlc
	s_waitcnt_vscnt null, 0x0
.LBB33_36:                              ;   in Loop: Header=BB33_30 Depth=1
	s_or_b32 exec_lo, exec_lo, s3
	s_delay_alu instid0(SALU_CYCLE_1)
	s_mov_b32 s3, exec_lo
	v_cmpx_lt_i64_e64 v[13:14], v[23:24]
	s_cbranch_execz .LBB33_38
; %bb.37:                               ;   in Loop: Header=BB33_30 Depth=1
	v_dual_mov_b32 v22, s27 :: v_dual_add_nc_u32 v25, 32, v21
	v_mov_b32_e32 v26, s27
	flat_load_b32 v27, v[21:22] glc dlc
	s_waitcnt vmcnt(0)
	flat_load_b32 v25, v[25:26] glc dlc
	s_waitcnt vmcnt(0) lgkmcnt(0)
	v_dual_max_f32 v26, v27, v27 :: v_dual_max_f32 v25, v25, v25
	s_delay_alu instid0(VALU_DEP_1)
	v_max_f32_e32 v25, v26, v25
	flat_store_b32 v[21:22], v25 dlc
	s_waitcnt_vscnt null, 0x0
.LBB33_38:                              ;   in Loop: Header=BB33_30 Depth=1
	s_or_b32 exec_lo, exec_lo, s3
	s_delay_alu instid0(SALU_CYCLE_1)
	s_mov_b32 s3, exec_lo
	v_cmpx_ge_i64_e64 v[15:16], v[23:24]
	s_xor_b32 s3, exec_lo, s3
; %bb.39:                               ;   in Loop: Header=BB33_30 Depth=1
                                        ; implicit-def: $vgpr21
; %bb.40:                               ;   in Loop: Header=BB33_30 Depth=1
	s_delay_alu instid0(SALU_CYCLE_1)
	s_and_not1_saveexec_b32 s3, s3
	s_cbranch_execz .LBB33_42
; %bb.41:                               ;   in Loop: Header=BB33_30 Depth=1
	v_dual_mov_b32 v22, s27 :: v_dual_add_nc_u32 v25, 16, v21
	v_mov_b32_e32 v26, s27
	flat_load_b32 v27, v[21:22] glc dlc
	s_waitcnt vmcnt(0)
	flat_load_b32 v25, v[25:26] glc dlc
	s_waitcnt vmcnt(0) lgkmcnt(0)
	v_dual_max_f32 v26, v27, v27 :: v_dual_max_f32 v25, v25, v25
	s_delay_alu instid0(VALU_DEP_1)
	v_max_f32_e32 v25, v26, v25
	flat_store_b32 v[21:22], v25 dlc
	s_waitcnt_vscnt null, 0x0
.LBB33_42:                              ;   in Loop: Header=BB33_30 Depth=1
	s_or_b32 exec_lo, exec_lo, s3
	v_lshlrev_b32_e32 v21, 2, v31
	s_mov_b32 s3, exec_lo
	v_cmpx_lt_i64_e64 v[17:18], v[23:24]
	s_cbranch_execz .LBB33_44
; %bb.43:                               ;   in Loop: Header=BB33_30 Depth=1
	s_delay_alu instid0(VALU_DEP_2)
	v_dual_mov_b32 v22, s27 :: v_dual_add_nc_u32 v25, 8, v21
	v_mov_b32_e32 v26, s27
	flat_load_b32 v27, v[21:22] glc dlc
	s_waitcnt vmcnt(0)
	flat_load_b32 v25, v[25:26] glc dlc
	s_waitcnt vmcnt(0) lgkmcnt(0)
	v_dual_max_f32 v26, v27, v27 :: v_dual_max_f32 v25, v25, v25
	s_delay_alu instid0(VALU_DEP_1)
	v_max_f32_e32 v25, v26, v25
	flat_store_b32 v[21:22], v25 dlc
	s_waitcnt_vscnt null, 0x0
.LBB33_44:                              ;   in Loop: Header=BB33_30 Depth=1
	s_or_b32 exec_lo, exec_lo, s3
	s_delay_alu instid0(SALU_CYCLE_1)
	s_mov_b32 s3, exec_lo
	v_cmpx_lt_i64_e64 v[19:20], v[23:24]
	s_cbranch_execz .LBB33_28
; %bb.45:                               ;   in Loop: Header=BB33_30 Depth=1
	v_dual_mov_b32 v22, s27 :: v_dual_add_nc_u32 v23, 4, v21
	v_mov_b32_e32 v24, s27
	flat_load_b32 v25, v[21:22] glc dlc
	s_waitcnt vmcnt(0)
	flat_load_b32 v23, v[23:24] glc dlc
	s_waitcnt vmcnt(0) lgkmcnt(0)
	v_dual_max_f32 v24, v25, v25 :: v_dual_max_f32 v23, v23, v23
	s_delay_alu instid0(VALU_DEP_1)
	v_max_f32_e32 v23, v24, v23
	flat_store_b32 v[21:22], v23 dlc
	s_waitcnt_vscnt null, 0x0
	s_branch .LBB33_28
.LBB33_46:
	v_cmp_lt_i64_e32 vcc_lo, v[7:8], v[5:6]
	v_cmp_eq_u32_e64 s3, 0, v3
	s_mul_i32 s9, s17, s15
	s_mul_hi_u32 s17, s16, s15
	s_mul_i32 s14, s16, s15
	s_waitcnt lgkmcnt(0)
	s_and_b32 s18, s3, vcc_lo
	s_barrier
	buffer_gl0_inv
	s_and_saveexec_b32 s3, s18
	s_cbranch_execz .LBB33_50
; %bb.47:
	s_load_b64 s[0:1], s[0:1], 0x20
	ds_load_b32 v3, v29
	s_waitcnt lgkmcnt(0)
	s_cmp_eq_u64 s[0:1], 0
	s_cbranch_scc1 .LBB33_49
; %bb.48:
	s_load_b32 s0, s[0:1], 0x0
	v_max_f32_e32 v3, v3, v3
	s_waitcnt lgkmcnt(0)
	v_max_f32_e64 v4, s0, s0
	s_delay_alu instid0(VALU_DEP_1)
	v_min_f32_e32 v3, v3, v4
.LBB33_49:
	s_delay_alu instid0(VALU_DEP_1) | instskip(SKIP_2) | instid1(VALU_DEP_2)
	v_div_scale_f32 v4, null, 0x43e00000, 0x43e00000, v3
	v_div_scale_f32 v7, vcc_lo, v3, 0x43e00000, v3
	s_add_i32 s15, s17, s9
	v_rcp_f32_e32 v5, v4
	v_lshlrev_b64 v[1:2], 2, v[1:2]
	s_lshl_b64 s[0:1], s[14:15], 2
	s_delay_alu instid0(SALU_CYCLE_1) | instskip(SKIP_3) | instid1(VALU_DEP_1)
	s_add_u32 s0, s6, s0
	s_addc_u32 s1, s7, s1
	s_waitcnt_depctr 0xfff
	v_fma_f32 v6, -v4, v5, 1.0
	v_fmac_f32_e32 v5, v6, v5
	s_delay_alu instid0(VALU_DEP_1) | instskip(NEXT) | instid1(VALU_DEP_1)
	v_mul_f32_e32 v6, v7, v5
	v_fma_f32 v8, -v4, v6, v7
	s_delay_alu instid0(VALU_DEP_1) | instskip(NEXT) | instid1(VALU_DEP_1)
	v_fmac_f32_e32 v6, v8, v5
	v_fma_f32 v4, -v4, v6, v7
	s_delay_alu instid0(VALU_DEP_1) | instskip(SKIP_2) | instid1(VALU_DEP_3)
	v_div_fmas_f32 v4, v4, v5, v6
	v_add_co_u32 v1, vcc_lo, s0, v1
	v_add_co_ci_u32_e32 v2, vcc_lo, s1, v2, vcc_lo
	v_div_fixup_f32 v3, v4, 0x43e00000, v3
	s_delay_alu instid0(VALU_DEP_1)
	v_max_f32_e32 v3, 0x36924925, v3
	global_store_b32 v[1:2], v3, off
.LBB33_50:
	s_or_b32 exec_lo, exec_lo, s3
	s_waitcnt_vscnt null, 0x0
	s_barrier
	buffer_gl0_inv
	s_and_saveexec_b32 s0, s2
	s_cbranch_execz .LBB33_155
; %bb.51:
	s_add_u32 s2, s4, s12
	s_addc_u32 s3, s5, s13
	s_add_i32 s15, s17, s9
	v_mov_b32_e32 v1, 0
	s_lshl_b64 s[0:1], s[14:15], 2
	s_mul_i32 s4, s33, 3
	s_add_u32 s0, s6, s0
	s_addc_u32 s1, s7, s1
	s_lshl_b32 s5, s33, 1
	s_mov_b32 s6, 0
	s_mov_b32 s7, 0x43e00000
	s_add_i32 s9, s33, s33
	s_branch .LBB33_57
.LBB33_52:                              ;   in Loop: Header=BB33_57 Depth=1
	s_or_b32 exec_lo, exec_lo, s16
.LBB33_53:                              ;   in Loop: Header=BB33_57 Depth=1
	s_delay_alu instid0(SALU_CYCLE_1)
	s_or_b32 exec_lo, exec_lo, s15
	v_lshrrev_b32_e32 v7, 24, v7
	v_lshrrev_b32_e32 v3, 24, v3
	;; [unrolled: 1-line block ×3, first 2 shown]
	v_lshlrev_b32_e32 v4, 24, v4
	v_and_b32_e32 v5, 0x80000000, v5
	v_and_b32_e32 v7, 0x80, v7
	;; [unrolled: 1-line block ×3, first 2 shown]
	s_delay_alu instid0(VALU_DEP_2) | instskip(NEXT) | instid1(VALU_DEP_2)
	v_and_or_b32 v6, 0xff, v6, v7
	v_and_or_b32 v9, 0xff, v2, v3
	v_lshlrev_b64 v[2:3], 2, v[0:1]
	v_and_b32_e32 v7, 0xff, v11
	v_add3_u32 v0, s9, s33, v10
	v_lshlrev_b32_e32 v6, 16, v6
	s_delay_alu instid0(VALU_DEP_3) | instskip(SKIP_1) | instid1(VALU_DEP_3)
	v_and_or_b32 v7, 0x80, v8, v7
	v_lshlrev_b32_e32 v8, 8, v9
	v_or3_b32 v4, v5, v4, v6
	v_add_co_u32 v2, vcc_lo, s2, v2
	v_add_co_ci_u32_e32 v3, vcc_lo, s3, v3, vcc_lo
	v_cmp_le_u32_e32 vcc_lo, s8, v0
	s_delay_alu instid0(VALU_DEP_4)
	v_or3_b32 v4, v4, v8, v7
	s_or_not1_b32 s15, vcc_lo, exec_lo
	global_store_b32 v[2:3], v4, off
.LBB33_54:                              ;   in Loop: Header=BB33_57 Depth=1
	s_or_b32 exec_lo, exec_lo, s14
	s_delay_alu instid0(SALU_CYCLE_1)
	s_or_not1_b32 s14, s15, exec_lo
.LBB33_55:                              ;   in Loop: Header=BB33_57 Depth=1
	s_or_b32 exec_lo, exec_lo, s13
	s_delay_alu instid0(SALU_CYCLE_1)
	s_or_not1_b32 s13, s14, exec_lo
.LBB33_56:                              ;   in Loop: Header=BB33_57 Depth=1
	s_or_b32 exec_lo, exec_lo, s12
	s_delay_alu instid0(SALU_CYCLE_1) | instskip(NEXT) | instid1(SALU_CYCLE_1)
	s_and_b32 s12, exec_lo, s13
	s_or_b32 s6, s12, s6
	s_delay_alu instid0(SALU_CYCLE_1)
	s_and_not1_b32 exec_lo, exec_lo, s6
	s_cbranch_execz .LBB33_155
.LBB33_57:                              ; =>This Inner Loop Header: Depth=1
	v_lshlrev_b64 v[2:3], 4, v[0:1]
	s_mov_b32 s12, exec_lo
	s_delay_alu instid0(VALU_DEP_1) | instskip(NEXT) | instid1(VALU_DEP_2)
	v_add_co_u32 v4, vcc_lo, s28, v2
	v_add_co_ci_u32_e32 v5, vcc_lo, s29, v3, vcc_lo
	v_add_co_u32 v17, vcc_lo, s30, v2
	v_add_co_ci_u32_e32 v18, vcc_lo, s31, v3, vcc_lo
	v_add_co_u32 v2, vcc_lo, s10, v2
	global_load_b128 v[6:9], v[4:5], off
	global_load_b128 v[13:16], v[17:18], off
	v_lshrrev_b32_e32 v4, 2, v0
	v_add_co_ci_u32_e32 v3, vcc_lo, s11, v3, vcc_lo
	s_delay_alu instid0(VALU_DEP_2)
	v_and_b32_e32 v10, 0xffffffc, v4
	global_load_b128 v[2:5], v[2:3], off
	global_load_b32 v12, v10, s[0:1]
	s_waitcnt vmcnt(2)
	v_add_f32_e32 v6, v6, v13
	v_dual_add_f32 v8, v8, v15 :: v_dual_add_f32 v9, v9, v16
	v_add_f32_e32 v7, v7, v14
	s_delay_alu instid0(VALU_DEP_3) | instskip(SKIP_1) | instid1(VALU_DEP_1)
	v_mul_f32_e32 v10, v28, v6
	s_waitcnt vmcnt(1)
	v_mul_f32_e32 v2, v2, v10
	s_waitcnt vmcnt(0)
	s_delay_alu instid0(VALU_DEP_1) | instskip(SKIP_1) | instid1(VALU_DEP_2)
	v_div_scale_f32 v10, null, v12, v12, v2
	v_div_scale_f32 v19, vcc_lo, v2, v12, v2
	v_rcp_f32_e32 v11, v10
	s_waitcnt_depctr 0xfff
	v_fma_f32 v13, -v10, v11, 1.0
	s_delay_alu instid0(VALU_DEP_1) | instskip(NEXT) | instid1(VALU_DEP_1)
	v_fmac_f32_e32 v11, v13, v11
	v_mul_f32_e32 v13, v19, v11
	global_store_b128 v[17:18], v[6:9], off
	v_fma_f32 v20, -v10, v13, v19
	s_delay_alu instid0(VALU_DEP_1) | instskip(NEXT) | instid1(VALU_DEP_1)
	v_fmac_f32_e32 v13, v20, v11
	v_fma_f32 v10, -v10, v13, v19
	s_delay_alu instid0(VALU_DEP_1) | instskip(NEXT) | instid1(VALU_DEP_1)
	v_div_fmas_f32 v10, v10, v11, v13
	v_div_fixup_f32 v2, v10, v12, v2
	v_mov_b32_e32 v10, 0x7f
	s_delay_alu instid0(VALU_DEP_2) | instskip(SKIP_1) | instid1(VALU_DEP_2)
	v_minmax_f32 v11, v2, s7, 0xc3e00000
	v_mov_b32_e32 v2, 0x7f
	v_and_b32_e32 v13, 0x7fffffff, v11
	s_delay_alu instid0(VALU_DEP_1)
	v_cmpx_gt_u32_e32 0x43f00000, v13
	s_cbranch_execz .LBB33_63
; %bb.58:                               ;   in Loop: Header=BB33_57 Depth=1
	s_mov_b32 s13, exec_lo
                                        ; implicit-def: $vgpr10
	v_cmpx_lt_u32_e32 0x3c7fffff, v13
	s_xor_b32 s13, exec_lo, s13
; %bb.59:                               ;   in Loop: Header=BB33_57 Depth=1
	v_bfe_u32 v6, v11, 20, 1
	s_delay_alu instid0(VALU_DEP_1) | instskip(NEXT) | instid1(VALU_DEP_1)
	v_add3_u32 v6, v11, v6, 0x407ffff
	v_lshrrev_b32_e32 v10, 20, v6
; %bb.60:                               ;   in Loop: Header=BB33_57 Depth=1
	s_and_not1_saveexec_b32 s13, s13
; %bb.61:                               ;   in Loop: Header=BB33_57 Depth=1
	v_add_f32_e64 v10, 0x46800000, |v11|
; %bb.62:                               ;   in Loop: Header=BB33_57 Depth=1
	s_or_b32 exec_lo, exec_lo, s13
.LBB33_63:                              ;   in Loop: Header=BB33_57 Depth=1
	s_delay_alu instid0(SALU_CYCLE_1) | instskip(SKIP_2) | instid1(VALU_DEP_1)
	s_or_b32 exec_lo, exec_lo, s12
	v_mul_f32_e32 v6, v28, v7
	s_mov_b32 s12, exec_lo
	v_mul_f32_e32 v3, v3, v6
	s_delay_alu instid0(VALU_DEP_1) | instskip(NEXT) | instid1(VALU_DEP_1)
	v_div_scale_f32 v6, null, v12, v12, v3
	v_rcp_f32_e32 v7, v6
	s_waitcnt_depctr 0xfff
	v_fma_f32 v13, -v6, v7, 1.0
	s_delay_alu instid0(VALU_DEP_1) | instskip(SKIP_1) | instid1(VALU_DEP_1)
	v_fmac_f32_e32 v7, v13, v7
	v_div_scale_f32 v13, vcc_lo, v3, v12, v3
	v_mul_f32_e32 v14, v13, v7
	s_delay_alu instid0(VALU_DEP_1) | instskip(NEXT) | instid1(VALU_DEP_1)
	v_fma_f32 v15, -v6, v14, v13
	v_fmac_f32_e32 v14, v15, v7
	s_delay_alu instid0(VALU_DEP_1) | instskip(NEXT) | instid1(VALU_DEP_1)
	v_fma_f32 v6, -v6, v14, v13
	v_div_fmas_f32 v6, v6, v7, v14
	s_delay_alu instid0(VALU_DEP_1) | instskip(NEXT) | instid1(VALU_DEP_1)
	v_div_fixup_f32 v3, v6, v12, v3
	v_minmax_f32 v3, v3, s7, 0xc3e00000
	s_delay_alu instid0(VALU_DEP_1) | instskip(NEXT) | instid1(VALU_DEP_1)
	v_and_b32_e32 v6, 0x7fffffff, v3
	v_cmpx_gt_u32_e32 0x43f00000, v6
	s_cbranch_execz .LBB33_69
; %bb.64:                               ;   in Loop: Header=BB33_57 Depth=1
	s_mov_b32 s13, exec_lo
                                        ; implicit-def: $vgpr2
	v_cmpx_lt_u32_e32 0x3c7fffff, v6
	s_xor_b32 s13, exec_lo, s13
; %bb.65:                               ;   in Loop: Header=BB33_57 Depth=1
	v_bfe_u32 v2, v3, 20, 1
	s_delay_alu instid0(VALU_DEP_1) | instskip(NEXT) | instid1(VALU_DEP_1)
	v_add3_u32 v2, v3, v2, 0x407ffff
	v_lshrrev_b32_e32 v2, 20, v2
; %bb.66:                               ;   in Loop: Header=BB33_57 Depth=1
	s_and_not1_saveexec_b32 s13, s13
; %bb.67:                               ;   in Loop: Header=BB33_57 Depth=1
	v_add_f32_e64 v2, 0x46800000, |v3|
; %bb.68:                               ;   in Loop: Header=BB33_57 Depth=1
	s_or_b32 exec_lo, exec_lo, s13
.LBB33_69:                              ;   in Loop: Header=BB33_57 Depth=1
	s_delay_alu instid0(SALU_CYCLE_1) | instskip(SKIP_2) | instid1(VALU_DEP_1)
	s_or_b32 exec_lo, exec_lo, s12
	v_mul_f32_e32 v6, v28, v8
	s_mov_b32 s12, exec_lo
	v_mul_f32_e32 v4, v4, v6
	s_delay_alu instid0(VALU_DEP_1) | instskip(SKIP_1) | instid1(VALU_DEP_2)
	v_div_scale_f32 v6, null, v12, v12, v4
	v_div_scale_f32 v13, vcc_lo, v4, v12, v4
	v_rcp_f32_e32 v7, v6
	s_waitcnt_depctr 0xfff
	v_fma_f32 v8, -v6, v7, 1.0
	s_delay_alu instid0(VALU_DEP_1) | instskip(NEXT) | instid1(VALU_DEP_1)
	v_fmac_f32_e32 v7, v8, v7
	v_mul_f32_e32 v8, v13, v7
	s_delay_alu instid0(VALU_DEP_1) | instskip(NEXT) | instid1(VALU_DEP_1)
	v_fma_f32 v14, -v6, v8, v13
	v_fmac_f32_e32 v8, v14, v7
	s_delay_alu instid0(VALU_DEP_1) | instskip(NEXT) | instid1(VALU_DEP_1)
	v_fma_f32 v6, -v6, v8, v13
	v_div_fmas_f32 v6, v6, v7, v8
	s_delay_alu instid0(VALU_DEP_1) | instskip(SKIP_1) | instid1(VALU_DEP_2)
	v_div_fixup_f32 v4, v6, v12, v4
	v_mov_b32_e32 v6, 0x7f
	v_minmax_f32 v7, v4, s7, 0xc3e00000
	v_mov_b32_e32 v4, 0x7f
	s_delay_alu instid0(VALU_DEP_2) | instskip(NEXT) | instid1(VALU_DEP_1)
	v_and_b32_e32 v8, 0x7fffffff, v7
	v_cmpx_gt_u32_e32 0x43f00000, v8
	s_cbranch_execz .LBB33_75
; %bb.70:                               ;   in Loop: Header=BB33_57 Depth=1
	s_mov_b32 s13, exec_lo
                                        ; implicit-def: $vgpr6
	v_cmpx_lt_u32_e32 0x3c7fffff, v8
	s_xor_b32 s13, exec_lo, s13
; %bb.71:                               ;   in Loop: Header=BB33_57 Depth=1
	v_bfe_u32 v6, v7, 20, 1
	s_delay_alu instid0(VALU_DEP_1) | instskip(NEXT) | instid1(VALU_DEP_1)
	v_add3_u32 v6, v7, v6, 0x407ffff
	v_lshrrev_b32_e32 v6, 20, v6
; %bb.72:                               ;   in Loop: Header=BB33_57 Depth=1
	s_and_not1_saveexec_b32 s13, s13
; %bb.73:                               ;   in Loop: Header=BB33_57 Depth=1
	v_add_f32_e64 v6, 0x46800000, |v7|
; %bb.74:                               ;   in Loop: Header=BB33_57 Depth=1
	s_or_b32 exec_lo, exec_lo, s13
.LBB33_75:                              ;   in Loop: Header=BB33_57 Depth=1
	s_delay_alu instid0(SALU_CYCLE_1) | instskip(SKIP_2) | instid1(VALU_DEP_1)
	s_or_b32 exec_lo, exec_lo, s12
	v_mul_f32_e32 v8, v28, v9
	s_mov_b32 s12, exec_lo
	v_mul_f32_e32 v5, v5, v8
	s_delay_alu instid0(VALU_DEP_1) | instskip(NEXT) | instid1(VALU_DEP_1)
	v_div_scale_f32 v8, null, v12, v12, v5
	v_rcp_f32_e32 v9, v8
	s_waitcnt_depctr 0xfff
	v_fma_f32 v13, -v8, v9, 1.0
	s_delay_alu instid0(VALU_DEP_1) | instskip(SKIP_1) | instid1(VALU_DEP_1)
	v_fmac_f32_e32 v9, v13, v9
	v_div_scale_f32 v13, vcc_lo, v5, v12, v5
	v_mul_f32_e32 v14, v13, v9
	s_delay_alu instid0(VALU_DEP_1) | instskip(NEXT) | instid1(VALU_DEP_1)
	v_fma_f32 v15, -v8, v14, v13
	v_fmac_f32_e32 v14, v15, v9
	s_delay_alu instid0(VALU_DEP_1) | instskip(NEXT) | instid1(VALU_DEP_1)
	v_fma_f32 v8, -v8, v14, v13
	v_div_fmas_f32 v8, v8, v9, v14
	s_delay_alu instid0(VALU_DEP_1) | instskip(NEXT) | instid1(VALU_DEP_1)
	v_div_fixup_f32 v5, v8, v12, v5
	v_minmax_f32 v5, v5, s7, 0xc3e00000
	s_delay_alu instid0(VALU_DEP_1) | instskip(NEXT) | instid1(VALU_DEP_1)
	v_and_b32_e32 v8, 0x7fffffff, v5
	v_cmpx_gt_u32_e32 0x43f00000, v8
	s_cbranch_execz .LBB33_81
; %bb.76:                               ;   in Loop: Header=BB33_57 Depth=1
	s_mov_b32 s13, exec_lo
                                        ; implicit-def: $vgpr4
	v_cmpx_lt_u32_e32 0x3c7fffff, v8
	s_xor_b32 s13, exec_lo, s13
; %bb.77:                               ;   in Loop: Header=BB33_57 Depth=1
	v_bfe_u32 v4, v5, 20, 1
	s_delay_alu instid0(VALU_DEP_1) | instskip(NEXT) | instid1(VALU_DEP_1)
	v_add3_u32 v4, v5, v4, 0x407ffff
	v_lshrrev_b32_e32 v4, 20, v4
; %bb.78:                               ;   in Loop: Header=BB33_57 Depth=1
	s_and_not1_saveexec_b32 s13, s13
; %bb.79:                               ;   in Loop: Header=BB33_57 Depth=1
	v_add_f32_e64 v4, 0x46800000, |v5|
; %bb.80:                               ;   in Loop: Header=BB33_57 Depth=1
	s_or_b32 exec_lo, exec_lo, s13
.LBB33_81:                              ;   in Loop: Header=BB33_57 Depth=1
	s_delay_alu instid0(SALU_CYCLE_1)
	s_or_b32 exec_lo, exec_lo, s12
	v_lshrrev_b32_e32 v7, 24, v7
	v_lshrrev_b32_e32 v3, 24, v3
	;; [unrolled: 1-line block ×3, first 2 shown]
	v_lshlrev_b32_e32 v4, 24, v4
	v_and_b32_e32 v5, 0x80000000, v5
	v_and_b32_e32 v7, 0x80, v7
	;; [unrolled: 1-line block ×3, first 2 shown]
	s_mov_b32 s13, -1
	s_mov_b32 s12, exec_lo
	s_delay_alu instid0(VALU_DEP_2)
	v_and_or_b32 v6, 0xff, v6, v7
	v_and_b32_e32 v7, 0xff, v10
	v_and_or_b32 v9, 0xff, v2, v3
	v_lshlrev_b64 v[2:3], 2, v[0:1]
	v_add_nc_u32_e32 v10, s33, v0
	v_lshlrev_b32_e32 v6, 16, v6
	v_and_or_b32 v7, 0x80, v8, v7
	v_lshlrev_b32_e32 v8, 8, v9
	v_add_co_u32 v2, vcc_lo, s2, v2
	s_delay_alu instid0(VALU_DEP_4) | instskip(SKIP_1) | instid1(VALU_DEP_2)
	v_or3_b32 v4, v5, v4, v6
	v_add_co_ci_u32_e32 v3, vcc_lo, s3, v3, vcc_lo
	v_or3_b32 v4, v4, v8, v7
	global_store_b32 v[2:3], v4, off
	v_cmpx_gt_u32_e64 s8, v10
	s_cbranch_execz .LBB33_56
; %bb.82:                               ;   in Loop: Header=BB33_57 Depth=1
	v_mov_b32_e32 v11, v1
	s_mov_b32 s13, exec_lo
	s_delay_alu instid0(VALU_DEP_1) | instskip(NEXT) | instid1(VALU_DEP_1)
	v_lshlrev_b64 v[2:3], 4, v[10:11]
	v_add_co_u32 v4, vcc_lo, s28, v2
	s_delay_alu instid0(VALU_DEP_2)
	v_add_co_ci_u32_e32 v5, vcc_lo, s29, v3, vcc_lo
	v_add_co_u32 v19, vcc_lo, s30, v2
	v_add_co_ci_u32_e32 v20, vcc_lo, s31, v3, vcc_lo
	v_add_co_u32 v2, vcc_lo, s10, v2
	global_load_b128 v[6:9], v[4:5], off
	global_load_b128 v[15:18], v[19:20], off
	v_lshrrev_b32_e32 v4, 2, v10
	v_add_co_ci_u32_e32 v3, vcc_lo, s11, v3, vcc_lo
	s_delay_alu instid0(VALU_DEP_2)
	v_and_b32_e32 v12, 0xffffffc, v4
	global_load_b128 v[2:5], v[2:3], off
	global_load_b32 v14, v12, s[0:1]
	s_waitcnt vmcnt(2)
	v_dual_add_f32 v6, v6, v15 :: v_dual_add_f32 v7, v7, v16
	v_dual_add_f32 v8, v8, v17 :: v_dual_add_f32 v9, v9, v18
	s_delay_alu instid0(VALU_DEP_2) | instskip(SKIP_1) | instid1(VALU_DEP_1)
	v_mul_f32_e32 v12, v28, v6
	s_waitcnt vmcnt(1)
	v_mul_f32_e32 v2, v2, v12
	s_waitcnt vmcnt(0)
	s_delay_alu instid0(VALU_DEP_1) | instskip(SKIP_1) | instid1(VALU_DEP_2)
	v_div_scale_f32 v12, null, v14, v14, v2
	v_div_scale_f32 v21, vcc_lo, v2, v14, v2
	v_rcp_f32_e32 v13, v12
	s_waitcnt_depctr 0xfff
	v_fma_f32 v15, -v12, v13, 1.0
	s_delay_alu instid0(VALU_DEP_1) | instskip(NEXT) | instid1(VALU_DEP_1)
	v_fmac_f32_e32 v13, v15, v13
	v_mul_f32_e32 v15, v21, v13
	s_delay_alu instid0(VALU_DEP_1) | instskip(NEXT) | instid1(VALU_DEP_1)
	v_fma_f32 v22, -v12, v15, v21
	v_fmac_f32_e32 v15, v22, v13
	s_delay_alu instid0(VALU_DEP_1) | instskip(NEXT) | instid1(VALU_DEP_1)
	v_fma_f32 v12, -v12, v15, v21
	v_div_fmas_f32 v12, v12, v13, v15
	s_delay_alu instid0(VALU_DEP_1) | instskip(SKIP_4) | instid1(VALU_DEP_2)
	v_div_fixup_f32 v2, v12, v14, v2
	v_mov_b32_e32 v12, 0x7f
	global_store_b128 v[19:20], v[6:9], off
	v_minmax_f32 v13, v2, s7, 0xc3e00000
	v_mov_b32_e32 v2, 0x7f
	v_and_b32_e32 v15, 0x7fffffff, v13
	s_delay_alu instid0(VALU_DEP_1)
	v_cmpx_gt_u32_e32 0x43f00000, v15
	s_cbranch_execz .LBB33_88
; %bb.83:                               ;   in Loop: Header=BB33_57 Depth=1
	s_mov_b32 s14, exec_lo
                                        ; implicit-def: $vgpr12
	v_cmpx_lt_u32_e32 0x3c7fffff, v15
	s_xor_b32 s14, exec_lo, s14
; %bb.84:                               ;   in Loop: Header=BB33_57 Depth=1
	v_bfe_u32 v6, v13, 20, 1
	s_delay_alu instid0(VALU_DEP_1) | instskip(NEXT) | instid1(VALU_DEP_1)
	v_add3_u32 v6, v13, v6, 0x407ffff
	v_lshrrev_b32_e32 v12, 20, v6
; %bb.85:                               ;   in Loop: Header=BB33_57 Depth=1
	s_and_not1_saveexec_b32 s14, s14
; %bb.86:                               ;   in Loop: Header=BB33_57 Depth=1
	v_add_f32_e64 v12, 0x46800000, |v13|
; %bb.87:                               ;   in Loop: Header=BB33_57 Depth=1
	s_or_b32 exec_lo, exec_lo, s14
.LBB33_88:                              ;   in Loop: Header=BB33_57 Depth=1
	s_delay_alu instid0(SALU_CYCLE_1) | instskip(SKIP_2) | instid1(VALU_DEP_1)
	s_or_b32 exec_lo, exec_lo, s13
	v_mul_f32_e32 v6, v28, v7
	s_mov_b32 s13, exec_lo
	v_mul_f32_e32 v3, v3, v6
	s_delay_alu instid0(VALU_DEP_1) | instskip(NEXT) | instid1(VALU_DEP_1)
	v_div_scale_f32 v6, null, v14, v14, v3
	v_rcp_f32_e32 v7, v6
	s_waitcnt_depctr 0xfff
	v_fma_f32 v15, -v6, v7, 1.0
	s_delay_alu instid0(VALU_DEP_1) | instskip(SKIP_1) | instid1(VALU_DEP_1)
	v_fmac_f32_e32 v7, v15, v7
	v_div_scale_f32 v15, vcc_lo, v3, v14, v3
	v_mul_f32_e32 v16, v15, v7
	s_delay_alu instid0(VALU_DEP_1) | instskip(NEXT) | instid1(VALU_DEP_1)
	v_fma_f32 v17, -v6, v16, v15
	v_fmac_f32_e32 v16, v17, v7
	s_delay_alu instid0(VALU_DEP_1) | instskip(NEXT) | instid1(VALU_DEP_1)
	v_fma_f32 v6, -v6, v16, v15
	v_div_fmas_f32 v6, v6, v7, v16
	s_delay_alu instid0(VALU_DEP_1) | instskip(NEXT) | instid1(VALU_DEP_1)
	v_div_fixup_f32 v3, v6, v14, v3
	v_minmax_f32 v3, v3, s7, 0xc3e00000
	s_delay_alu instid0(VALU_DEP_1) | instskip(NEXT) | instid1(VALU_DEP_1)
	v_and_b32_e32 v6, 0x7fffffff, v3
	v_cmpx_gt_u32_e32 0x43f00000, v6
	s_cbranch_execz .LBB33_94
; %bb.89:                               ;   in Loop: Header=BB33_57 Depth=1
	s_mov_b32 s14, exec_lo
                                        ; implicit-def: $vgpr2
	v_cmpx_lt_u32_e32 0x3c7fffff, v6
	s_xor_b32 s14, exec_lo, s14
; %bb.90:                               ;   in Loop: Header=BB33_57 Depth=1
	v_bfe_u32 v2, v3, 20, 1
	s_delay_alu instid0(VALU_DEP_1) | instskip(NEXT) | instid1(VALU_DEP_1)
	v_add3_u32 v2, v3, v2, 0x407ffff
	v_lshrrev_b32_e32 v2, 20, v2
; %bb.91:                               ;   in Loop: Header=BB33_57 Depth=1
	s_and_not1_saveexec_b32 s14, s14
; %bb.92:                               ;   in Loop: Header=BB33_57 Depth=1
	v_add_f32_e64 v2, 0x46800000, |v3|
; %bb.93:                               ;   in Loop: Header=BB33_57 Depth=1
	s_or_b32 exec_lo, exec_lo, s14
.LBB33_94:                              ;   in Loop: Header=BB33_57 Depth=1
	s_delay_alu instid0(SALU_CYCLE_1) | instskip(SKIP_2) | instid1(VALU_DEP_1)
	s_or_b32 exec_lo, exec_lo, s13
	v_mul_f32_e32 v6, v28, v8
	s_mov_b32 s13, exec_lo
	v_mul_f32_e32 v4, v4, v6
	s_delay_alu instid0(VALU_DEP_1) | instskip(SKIP_1) | instid1(VALU_DEP_2)
	v_div_scale_f32 v6, null, v14, v14, v4
	v_div_scale_f32 v15, vcc_lo, v4, v14, v4
	v_rcp_f32_e32 v7, v6
	s_waitcnt_depctr 0xfff
	v_fma_f32 v8, -v6, v7, 1.0
	s_delay_alu instid0(VALU_DEP_1) | instskip(NEXT) | instid1(VALU_DEP_1)
	v_fmac_f32_e32 v7, v8, v7
	v_mul_f32_e32 v8, v15, v7
	s_delay_alu instid0(VALU_DEP_1) | instskip(NEXT) | instid1(VALU_DEP_1)
	v_fma_f32 v16, -v6, v8, v15
	v_fmac_f32_e32 v8, v16, v7
	s_delay_alu instid0(VALU_DEP_1) | instskip(NEXT) | instid1(VALU_DEP_1)
	v_fma_f32 v6, -v6, v8, v15
	v_div_fmas_f32 v6, v6, v7, v8
	s_delay_alu instid0(VALU_DEP_1) | instskip(SKIP_1) | instid1(VALU_DEP_2)
	v_div_fixup_f32 v4, v6, v14, v4
	v_mov_b32_e32 v6, 0x7f
	v_minmax_f32 v7, v4, s7, 0xc3e00000
	v_mov_b32_e32 v4, 0x7f
	s_delay_alu instid0(VALU_DEP_2) | instskip(NEXT) | instid1(VALU_DEP_1)
	v_and_b32_e32 v8, 0x7fffffff, v7
	v_cmpx_gt_u32_e32 0x43f00000, v8
	s_cbranch_execz .LBB33_100
; %bb.95:                               ;   in Loop: Header=BB33_57 Depth=1
	s_mov_b32 s14, exec_lo
                                        ; implicit-def: $vgpr6
	v_cmpx_lt_u32_e32 0x3c7fffff, v8
	s_xor_b32 s14, exec_lo, s14
; %bb.96:                               ;   in Loop: Header=BB33_57 Depth=1
	v_bfe_u32 v6, v7, 20, 1
	s_delay_alu instid0(VALU_DEP_1) | instskip(NEXT) | instid1(VALU_DEP_1)
	v_add3_u32 v6, v7, v6, 0x407ffff
	v_lshrrev_b32_e32 v6, 20, v6
; %bb.97:                               ;   in Loop: Header=BB33_57 Depth=1
	s_and_not1_saveexec_b32 s14, s14
; %bb.98:                               ;   in Loop: Header=BB33_57 Depth=1
	v_add_f32_e64 v6, 0x46800000, |v7|
; %bb.99:                               ;   in Loop: Header=BB33_57 Depth=1
	s_or_b32 exec_lo, exec_lo, s14
.LBB33_100:                             ;   in Loop: Header=BB33_57 Depth=1
	s_delay_alu instid0(SALU_CYCLE_1) | instskip(SKIP_2) | instid1(VALU_DEP_1)
	s_or_b32 exec_lo, exec_lo, s13
	v_mul_f32_e32 v8, v28, v9
	s_mov_b32 s13, exec_lo
	v_mul_f32_e32 v5, v5, v8
	s_delay_alu instid0(VALU_DEP_1) | instskip(NEXT) | instid1(VALU_DEP_1)
	v_div_scale_f32 v8, null, v14, v14, v5
	v_rcp_f32_e32 v9, v8
	s_waitcnt_depctr 0xfff
	v_fma_f32 v15, -v8, v9, 1.0
	s_delay_alu instid0(VALU_DEP_1) | instskip(SKIP_1) | instid1(VALU_DEP_1)
	v_fmac_f32_e32 v9, v15, v9
	v_div_scale_f32 v15, vcc_lo, v5, v14, v5
	v_mul_f32_e32 v16, v15, v9
	s_delay_alu instid0(VALU_DEP_1) | instskip(NEXT) | instid1(VALU_DEP_1)
	v_fma_f32 v17, -v8, v16, v15
	v_fmac_f32_e32 v16, v17, v9
	s_delay_alu instid0(VALU_DEP_1) | instskip(NEXT) | instid1(VALU_DEP_1)
	v_fma_f32 v8, -v8, v16, v15
	v_div_fmas_f32 v8, v8, v9, v16
	s_delay_alu instid0(VALU_DEP_1) | instskip(NEXT) | instid1(VALU_DEP_1)
	v_div_fixup_f32 v5, v8, v14, v5
	v_minmax_f32 v5, v5, s7, 0xc3e00000
	s_delay_alu instid0(VALU_DEP_1) | instskip(NEXT) | instid1(VALU_DEP_1)
	v_and_b32_e32 v8, 0x7fffffff, v5
	v_cmpx_gt_u32_e32 0x43f00000, v8
	s_cbranch_execz .LBB33_106
; %bb.101:                              ;   in Loop: Header=BB33_57 Depth=1
	s_mov_b32 s14, exec_lo
                                        ; implicit-def: $vgpr4
	v_cmpx_lt_u32_e32 0x3c7fffff, v8
	s_xor_b32 s14, exec_lo, s14
; %bb.102:                              ;   in Loop: Header=BB33_57 Depth=1
	v_bfe_u32 v4, v5, 20, 1
	s_delay_alu instid0(VALU_DEP_1) | instskip(NEXT) | instid1(VALU_DEP_1)
	v_add3_u32 v4, v5, v4, 0x407ffff
	v_lshrrev_b32_e32 v4, 20, v4
; %bb.103:                              ;   in Loop: Header=BB33_57 Depth=1
	s_and_not1_saveexec_b32 s14, s14
; %bb.104:                              ;   in Loop: Header=BB33_57 Depth=1
	v_add_f32_e64 v4, 0x46800000, |v5|
; %bb.105:                              ;   in Loop: Header=BB33_57 Depth=1
	s_or_b32 exec_lo, exec_lo, s14
.LBB33_106:                             ;   in Loop: Header=BB33_57 Depth=1
	s_delay_alu instid0(SALU_CYCLE_1)
	s_or_b32 exec_lo, exec_lo, s13
	v_lshrrev_b32_e32 v7, 24, v7
	v_lshrrev_b32_e32 v3, 24, v3
	;; [unrolled: 1-line block ×3, first 2 shown]
	v_lshlrev_b32_e32 v4, 24, v4
	v_and_b32_e32 v5, 0x80000000, v5
	v_and_b32_e32 v7, 0x80, v7
	;; [unrolled: 1-line block ×3, first 2 shown]
	s_mov_b32 s14, -1
	s_mov_b32 s13, exec_lo
	s_delay_alu instid0(VALU_DEP_2)
	v_and_or_b32 v6, 0xff, v6, v7
	v_and_b32_e32 v7, 0xff, v12
	v_and_or_b32 v9, 0xff, v2, v3
	v_lshlrev_b64 v[2:3], 2, v[10:11]
	v_add_nc_u32_e32 v11, s5, v0
	v_lshlrev_b32_e32 v6, 16, v6
	v_and_or_b32 v7, 0x80, v8, v7
	v_lshlrev_b32_e32 v8, 8, v9
	v_add_co_u32 v2, vcc_lo, s2, v2
	s_delay_alu instid0(VALU_DEP_4) | instskip(SKIP_1) | instid1(VALU_DEP_2)
	v_or3_b32 v4, v5, v4, v6
	v_add_co_ci_u32_e32 v3, vcc_lo, s3, v3, vcc_lo
	v_or3_b32 v4, v4, v8, v7
	global_store_b32 v[2:3], v4, off
	v_cmpx_gt_u32_e64 s8, v11
	s_cbranch_execz .LBB33_55
; %bb.107:                              ;   in Loop: Header=BB33_57 Depth=1
	v_mov_b32_e32 v12, v1
	s_mov_b32 s14, exec_lo
	s_delay_alu instid0(VALU_DEP_1) | instskip(NEXT) | instid1(VALU_DEP_1)
	v_lshlrev_b64 v[2:3], 4, v[11:12]
	v_add_co_u32 v4, vcc_lo, s28, v2
	s_delay_alu instid0(VALU_DEP_2)
	v_add_co_ci_u32_e32 v5, vcc_lo, s29, v3, vcc_lo
	v_add_co_u32 v20, vcc_lo, s30, v2
	v_add_co_ci_u32_e32 v21, vcc_lo, s31, v3, vcc_lo
	v_add_co_u32 v2, vcc_lo, s10, v2
	global_load_b128 v[6:9], v[4:5], off
	global_load_b128 v[16:19], v[20:21], off
	v_lshrrev_b32_e32 v4, 2, v11
	v_add_co_ci_u32_e32 v3, vcc_lo, s11, v3, vcc_lo
	s_delay_alu instid0(VALU_DEP_2)
	v_and_b32_e32 v13, 0xffffffc, v4
	global_load_b128 v[2:5], v[2:3], off
	global_load_b32 v15, v13, s[0:1]
	s_waitcnt vmcnt(2)
	v_dual_add_f32 v6, v6, v16 :: v_dual_add_f32 v7, v7, v17
	v_dual_add_f32 v8, v8, v18 :: v_dual_add_f32 v9, v9, v19
	s_delay_alu instid0(VALU_DEP_2) | instskip(SKIP_4) | instid1(VALU_DEP_1)
	v_mul_f32_e32 v13, v28, v6
	global_store_b128 v[20:21], v[6:9], off
	s_waitcnt vmcnt(1)
	v_mul_f32_e32 v2, v2, v13
	s_waitcnt vmcnt(0)
	v_div_scale_f32 v13, null, v15, v15, v2
	v_div_scale_f32 v22, vcc_lo, v2, v15, v2
	s_delay_alu instid0(VALU_DEP_2) | instskip(SKIP_2) | instid1(VALU_DEP_1)
	v_rcp_f32_e32 v14, v13
	s_waitcnt_depctr 0xfff
	v_fma_f32 v16, -v13, v14, 1.0
	v_fmac_f32_e32 v14, v16, v14
	s_delay_alu instid0(VALU_DEP_1) | instskip(NEXT) | instid1(VALU_DEP_1)
	v_mul_f32_e32 v16, v22, v14
	v_fma_f32 v23, -v13, v16, v22
	s_delay_alu instid0(VALU_DEP_1) | instskip(NEXT) | instid1(VALU_DEP_1)
	v_fmac_f32_e32 v16, v23, v14
	v_fma_f32 v13, -v13, v16, v22
	s_delay_alu instid0(VALU_DEP_1) | instskip(NEXT) | instid1(VALU_DEP_1)
	v_div_fmas_f32 v13, v13, v14, v16
	v_div_fixup_f32 v2, v13, v15, v2
	v_mov_b32_e32 v13, 0x7f
	s_delay_alu instid0(VALU_DEP_2) | instskip(SKIP_1) | instid1(VALU_DEP_2)
	v_minmax_f32 v14, v2, s7, 0xc3e00000
	v_mov_b32_e32 v2, 0x7f
	v_and_b32_e32 v16, 0x7fffffff, v14
	s_delay_alu instid0(VALU_DEP_1)
	v_cmpx_gt_u32_e32 0x43f00000, v16
	s_cbranch_execz .LBB33_113
; %bb.108:                              ;   in Loop: Header=BB33_57 Depth=1
	s_mov_b32 s15, exec_lo
                                        ; implicit-def: $vgpr13
	v_cmpx_lt_u32_e32 0x3c7fffff, v16
	s_xor_b32 s15, exec_lo, s15
; %bb.109:                              ;   in Loop: Header=BB33_57 Depth=1
	v_bfe_u32 v6, v14, 20, 1
	s_delay_alu instid0(VALU_DEP_1) | instskip(NEXT) | instid1(VALU_DEP_1)
	v_add3_u32 v6, v14, v6, 0x407ffff
	v_lshrrev_b32_e32 v13, 20, v6
; %bb.110:                              ;   in Loop: Header=BB33_57 Depth=1
	s_and_not1_saveexec_b32 s15, s15
; %bb.111:                              ;   in Loop: Header=BB33_57 Depth=1
	v_add_f32_e64 v13, 0x46800000, |v14|
; %bb.112:                              ;   in Loop: Header=BB33_57 Depth=1
	s_or_b32 exec_lo, exec_lo, s15
.LBB33_113:                             ;   in Loop: Header=BB33_57 Depth=1
	s_delay_alu instid0(SALU_CYCLE_1) | instskip(SKIP_2) | instid1(VALU_DEP_1)
	s_or_b32 exec_lo, exec_lo, s14
	v_mul_f32_e32 v6, v28, v7
	s_mov_b32 s14, exec_lo
	v_mul_f32_e32 v3, v3, v6
	s_delay_alu instid0(VALU_DEP_1) | instskip(NEXT) | instid1(VALU_DEP_1)
	v_div_scale_f32 v6, null, v15, v15, v3
	v_rcp_f32_e32 v7, v6
	s_waitcnt_depctr 0xfff
	v_fma_f32 v16, -v6, v7, 1.0
	s_delay_alu instid0(VALU_DEP_1) | instskip(SKIP_1) | instid1(VALU_DEP_1)
	v_fmac_f32_e32 v7, v16, v7
	v_div_scale_f32 v16, vcc_lo, v3, v15, v3
	v_mul_f32_e32 v17, v16, v7
	s_delay_alu instid0(VALU_DEP_1) | instskip(NEXT) | instid1(VALU_DEP_1)
	v_fma_f32 v18, -v6, v17, v16
	v_fmac_f32_e32 v17, v18, v7
	s_delay_alu instid0(VALU_DEP_1) | instskip(NEXT) | instid1(VALU_DEP_1)
	v_fma_f32 v6, -v6, v17, v16
	v_div_fmas_f32 v6, v6, v7, v17
	s_delay_alu instid0(VALU_DEP_1) | instskip(NEXT) | instid1(VALU_DEP_1)
	v_div_fixup_f32 v3, v6, v15, v3
	v_minmax_f32 v3, v3, s7, 0xc3e00000
	s_delay_alu instid0(VALU_DEP_1) | instskip(NEXT) | instid1(VALU_DEP_1)
	v_and_b32_e32 v6, 0x7fffffff, v3
	v_cmpx_gt_u32_e32 0x43f00000, v6
	s_cbranch_execz .LBB33_119
; %bb.114:                              ;   in Loop: Header=BB33_57 Depth=1
	s_mov_b32 s15, exec_lo
                                        ; implicit-def: $vgpr2
	v_cmpx_lt_u32_e32 0x3c7fffff, v6
	s_xor_b32 s15, exec_lo, s15
; %bb.115:                              ;   in Loop: Header=BB33_57 Depth=1
	v_bfe_u32 v2, v3, 20, 1
	s_delay_alu instid0(VALU_DEP_1) | instskip(NEXT) | instid1(VALU_DEP_1)
	v_add3_u32 v2, v3, v2, 0x407ffff
	v_lshrrev_b32_e32 v2, 20, v2
; %bb.116:                              ;   in Loop: Header=BB33_57 Depth=1
	s_and_not1_saveexec_b32 s15, s15
; %bb.117:                              ;   in Loop: Header=BB33_57 Depth=1
	v_add_f32_e64 v2, 0x46800000, |v3|
; %bb.118:                              ;   in Loop: Header=BB33_57 Depth=1
	s_or_b32 exec_lo, exec_lo, s15
.LBB33_119:                             ;   in Loop: Header=BB33_57 Depth=1
	s_delay_alu instid0(SALU_CYCLE_1) | instskip(SKIP_2) | instid1(VALU_DEP_1)
	s_or_b32 exec_lo, exec_lo, s14
	v_mul_f32_e32 v6, v28, v8
	s_mov_b32 s14, exec_lo
	v_mul_f32_e32 v4, v4, v6
	s_delay_alu instid0(VALU_DEP_1) | instskip(SKIP_1) | instid1(VALU_DEP_2)
	v_div_scale_f32 v6, null, v15, v15, v4
	v_div_scale_f32 v16, vcc_lo, v4, v15, v4
	v_rcp_f32_e32 v7, v6
	s_waitcnt_depctr 0xfff
	v_fma_f32 v8, -v6, v7, 1.0
	s_delay_alu instid0(VALU_DEP_1) | instskip(NEXT) | instid1(VALU_DEP_1)
	v_fmac_f32_e32 v7, v8, v7
	v_mul_f32_e32 v8, v16, v7
	s_delay_alu instid0(VALU_DEP_1) | instskip(NEXT) | instid1(VALU_DEP_1)
	v_fma_f32 v17, -v6, v8, v16
	v_fmac_f32_e32 v8, v17, v7
	s_delay_alu instid0(VALU_DEP_1) | instskip(NEXT) | instid1(VALU_DEP_1)
	v_fma_f32 v6, -v6, v8, v16
	v_div_fmas_f32 v6, v6, v7, v8
	s_delay_alu instid0(VALU_DEP_1) | instskip(SKIP_1) | instid1(VALU_DEP_2)
	v_div_fixup_f32 v4, v6, v15, v4
	v_mov_b32_e32 v6, 0x7f
	v_minmax_f32 v7, v4, s7, 0xc3e00000
	v_mov_b32_e32 v4, 0x7f
	s_delay_alu instid0(VALU_DEP_2) | instskip(NEXT) | instid1(VALU_DEP_1)
	v_and_b32_e32 v8, 0x7fffffff, v7
	v_cmpx_gt_u32_e32 0x43f00000, v8
	s_cbranch_execz .LBB33_125
; %bb.120:                              ;   in Loop: Header=BB33_57 Depth=1
	s_mov_b32 s15, exec_lo
                                        ; implicit-def: $vgpr6
	v_cmpx_lt_u32_e32 0x3c7fffff, v8
	s_xor_b32 s15, exec_lo, s15
; %bb.121:                              ;   in Loop: Header=BB33_57 Depth=1
	v_bfe_u32 v6, v7, 20, 1
	s_delay_alu instid0(VALU_DEP_1) | instskip(NEXT) | instid1(VALU_DEP_1)
	v_add3_u32 v6, v7, v6, 0x407ffff
	v_lshrrev_b32_e32 v6, 20, v6
; %bb.122:                              ;   in Loop: Header=BB33_57 Depth=1
	s_and_not1_saveexec_b32 s15, s15
; %bb.123:                              ;   in Loop: Header=BB33_57 Depth=1
	v_add_f32_e64 v6, 0x46800000, |v7|
; %bb.124:                              ;   in Loop: Header=BB33_57 Depth=1
	s_or_b32 exec_lo, exec_lo, s15
.LBB33_125:                             ;   in Loop: Header=BB33_57 Depth=1
	s_delay_alu instid0(SALU_CYCLE_1) | instskip(SKIP_2) | instid1(VALU_DEP_1)
	s_or_b32 exec_lo, exec_lo, s14
	v_mul_f32_e32 v8, v28, v9
	s_mov_b32 s14, exec_lo
	v_mul_f32_e32 v5, v5, v8
	s_delay_alu instid0(VALU_DEP_1) | instskip(NEXT) | instid1(VALU_DEP_1)
	v_div_scale_f32 v8, null, v15, v15, v5
	v_rcp_f32_e32 v9, v8
	s_waitcnt_depctr 0xfff
	v_fma_f32 v16, -v8, v9, 1.0
	s_delay_alu instid0(VALU_DEP_1) | instskip(SKIP_1) | instid1(VALU_DEP_1)
	v_fmac_f32_e32 v9, v16, v9
	v_div_scale_f32 v16, vcc_lo, v5, v15, v5
	v_mul_f32_e32 v17, v16, v9
	s_delay_alu instid0(VALU_DEP_1) | instskip(NEXT) | instid1(VALU_DEP_1)
	v_fma_f32 v18, -v8, v17, v16
	v_fmac_f32_e32 v17, v18, v9
	s_delay_alu instid0(VALU_DEP_1) | instskip(NEXT) | instid1(VALU_DEP_1)
	v_fma_f32 v8, -v8, v17, v16
	v_div_fmas_f32 v8, v8, v9, v17
	s_delay_alu instid0(VALU_DEP_1) | instskip(NEXT) | instid1(VALU_DEP_1)
	v_div_fixup_f32 v5, v8, v15, v5
	v_minmax_f32 v5, v5, s7, 0xc3e00000
	s_delay_alu instid0(VALU_DEP_1) | instskip(NEXT) | instid1(VALU_DEP_1)
	v_and_b32_e32 v8, 0x7fffffff, v5
	v_cmpx_gt_u32_e32 0x43f00000, v8
	s_cbranch_execz .LBB33_131
; %bb.126:                              ;   in Loop: Header=BB33_57 Depth=1
	s_mov_b32 s15, exec_lo
                                        ; implicit-def: $vgpr4
	v_cmpx_lt_u32_e32 0x3c7fffff, v8
	s_xor_b32 s15, exec_lo, s15
; %bb.127:                              ;   in Loop: Header=BB33_57 Depth=1
	v_bfe_u32 v4, v5, 20, 1
	s_delay_alu instid0(VALU_DEP_1) | instskip(NEXT) | instid1(VALU_DEP_1)
	v_add3_u32 v4, v5, v4, 0x407ffff
	v_lshrrev_b32_e32 v4, 20, v4
; %bb.128:                              ;   in Loop: Header=BB33_57 Depth=1
	s_and_not1_saveexec_b32 s15, s15
; %bb.129:                              ;   in Loop: Header=BB33_57 Depth=1
	v_add_f32_e64 v4, 0x46800000, |v5|
; %bb.130:                              ;   in Loop: Header=BB33_57 Depth=1
	s_or_b32 exec_lo, exec_lo, s15
.LBB33_131:                             ;   in Loop: Header=BB33_57 Depth=1
	s_delay_alu instid0(SALU_CYCLE_1)
	s_or_b32 exec_lo, exec_lo, s14
	v_lshrrev_b32_e32 v7, 24, v7
	v_lshrrev_b32_e32 v3, 24, v3
	;; [unrolled: 1-line block ×3, first 2 shown]
	v_lshlrev_b32_e32 v4, 24, v4
	v_and_b32_e32 v5, 0x80000000, v5
	v_and_b32_e32 v7, 0x80, v7
	;; [unrolled: 1-line block ×3, first 2 shown]
	v_add_nc_u32_e32 v0, s4, v0
	s_mov_b32 s15, -1
	s_mov_b32 s14, exec_lo
	v_and_or_b32 v6, 0xff, v6, v7
	v_and_b32_e32 v7, 0xff, v13
	v_and_or_b32 v9, 0xff, v2, v3
	v_lshlrev_b64 v[2:3], 2, v[11:12]
	s_delay_alu instid0(VALU_DEP_4) | instskip(NEXT) | instid1(VALU_DEP_4)
	v_lshlrev_b32_e32 v6, 16, v6
	v_and_or_b32 v7, 0x80, v8, v7
	s_delay_alu instid0(VALU_DEP_4) | instskip(NEXT) | instid1(VALU_DEP_4)
	v_lshlrev_b32_e32 v8, 8, v9
	v_add_co_u32 v2, vcc_lo, s2, v2
	s_delay_alu instid0(VALU_DEP_4) | instskip(SKIP_1) | instid1(VALU_DEP_2)
	v_or3_b32 v4, v5, v4, v6
	v_add_co_ci_u32_e32 v3, vcc_lo, s3, v3, vcc_lo
	v_or3_b32 v4, v4, v8, v7
	global_store_b32 v[2:3], v4, off
	v_cmpx_gt_u32_e64 s8, v0
	s_cbranch_execz .LBB33_54
; %bb.132:                              ;   in Loop: Header=BB33_57 Depth=1
	v_lshlrev_b64 v[2:3], 4, v[0:1]
	s_mov_b32 s15, exec_lo
	s_delay_alu instid0(VALU_DEP_1) | instskip(NEXT) | instid1(VALU_DEP_2)
	v_add_co_u32 v4, vcc_lo, s28, v2
	v_add_co_ci_u32_e32 v5, vcc_lo, s29, v3, vcc_lo
	v_add_co_u32 v18, vcc_lo, s30, v2
	v_add_co_ci_u32_e32 v19, vcc_lo, s31, v3, vcc_lo
	v_add_co_u32 v2, vcc_lo, s10, v2
	global_load_b128 v[6:9], v[4:5], off
	global_load_b128 v[14:17], v[18:19], off
	v_lshrrev_b32_e32 v4, 2, v0
	v_add_co_ci_u32_e32 v3, vcc_lo, s11, v3, vcc_lo
	s_waitcnt vmcnt(0)
	s_delay_alu instid0(VALU_DEP_2)
	v_dual_add_f32 v6, v6, v14 :: v_dual_and_b32 v11, 0xffffffc, v4
	global_load_b128 v[2:5], v[2:3], off
	global_load_b32 v13, v11, s[0:1]
	v_dual_add_f32 v8, v8, v16 :: v_dual_add_f32 v9, v9, v17
	v_add_f32_e32 v7, v7, v15
	v_mul_f32_e32 v11, v28, v6
	global_store_b128 v[18:19], v[6:9], off
	s_waitcnt vmcnt(1)
	v_mul_f32_e32 v2, v2, v11
	s_waitcnt vmcnt(0)
	s_delay_alu instid0(VALU_DEP_1) | instskip(SKIP_1) | instid1(VALU_DEP_2)
	v_div_scale_f32 v11, null, v13, v13, v2
	v_div_scale_f32 v20, vcc_lo, v2, v13, v2
	v_rcp_f32_e32 v12, v11
	s_waitcnt_depctr 0xfff
	v_fma_f32 v14, -v11, v12, 1.0
	s_delay_alu instid0(VALU_DEP_1) | instskip(NEXT) | instid1(VALU_DEP_1)
	v_fmac_f32_e32 v12, v14, v12
	v_mul_f32_e32 v14, v20, v12
	s_delay_alu instid0(VALU_DEP_1) | instskip(NEXT) | instid1(VALU_DEP_1)
	v_fma_f32 v21, -v11, v14, v20
	v_fmac_f32_e32 v14, v21, v12
	s_delay_alu instid0(VALU_DEP_1) | instskip(NEXT) | instid1(VALU_DEP_1)
	v_fma_f32 v11, -v11, v14, v20
	v_div_fmas_f32 v11, v11, v12, v14
	s_delay_alu instid0(VALU_DEP_1) | instskip(SKIP_1) | instid1(VALU_DEP_2)
	v_div_fixup_f32 v2, v11, v13, v2
	v_mov_b32_e32 v11, 0x7f
	v_minmax_f32 v12, v2, s7, 0xc3e00000
	v_mov_b32_e32 v2, 0x7f
	s_delay_alu instid0(VALU_DEP_2) | instskip(NEXT) | instid1(VALU_DEP_1)
	v_and_b32_e32 v14, 0x7fffffff, v12
	v_cmpx_gt_u32_e32 0x43f00000, v14
	s_cbranch_execz .LBB33_138
; %bb.133:                              ;   in Loop: Header=BB33_57 Depth=1
	s_mov_b32 s16, exec_lo
                                        ; implicit-def: $vgpr11
	v_cmpx_lt_u32_e32 0x3c7fffff, v14
	s_xor_b32 s16, exec_lo, s16
; %bb.134:                              ;   in Loop: Header=BB33_57 Depth=1
	v_bfe_u32 v6, v12, 20, 1
	s_delay_alu instid0(VALU_DEP_1) | instskip(NEXT) | instid1(VALU_DEP_1)
	v_add3_u32 v6, v12, v6, 0x407ffff
	v_lshrrev_b32_e32 v11, 20, v6
; %bb.135:                              ;   in Loop: Header=BB33_57 Depth=1
	s_and_not1_saveexec_b32 s16, s16
; %bb.136:                              ;   in Loop: Header=BB33_57 Depth=1
	v_add_f32_e64 v11, 0x46800000, |v12|
; %bb.137:                              ;   in Loop: Header=BB33_57 Depth=1
	s_or_b32 exec_lo, exec_lo, s16
.LBB33_138:                             ;   in Loop: Header=BB33_57 Depth=1
	s_delay_alu instid0(SALU_CYCLE_1) | instskip(SKIP_2) | instid1(VALU_DEP_1)
	s_or_b32 exec_lo, exec_lo, s15
	v_mul_f32_e32 v6, v28, v7
	s_mov_b32 s15, exec_lo
	v_mul_f32_e32 v3, v3, v6
	s_delay_alu instid0(VALU_DEP_1) | instskip(NEXT) | instid1(VALU_DEP_1)
	v_div_scale_f32 v6, null, v13, v13, v3
	v_rcp_f32_e32 v7, v6
	s_waitcnt_depctr 0xfff
	v_fma_f32 v14, -v6, v7, 1.0
	s_delay_alu instid0(VALU_DEP_1) | instskip(SKIP_1) | instid1(VALU_DEP_1)
	v_fmac_f32_e32 v7, v14, v7
	v_div_scale_f32 v14, vcc_lo, v3, v13, v3
	v_mul_f32_e32 v15, v14, v7
	s_delay_alu instid0(VALU_DEP_1) | instskip(NEXT) | instid1(VALU_DEP_1)
	v_fma_f32 v16, -v6, v15, v14
	v_fmac_f32_e32 v15, v16, v7
	s_delay_alu instid0(VALU_DEP_1) | instskip(NEXT) | instid1(VALU_DEP_1)
	v_fma_f32 v6, -v6, v15, v14
	v_div_fmas_f32 v6, v6, v7, v15
	s_delay_alu instid0(VALU_DEP_1) | instskip(NEXT) | instid1(VALU_DEP_1)
	v_div_fixup_f32 v3, v6, v13, v3
	v_minmax_f32 v3, v3, s7, 0xc3e00000
	s_delay_alu instid0(VALU_DEP_1) | instskip(NEXT) | instid1(VALU_DEP_1)
	v_and_b32_e32 v6, 0x7fffffff, v3
	v_cmpx_gt_u32_e32 0x43f00000, v6
	s_cbranch_execz .LBB33_144
; %bb.139:                              ;   in Loop: Header=BB33_57 Depth=1
	s_mov_b32 s16, exec_lo
                                        ; implicit-def: $vgpr2
	v_cmpx_lt_u32_e32 0x3c7fffff, v6
	s_xor_b32 s16, exec_lo, s16
; %bb.140:                              ;   in Loop: Header=BB33_57 Depth=1
	v_bfe_u32 v2, v3, 20, 1
	s_delay_alu instid0(VALU_DEP_1) | instskip(NEXT) | instid1(VALU_DEP_1)
	v_add3_u32 v2, v3, v2, 0x407ffff
	v_lshrrev_b32_e32 v2, 20, v2
; %bb.141:                              ;   in Loop: Header=BB33_57 Depth=1
	s_and_not1_saveexec_b32 s16, s16
; %bb.142:                              ;   in Loop: Header=BB33_57 Depth=1
	v_add_f32_e64 v2, 0x46800000, |v3|
; %bb.143:                              ;   in Loop: Header=BB33_57 Depth=1
	s_or_b32 exec_lo, exec_lo, s16
.LBB33_144:                             ;   in Loop: Header=BB33_57 Depth=1
	s_delay_alu instid0(SALU_CYCLE_1) | instskip(SKIP_2) | instid1(VALU_DEP_1)
	s_or_b32 exec_lo, exec_lo, s15
	v_mul_f32_e32 v6, v28, v8
	s_mov_b32 s15, exec_lo
	v_mul_f32_e32 v4, v4, v6
	s_delay_alu instid0(VALU_DEP_1) | instskip(SKIP_1) | instid1(VALU_DEP_2)
	v_div_scale_f32 v6, null, v13, v13, v4
	v_div_scale_f32 v14, vcc_lo, v4, v13, v4
	v_rcp_f32_e32 v7, v6
	s_waitcnt_depctr 0xfff
	v_fma_f32 v8, -v6, v7, 1.0
	s_delay_alu instid0(VALU_DEP_1) | instskip(NEXT) | instid1(VALU_DEP_1)
	v_fmac_f32_e32 v7, v8, v7
	v_mul_f32_e32 v8, v14, v7
	s_delay_alu instid0(VALU_DEP_1) | instskip(NEXT) | instid1(VALU_DEP_1)
	v_fma_f32 v15, -v6, v8, v14
	v_fmac_f32_e32 v8, v15, v7
	s_delay_alu instid0(VALU_DEP_1) | instskip(NEXT) | instid1(VALU_DEP_1)
	v_fma_f32 v6, -v6, v8, v14
	v_div_fmas_f32 v6, v6, v7, v8
	s_delay_alu instid0(VALU_DEP_1) | instskip(SKIP_1) | instid1(VALU_DEP_2)
	v_div_fixup_f32 v4, v6, v13, v4
	v_mov_b32_e32 v6, 0x7f
	v_minmax_f32 v7, v4, s7, 0xc3e00000
	v_mov_b32_e32 v4, 0x7f
	s_delay_alu instid0(VALU_DEP_2) | instskip(NEXT) | instid1(VALU_DEP_1)
	v_and_b32_e32 v8, 0x7fffffff, v7
	v_cmpx_gt_u32_e32 0x43f00000, v8
	s_cbranch_execz .LBB33_150
; %bb.145:                              ;   in Loop: Header=BB33_57 Depth=1
	s_mov_b32 s16, exec_lo
                                        ; implicit-def: $vgpr6
	v_cmpx_lt_u32_e32 0x3c7fffff, v8
	s_xor_b32 s16, exec_lo, s16
; %bb.146:                              ;   in Loop: Header=BB33_57 Depth=1
	v_bfe_u32 v6, v7, 20, 1
	s_delay_alu instid0(VALU_DEP_1) | instskip(NEXT) | instid1(VALU_DEP_1)
	v_add3_u32 v6, v7, v6, 0x407ffff
	v_lshrrev_b32_e32 v6, 20, v6
; %bb.147:                              ;   in Loop: Header=BB33_57 Depth=1
	s_and_not1_saveexec_b32 s16, s16
; %bb.148:                              ;   in Loop: Header=BB33_57 Depth=1
	v_add_f32_e64 v6, 0x46800000, |v7|
; %bb.149:                              ;   in Loop: Header=BB33_57 Depth=1
	s_or_b32 exec_lo, exec_lo, s16
.LBB33_150:                             ;   in Loop: Header=BB33_57 Depth=1
	s_delay_alu instid0(SALU_CYCLE_1) | instskip(SKIP_2) | instid1(VALU_DEP_1)
	s_or_b32 exec_lo, exec_lo, s15
	v_mul_f32_e32 v8, v28, v9
	s_mov_b32 s15, exec_lo
	v_mul_f32_e32 v5, v5, v8
	s_delay_alu instid0(VALU_DEP_1) | instskip(NEXT) | instid1(VALU_DEP_1)
	v_div_scale_f32 v8, null, v13, v13, v5
	v_rcp_f32_e32 v9, v8
	s_waitcnt_depctr 0xfff
	v_fma_f32 v14, -v8, v9, 1.0
	s_delay_alu instid0(VALU_DEP_1) | instskip(SKIP_1) | instid1(VALU_DEP_1)
	v_fmac_f32_e32 v9, v14, v9
	v_div_scale_f32 v14, vcc_lo, v5, v13, v5
	v_mul_f32_e32 v15, v14, v9
	s_delay_alu instid0(VALU_DEP_1) | instskip(NEXT) | instid1(VALU_DEP_1)
	v_fma_f32 v16, -v8, v15, v14
	v_fmac_f32_e32 v15, v16, v9
	s_delay_alu instid0(VALU_DEP_1) | instskip(NEXT) | instid1(VALU_DEP_1)
	v_fma_f32 v8, -v8, v15, v14
	v_div_fmas_f32 v8, v8, v9, v15
	s_delay_alu instid0(VALU_DEP_1) | instskip(NEXT) | instid1(VALU_DEP_1)
	v_div_fixup_f32 v5, v8, v13, v5
	v_minmax_f32 v5, v5, s7, 0xc3e00000
	s_delay_alu instid0(VALU_DEP_1) | instskip(NEXT) | instid1(VALU_DEP_1)
	v_and_b32_e32 v8, 0x7fffffff, v5
	v_cmpx_gt_u32_e32 0x43f00000, v8
	s_cbranch_execz .LBB33_53
; %bb.151:                              ;   in Loop: Header=BB33_57 Depth=1
	s_mov_b32 s16, exec_lo
                                        ; implicit-def: $vgpr4
	v_cmpx_lt_u32_e32 0x3c7fffff, v8
	s_xor_b32 s16, exec_lo, s16
; %bb.152:                              ;   in Loop: Header=BB33_57 Depth=1
	v_bfe_u32 v4, v5, 20, 1
	s_delay_alu instid0(VALU_DEP_1) | instskip(NEXT) | instid1(VALU_DEP_1)
	v_add3_u32 v4, v5, v4, 0x407ffff
	v_lshrrev_b32_e32 v4, 20, v4
; %bb.153:                              ;   in Loop: Header=BB33_57 Depth=1
	s_and_not1_saveexec_b32 s16, s16
	s_cbranch_execz .LBB33_52
; %bb.154:                              ;   in Loop: Header=BB33_57 Depth=1
	v_add_f32_e64 v4, 0x46800000, |v5|
	s_branch .LBB33_52
.LBB33_155:
	s_nop 0
	s_sendmsg sendmsg(MSG_DEALLOC_VGPRS)
	s_endpgm
	.section	.rodata,"a",@progbits
	.p2align	6, 0x0
	.amdhsa_kernel _ZN4vllm31rms_norm_per_block_quant_kernelIfN3c1013Float8_e4m3fnELb1ELb0ELi64EEEvPT0_PfPKT_S8_PKffiiPS6_l
		.amdhsa_group_segment_fixed_size 4228
		.amdhsa_private_segment_fixed_size 0
		.amdhsa_kernarg_size 328
		.amdhsa_user_sgpr_count 15
		.amdhsa_user_sgpr_dispatch_ptr 0
		.amdhsa_user_sgpr_queue_ptr 0
		.amdhsa_user_sgpr_kernarg_segment_ptr 1
		.amdhsa_user_sgpr_dispatch_id 0
		.amdhsa_user_sgpr_private_segment_size 0
		.amdhsa_wavefront_size32 1
		.amdhsa_uses_dynamic_stack 0
		.amdhsa_enable_private_segment 0
		.amdhsa_system_sgpr_workgroup_id_x 1
		.amdhsa_system_sgpr_workgroup_id_y 0
		.amdhsa_system_sgpr_workgroup_id_z 0
		.amdhsa_system_sgpr_workgroup_info 0
		.amdhsa_system_vgpr_workitem_id 0
		.amdhsa_next_free_vgpr 37
		.amdhsa_next_free_sgpr 40
		.amdhsa_reserve_vcc 1
		.amdhsa_float_round_mode_32 0
		.amdhsa_float_round_mode_16_64 0
		.amdhsa_float_denorm_mode_32 3
		.amdhsa_float_denorm_mode_16_64 3
		.amdhsa_dx10_clamp 1
		.amdhsa_ieee_mode 1
		.amdhsa_fp16_overflow 0
		.amdhsa_workgroup_processor_mode 1
		.amdhsa_memory_ordered 1
		.amdhsa_forward_progress 0
		.amdhsa_shared_vgpr_count 0
		.amdhsa_exception_fp_ieee_invalid_op 0
		.amdhsa_exception_fp_denorm_src 0
		.amdhsa_exception_fp_ieee_div_zero 0
		.amdhsa_exception_fp_ieee_overflow 0
		.amdhsa_exception_fp_ieee_underflow 0
		.amdhsa_exception_fp_ieee_inexact 0
		.amdhsa_exception_int_div_zero 0
	.end_amdhsa_kernel
	.section	.text._ZN4vllm31rms_norm_per_block_quant_kernelIfN3c1013Float8_e4m3fnELb1ELb0ELi64EEEvPT0_PfPKT_S8_PKffiiPS6_l,"axG",@progbits,_ZN4vllm31rms_norm_per_block_quant_kernelIfN3c1013Float8_e4m3fnELb1ELb0ELi64EEEvPT0_PfPKT_S8_PKffiiPS6_l,comdat
.Lfunc_end33:
	.size	_ZN4vllm31rms_norm_per_block_quant_kernelIfN3c1013Float8_e4m3fnELb1ELb0ELi64EEEvPT0_PfPKT_S8_PKffiiPS6_l, .Lfunc_end33-_ZN4vllm31rms_norm_per_block_quant_kernelIfN3c1013Float8_e4m3fnELb1ELb0ELi64EEEvPT0_PfPKT_S8_PKffiiPS6_l
                                        ; -- End function
	.section	.AMDGPU.csdata,"",@progbits
; Kernel info:
; codeLenInByte = 9244
; NumSgprs: 42
; NumVgprs: 37
; ScratchSize: 0
; MemoryBound: 0
; FloatMode: 240
; IeeeMode: 1
; LDSByteSize: 4228 bytes/workgroup (compile time only)
; SGPRBlocks: 5
; VGPRBlocks: 4
; NumSGPRsForWavesPerEU: 42
; NumVGPRsForWavesPerEU: 37
; Occupancy: 16
; WaveLimiterHint : 0
; COMPUTE_PGM_RSRC2:SCRATCH_EN: 0
; COMPUTE_PGM_RSRC2:USER_SGPR: 15
; COMPUTE_PGM_RSRC2:TRAP_HANDLER: 0
; COMPUTE_PGM_RSRC2:TGID_X_EN: 1
; COMPUTE_PGM_RSRC2:TGID_Y_EN: 0
; COMPUTE_PGM_RSRC2:TGID_Z_EN: 0
; COMPUTE_PGM_RSRC2:TIDIG_COMP_CNT: 0
	.section	.text._ZN4vllm31rms_norm_per_block_quant_kernelIfN3c1015Float8_e4m3fnuzELb1ELb0ELi64EEEvPT0_PfPKT_S8_PKffiiPS6_l,"axG",@progbits,_ZN4vllm31rms_norm_per_block_quant_kernelIfN3c1015Float8_e4m3fnuzELb1ELb0ELi64EEEvPT0_PfPKT_S8_PKffiiPS6_l,comdat
	.protected	_ZN4vllm31rms_norm_per_block_quant_kernelIfN3c1015Float8_e4m3fnuzELb1ELb0ELi64EEEvPT0_PfPKT_S8_PKffiiPS6_l ; -- Begin function _ZN4vllm31rms_norm_per_block_quant_kernelIfN3c1015Float8_e4m3fnuzELb1ELb0ELi64EEEvPT0_PfPKT_S8_PKffiiPS6_l
	.globl	_ZN4vllm31rms_norm_per_block_quant_kernelIfN3c1015Float8_e4m3fnuzELb1ELb0ELi64EEEvPT0_PfPKT_S8_PKffiiPS6_l
	.p2align	8
	.type	_ZN4vllm31rms_norm_per_block_quant_kernelIfN3c1015Float8_e4m3fnuzELb1ELb0ELi64EEEvPT0_PfPKT_S8_PKffiiPS6_l,@function
_ZN4vllm31rms_norm_per_block_quant_kernelIfN3c1015Float8_e4m3fnuzELb1ELb0ELi64EEEvPT0_PfPKT_S8_PKffiiPS6_l: ; @_ZN4vllm31rms_norm_per_block_quant_kernelIfN3c1015Float8_e4m3fnuzELb1ELb0ELi64EEEvPT0_PfPKT_S8_PKffiiPS6_l
; %bb.0:
	s_clause 0x2
	s_load_b128 s[16:19], s[0:1], 0x28
	s_load_b256 s[4:11], s[0:1], 0x0
	s_load_b64 s[2:3], s[0:1], 0x38
	v_mov_b32_e32 v6, 0
	s_waitcnt lgkmcnt(0)
	s_ashr_i32 s12, s18, 31
	s_mul_hi_u32 s13, s18, s15
	s_mul_i32 s20, s18, s15
	s_mul_i32 s18, s12, s15
	s_ashr_i32 s19, s17, 31
	s_add_i32 s21, s13, s18
	s_mul_hi_u32 s14, s17, s15
	s_mul_i32 s13, s19, s15
	s_lshl_b64 s[20:21], s[20:21], 2
	s_mul_i32 s12, s17, s15
	s_add_i32 s13, s14, s13
	s_add_u32 s28, s8, s20
	s_addc_u32 s29, s9, s21
	s_lshl_b64 s[8:9], s[12:13], 2
	s_mov_b32 s18, s17
	s_add_u32 s30, s2, s8
	s_addc_u32 s31, s3, s9
	s_ashr_i32 s8, s17, 2
	s_add_u32 s20, s0, 0x48
	v_cmp_gt_u32_e64 s2, s8, v0
	s_mov_b32 s3, 0
	s_addc_u32 s21, s1, 0
	s_delay_alu instid0(VALU_DEP_1)
	s_and_saveexec_b32 s9, s2
	s_cbranch_execz .LBB34_10
; %bb.1:
	s_load_b32 s14, s[20:21], 0x0
	v_dual_mov_b32 v2, 0 :: v_dual_mov_b32 v1, v0
	s_waitcnt lgkmcnt(0)
	s_cmp_lt_u32 s15, s14
	s_cselect_b32 s14, 12, 18
	s_delay_alu instid0(SALU_CYCLE_1)
	s_add_u32 s22, s20, s14
	s_addc_u32 s23, s21, 0
                                        ; implicit-def: $sgpr14
	global_load_u16 v7, v2, s[22:23]
	s_waitcnt vmcnt(0)
	v_lshlrev_b32_e32 v9, 1, v7
	v_mul_lo_u32 v8, v7, 3
	v_add_nc_u32_e32 v10, v7, v7
	v_mov_b32_e32 v6, v2
	s_branch .LBB34_5
.LBB34_2:                               ;   in Loop: Header=BB34_5 Depth=1
	s_or_b32 exec_lo, exec_lo, s23
	s_delay_alu instid0(SALU_CYCLE_1)
	s_or_not1_b32 s23, s24, exec_lo
.LBB34_3:                               ;   in Loop: Header=BB34_5 Depth=1
	s_or_b32 exec_lo, exec_lo, s22
	s_delay_alu instid0(SALU_CYCLE_1) | instskip(SKIP_1) | instid1(SALU_CYCLE_1)
	s_and_not1_b32 s14, s14, exec_lo
	s_and_b32 s22, s23, exec_lo
	s_or_b32 s14, s14, s22
.LBB34_4:                               ;   in Loop: Header=BB34_5 Depth=1
	s_or_b32 exec_lo, exec_lo, s17
	s_delay_alu instid0(SALU_CYCLE_1) | instskip(NEXT) | instid1(SALU_CYCLE_1)
	s_and_b32 s17, exec_lo, s14
	s_or_b32 s3, s17, s3
	s_delay_alu instid0(SALU_CYCLE_1)
	s_and_not1_b32 exec_lo, exec_lo, s3
	s_cbranch_execz .LBB34_9
.LBB34_5:                               ; =>This Inner Loop Header: Depth=1
	v_lshlrev_b64 v[3:4], 4, v[1:2]
	s_or_b32 s14, s14, exec_lo
	s_mov_b32 s17, exec_lo
	s_delay_alu instid0(VALU_DEP_1) | instskip(NEXT) | instid1(VALU_DEP_2)
	v_add_co_u32 v11, vcc_lo, s28, v3
	v_add_co_ci_u32_e32 v12, vcc_lo, s29, v4, vcc_lo
	v_add_co_u32 v3, vcc_lo, s30, v3
	v_add_co_ci_u32_e32 v4, vcc_lo, s31, v4, vcc_lo
	global_load_b128 v[11:14], v[11:12], off
	global_load_b128 v[15:18], v[3:4], off
	s_waitcnt vmcnt(0)
	v_dual_add_f32 v3, v11, v15 :: v_dual_add_f32 v4, v12, v16
	s_delay_alu instid0(VALU_DEP_1) | instskip(NEXT) | instid1(VALU_DEP_1)
	v_dual_fmac_f32 v6, v3, v3 :: v_dual_add_f32 v3, v13, v17
	v_fmac_f32_e32 v6, v4, v4
	v_add_f32_e32 v4, v14, v18
	s_delay_alu instid0(VALU_DEP_2) | instskip(NEXT) | instid1(VALU_DEP_1)
	v_fmac_f32_e32 v6, v3, v3
	v_dual_fmac_f32 v6, v4, v4 :: v_dual_add_nc_u32 v3, v1, v7
	s_delay_alu instid0(VALU_DEP_1)
	v_cmpx_gt_u32_e64 s8, v3
	s_cbranch_execz .LBB34_4
; %bb.6:                                ;   in Loop: Header=BB34_5 Depth=1
	v_mov_b32_e32 v4, v2
	s_mov_b32 s23, -1
	s_mov_b32 s22, exec_lo
	s_delay_alu instid0(VALU_DEP_1) | instskip(NEXT) | instid1(VALU_DEP_1)
	v_lshlrev_b64 v[4:5], 4, v[3:4]
	v_add_co_u32 v11, vcc_lo, s28, v4
	s_delay_alu instid0(VALU_DEP_2)
	v_add_co_ci_u32_e32 v12, vcc_lo, s29, v5, vcc_lo
	v_add_co_u32 v4, vcc_lo, s30, v4
	v_add_co_ci_u32_e32 v5, vcc_lo, s31, v5, vcc_lo
	global_load_b128 v[11:14], v[11:12], off
	global_load_b128 v[15:18], v[4:5], off
	s_waitcnt vmcnt(0)
	v_dual_add_f32 v5, v12, v16 :: v_dual_add_f32 v4, v11, v15
	s_delay_alu instid0(VALU_DEP_1) | instskip(SKIP_1) | instid1(VALU_DEP_2)
	v_fmac_f32_e32 v6, v4, v4
	v_add_f32_e32 v4, v13, v17
	v_dual_fmac_f32 v6, v5, v5 :: v_dual_add_f32 v5, v14, v18
	s_delay_alu instid0(VALU_DEP_1) | instskip(SKIP_1) | instid1(VALU_DEP_2)
	v_fmac_f32_e32 v6, v4, v4
	v_add_nc_u32_e32 v4, v9, v1
	v_fmac_f32_e32 v6, v5, v5
	s_delay_alu instid0(VALU_DEP_2)
	v_cmpx_gt_u32_e64 s8, v4
	s_cbranch_execz .LBB34_3
; %bb.7:                                ;   in Loop: Header=BB34_5 Depth=1
	v_mov_b32_e32 v5, v2
	v_add_nc_u32_e32 v1, v8, v1
	s_mov_b32 s24, -1
	s_mov_b32 s23, exec_lo
	s_delay_alu instid0(VALU_DEP_2) | instskip(NEXT) | instid1(VALU_DEP_1)
	v_lshlrev_b64 v[4:5], 4, v[4:5]
	v_add_co_u32 v11, vcc_lo, s28, v4
	s_delay_alu instid0(VALU_DEP_2)
	v_add_co_ci_u32_e32 v12, vcc_lo, s29, v5, vcc_lo
	v_add_co_u32 v4, vcc_lo, s30, v4
	v_add_co_ci_u32_e32 v5, vcc_lo, s31, v5, vcc_lo
	global_load_b128 v[11:14], v[11:12], off
	global_load_b128 v[15:18], v[4:5], off
	s_waitcnt vmcnt(0)
	v_dual_add_f32 v4, v11, v15 :: v_dual_add_f32 v5, v12, v16
	s_delay_alu instid0(VALU_DEP_1) | instskip(SKIP_1) | instid1(VALU_DEP_2)
	v_fmac_f32_e32 v6, v4, v4
	v_add_f32_e32 v4, v13, v17
	v_dual_fmac_f32 v6, v5, v5 :: v_dual_add_f32 v5, v14, v18
	s_delay_alu instid0(VALU_DEP_1) | instskip(NEXT) | instid1(VALU_DEP_1)
	v_fmac_f32_e32 v6, v4, v4
	v_fmac_f32_e32 v6, v5, v5
	v_cmpx_gt_u32_e64 s8, v1
	s_xor_b32 s23, exec_lo, s23
	s_cbranch_execz .LBB34_2
; %bb.8:                                ;   in Loop: Header=BB34_5 Depth=1
	v_lshlrev_b64 v[4:5], 4, v[1:2]
	s_delay_alu instid0(VALU_DEP_1) | instskip(NEXT) | instid1(VALU_DEP_2)
	v_add_co_u32 v11, vcc_lo, s28, v4
	v_add_co_ci_u32_e32 v12, vcc_lo, s29, v5, vcc_lo
	v_add_co_u32 v4, vcc_lo, s30, v4
	v_add_co_ci_u32_e32 v5, vcc_lo, s31, v5, vcc_lo
	global_load_b128 v[11:14], v[11:12], off
	global_load_b128 v[15:18], v[4:5], off
	s_waitcnt vmcnt(0)
	v_dual_add_f32 v1, v11, v15 :: v_dual_add_f32 v4, v12, v16
	s_delay_alu instid0(VALU_DEP_1) | instskip(SKIP_2) | instid1(VALU_DEP_3)
	v_fmac_f32_e32 v6, v1, v1
	v_add3_u32 v1, v10, v7, v3
	v_add_f32_e32 v3, v14, v18
	v_dual_add_f32 v5, v13, v17 :: v_dual_fmac_f32 v6, v4, v4
	s_delay_alu instid0(VALU_DEP_3) | instskip(NEXT) | instid1(VALU_DEP_2)
	v_cmp_le_u32_e32 vcc_lo, s8, v1
	v_fmac_f32_e32 v6, v5, v5
	s_or_not1_b32 s24, vcc_lo, exec_lo
	s_delay_alu instid0(VALU_DEP_1)
	v_fmac_f32_e32 v6, v3, v3
	s_branch .LBB34_2
.LBB34_9:
	s_or_b32 exec_lo, exec_lo, s3
.LBB34_10:
	s_delay_alu instid0(SALU_CYCLE_1) | instskip(SKIP_3) | instid1(VALU_DEP_2)
	s_or_b32 exec_lo, exec_lo, s9
	v_mbcnt_lo_u32_b32 v1, -1, 0
	s_load_b32 s3, s[20:21], 0xc
	v_and_b32_e32 v7, 0x3e0, v0
	v_cmp_ne_u32_e32 vcc_lo, 31, v1
	v_add_nc_u32_e32 v3, 1, v1
	v_add_co_ci_u32_e32 v2, vcc_lo, 0, v1, vcc_lo
	v_cmp_gt_u32_e32 vcc_lo, 30, v1
	s_delay_alu instid0(VALU_DEP_2)
	v_lshlrev_b32_e32 v2, 2, v2
	v_cndmask_b32_e64 v5, 0, 1, vcc_lo
	ds_bpermute_b32 v4, v2, v6
	s_waitcnt lgkmcnt(0)
	s_and_b32 s33, s3, 0xffff
	v_lshlrev_b32_e32 v5, 1, v5
	v_sub_nc_u32_e64 v12, s33, v7 clamp
	s_mov_b32 s3, exec_lo
	s_delay_alu instid0(VALU_DEP_1) | instskip(SKIP_2) | instid1(VALU_DEP_2)
	v_cmp_lt_u32_e32 vcc_lo, v3, v12
	v_add_f32_e32 v7, v6, v4
	v_add_lshl_u32 v4, v5, v1, 2
	v_cndmask_b32_e32 v7, v6, v7, vcc_lo
	v_cmp_gt_u32_e32 vcc_lo, 28, v1
	v_cndmask_b32_e64 v5, 0, 1, vcc_lo
	s_delay_alu instid0(VALU_DEP_1) | instskip(SKIP_2) | instid1(VALU_DEP_1)
	v_lshlrev_b32_e32 v8, 2, v5
	ds_bpermute_b32 v6, v4, v7
	v_add_nc_u32_e32 v5, 2, v1
	v_cmp_lt_u32_e32 vcc_lo, v5, v12
	s_waitcnt lgkmcnt(0)
	v_add_f32_e32 v9, v7, v6
	v_add_lshl_u32 v6, v8, v1, 2
	s_delay_alu instid0(VALU_DEP_2) | instskip(SKIP_3) | instid1(VALU_DEP_1)
	v_cndmask_b32_e32 v9, v7, v9, vcc_lo
	v_cmp_gt_u32_e32 vcc_lo, 24, v1
	ds_bpermute_b32 v8, v6, v9
	v_cndmask_b32_e64 v7, 0, 1, vcc_lo
	v_lshlrev_b32_e32 v10, 3, v7
	v_add_nc_u32_e32 v7, 4, v1
	s_delay_alu instid0(VALU_DEP_1) | instskip(SKIP_3) | instid1(VALU_DEP_2)
	v_cmp_lt_u32_e32 vcc_lo, v7, v12
	s_waitcnt lgkmcnt(0)
	v_add_f32_e32 v11, v9, v8
	v_add_lshl_u32 v8, v10, v1, 2
	v_cndmask_b32_e32 v11, v9, v11, vcc_lo
	v_cmp_gt_u32_e32 vcc_lo, 16, v1
	ds_bpermute_b32 v10, v8, v11
	v_cndmask_b32_e64 v9, 0, 1, vcc_lo
	s_delay_alu instid0(VALU_DEP_1) | instskip(SKIP_1) | instid1(VALU_DEP_1)
	v_lshlrev_b32_e32 v13, 4, v9
	v_add_nc_u32_e32 v9, 8, v1
	v_cmp_lt_u32_e32 vcc_lo, v9, v12
	s_waitcnt lgkmcnt(0)
	v_add_f32_e32 v14, v11, v10
	v_add_lshl_u32 v10, v13, v1, 2
	s_delay_alu instid0(VALU_DEP_2)
	v_cndmask_b32_e32 v13, v11, v14, vcc_lo
	v_add_nc_u32_e32 v11, 16, v1
	ds_bpermute_b32 v14, v10, v13
	v_cmp_lt_u32_e32 vcc_lo, v11, v12
	s_waitcnt lgkmcnt(0)
	v_add_f32_e32 v14, v13, v14
	s_delay_alu instid0(VALU_DEP_1)
	v_cndmask_b32_e32 v12, v13, v14, vcc_lo
	v_cmpx_eq_u32_e32 0, v1
	s_cbranch_execz .LBB34_12
; %bb.11:
	v_lshrrev_b32_e32 v13, 3, v0
	s_delay_alu instid0(VALU_DEP_1)
	v_and_b32_e32 v13, 0x7c, v13
	ds_store_b32 v13, v12 offset:4096
.LBB34_12:
	s_or_b32 exec_lo, exec_lo, s3
	s_delay_alu instid0(SALU_CYCLE_1)
	s_mov_b32 s3, exec_lo
	s_waitcnt lgkmcnt(0)
	s_barrier
	buffer_gl0_inv
	v_cmpx_gt_u32_e32 32, v0
	s_cbranch_execz .LBB34_14
; %bb.13:
	v_lshlrev_b32_e32 v1, 2, v1
	s_add_i32 s9, s33, 31
	s_delay_alu instid0(SALU_CYCLE_1) | instskip(NEXT) | instid1(SALU_CYCLE_1)
	s_lshr_b32 s9, s9, 5
	v_cmp_gt_u32_e32 vcc_lo, s9, v3
	ds_load_b32 v1, v1 offset:4096
	s_waitcnt lgkmcnt(0)
	ds_bpermute_b32 v2, v2, v1
	s_waitcnt lgkmcnt(0)
	v_add_f32_e32 v2, v1, v2
	s_delay_alu instid0(VALU_DEP_1) | instskip(SKIP_4) | instid1(VALU_DEP_1)
	v_cndmask_b32_e32 v1, v1, v2, vcc_lo
	v_cmp_gt_u32_e32 vcc_lo, s9, v5
	ds_bpermute_b32 v2, v4, v1
	s_waitcnt lgkmcnt(0)
	v_add_f32_e32 v2, v1, v2
	v_cndmask_b32_e32 v1, v1, v2, vcc_lo
	v_cmp_gt_u32_e32 vcc_lo, s9, v7
	ds_bpermute_b32 v2, v6, v1
	s_waitcnt lgkmcnt(0)
	v_add_f32_e32 v2, v1, v2
	s_delay_alu instid0(VALU_DEP_1) | instskip(SKIP_4) | instid1(VALU_DEP_1)
	v_cndmask_b32_e32 v1, v1, v2, vcc_lo
	v_cmp_gt_u32_e32 vcc_lo, s9, v9
	ds_bpermute_b32 v2, v8, v1
	s_waitcnt lgkmcnt(0)
	v_add_f32_e32 v2, v1, v2
	v_cndmask_b32_e32 v1, v1, v2, vcc_lo
	v_cmp_gt_u32_e32 vcc_lo, s9, v11
	ds_bpermute_b32 v2, v10, v1
	s_waitcnt lgkmcnt(0)
	v_add_f32_e32 v2, v1, v2
	s_delay_alu instid0(VALU_DEP_1)
	v_cndmask_b32_e32 v12, v1, v2, vcc_lo
.LBB34_14:
	s_or_b32 exec_lo, exec_lo, s3
	s_delay_alu instid0(SALU_CYCLE_1)
	s_mov_b32 s3, exec_lo
	v_cmpx_eq_u32_e32 0, v0
	s_cbranch_execz .LBB34_16
; %bb.15:
	v_cvt_f32_i32_e32 v1, s18
	s_delay_alu instid0(VALU_DEP_1) | instskip(SKIP_1) | instid1(VALU_DEP_2)
	v_div_scale_f32 v2, null, v1, v1, v12
	v_div_scale_f32 v5, vcc_lo, v12, v1, v12
	v_rcp_f32_e32 v3, v2
	s_waitcnt_depctr 0xfff
	v_fma_f32 v4, -v2, v3, 1.0
	s_delay_alu instid0(VALU_DEP_1) | instskip(NEXT) | instid1(VALU_DEP_1)
	v_fmac_f32_e32 v3, v4, v3
	v_mul_f32_e32 v4, v5, v3
	s_delay_alu instid0(VALU_DEP_1) | instskip(NEXT) | instid1(VALU_DEP_1)
	v_fma_f32 v6, -v2, v4, v5
	v_fmac_f32_e32 v4, v6, v3
	s_delay_alu instid0(VALU_DEP_1) | instskip(NEXT) | instid1(VALU_DEP_1)
	v_fma_f32 v2, -v2, v4, v5
	v_div_fmas_f32 v2, v2, v3, v4
	s_delay_alu instid0(VALU_DEP_1) | instskip(NEXT) | instid1(VALU_DEP_1)
	v_div_fixup_f32 v1, v2, v1, v12
	v_add_f32_e32 v1, s16, v1
	s_delay_alu instid0(VALU_DEP_1) | instskip(SKIP_1) | instid1(VALU_DEP_2)
	v_mul_f32_e32 v2, 0x4b800000, v1
	v_cmp_gt_f32_e32 vcc_lo, 0x800000, v1
	v_cndmask_b32_e32 v1, v1, v2, vcc_lo
	s_delay_alu instid0(VALU_DEP_1) | instskip(SKIP_2) | instid1(VALU_DEP_1)
	v_rsq_f32_e32 v1, v1
	s_waitcnt_depctr 0xfff
	v_mul_f32_e32 v2, 0x45800000, v1
	v_dual_cndmask_b32 v1, v1, v2 :: v_dual_mov_b32 v2, 0
	ds_store_b32 v2, v1 offset:4224
.LBB34_16:
	s_or_b32 exec_lo, exec_lo, s3
	s_ashr_i32 s3, s18, 31
	s_waitcnt lgkmcnt(0)
	s_lshr_b32 s3, s3, 26
	s_barrier
	s_add_i32 s3, s18, s3
	buffer_gl0_inv
	s_ashr_i32 s16, s3, 6
	s_ashr_i32 s3, s3, 31
	s_abs_i32 s9, s16
	s_delay_alu instid0(SALU_CYCLE_1) | instskip(SKIP_1) | instid1(VALU_DEP_1)
	v_cvt_f32_u32_e32 v1, s9
	s_sub_i32 s17, 0, s9
	v_rcp_iflag_f32_e32 v1, v1
	s_waitcnt_depctr 0xfff
	v_mul_f32_e32 v1, 0x4f7ffffe, v1
	s_delay_alu instid0(VALU_DEP_1) | instskip(NEXT) | instid1(VALU_DEP_1)
	v_cvt_u32_f32_e32 v1, v1
	v_readfirstlane_b32 s14, v1
	s_delay_alu instid0(VALU_DEP_1) | instskip(NEXT) | instid1(SALU_CYCLE_1)
	s_mul_i32 s17, s17, s14
	s_mul_hi_u32 s17, s14, s17
	s_delay_alu instid0(SALU_CYCLE_1) | instskip(NEXT) | instid1(SALU_CYCLE_1)
	s_add_i32 s14, s14, s17
	s_mul_hi_u32 s14, s33, s14
	s_delay_alu instid0(SALU_CYCLE_1) | instskip(SKIP_2) | instid1(SALU_CYCLE_1)
	s_mul_i32 s17, s14, s9
	s_add_i32 s20, s14, 1
	s_sub_i32 s17, s33, s17
	s_sub_i32 s21, s17, s9
	s_cmp_ge_u32 s17, s9
	s_cselect_b32 s14, s20, s14
	s_cselect_b32 s17, s21, s17
	s_add_i32 s20, s14, 1
	s_cmp_ge_u32 s17, s9
	s_cselect_b32 s9, s20, s14
	s_delay_alu instid0(SALU_CYCLE_1) | instskip(NEXT) | instid1(SALU_CYCLE_1)
	s_xor_b32 s9, s9, s3
	s_sub_i32 s20, s9, s3
	s_delay_alu instid0(SALU_CYCLE_1) | instskip(SKIP_3) | instid1(VALU_DEP_1)
	s_abs_i32 s3, s20
	s_ashr_i32 s21, s20, 31
	v_cvt_f32_u32_e32 v1, s3
	s_sub_i32 s9, 0, s3
	v_rcp_iflag_f32_e32 v1, v1
	s_waitcnt_depctr 0xfff
	v_mul_f32_e32 v1, 0x4f7ffffe, v1
	s_delay_alu instid0(VALU_DEP_1) | instskip(NEXT) | instid1(VALU_DEP_1)
	v_cvt_u32_f32_e32 v1, v1
	v_mul_lo_u32 v2, s9, v1
	s_ashr_i32 s9, s8, 31
	s_delay_alu instid0(VALU_DEP_1) | instskip(NEXT) | instid1(VALU_DEP_1)
	v_mul_hi_u32 v2, v1, v2
	v_add_nc_u32_e32 v1, v1, v2
	s_delay_alu instid0(VALU_DEP_1) | instskip(NEXT) | instid1(VALU_DEP_1)
	v_mul_hi_u32 v1, v0, v1
	v_mul_lo_u32 v2, v1, s3
	v_add_nc_u32_e32 v3, 1, v1
	s_delay_alu instid0(VALU_DEP_2) | instskip(NEXT) | instid1(VALU_DEP_1)
	v_sub_nc_u32_e32 v2, v0, v2
	v_subrev_nc_u32_e32 v4, s3, v2
	v_cmp_le_u32_e32 vcc_lo, s3, v2
	s_delay_alu instid0(VALU_DEP_2) | instskip(NEXT) | instid1(VALU_DEP_1)
	v_dual_cndmask_b32 v1, v1, v3 :: v_dual_cndmask_b32 v2, v2, v4
	v_dual_mov_b32 v4, 0 :: v_dual_add_nc_u32 v3, 1, v1
	s_delay_alu instid0(VALU_DEP_2) | instskip(SKIP_2) | instid1(VALU_DEP_1)
	v_cmp_le_u32_e32 vcc_lo, s3, v2
	ds_load_b32 v28, v4 offset:4224
	v_cndmask_b32_e32 v1, v1, v3, vcc_lo
	v_xor_b32_e32 v1, s21, v1
	s_delay_alu instid0(VALU_DEP_1) | instskip(NEXT) | instid1(VALU_DEP_1)
	v_subrev_nc_u32_e32 v1, s21, v1
	v_ashrrev_i32_e32 v2, 31, v1
	v_mul_lo_u32 v3, v1, s20
	s_delay_alu instid0(VALU_DEP_2) | instskip(NEXT) | instid1(VALU_DEP_2)
	v_lshlrev_b64 v[7:8], 4, v[1:2]
	v_sub_nc_u32_e32 v3, v0, v3
	s_delay_alu instid0(VALU_DEP_2) | instskip(NEXT) | instid1(VALU_DEP_3)
	v_add_co_u32 v5, vcc_lo, v7, 16
	v_add_co_ci_u32_e32 v6, vcc_lo, 0, v8, vcc_lo
	s_delay_alu instid0(VALU_DEP_1) | instskip(SKIP_4) | instid1(VALU_DEP_3)
	v_cmp_gt_i64_e32 vcc_lo, s[8:9], v[5:6]
	v_cndmask_b32_e32 v6, s9, v6, vcc_lo
	v_cndmask_b32_e32 v5, s8, v5, vcc_lo
	v_add_co_u32 v7, vcc_lo, v7, v3
	v_add_co_ci_u32_e32 v8, vcc_lo, 0, v8, vcc_lo
	v_ashrrev_i32_e32 v10, 31, v5
	v_mov_b32_e32 v9, v5
	s_mov_b32 s9, exec_lo
	s_delay_alu instid0(VALU_DEP_1)
	v_cmpx_lt_i64_e64 v[7:8], v[9:10]
	s_cbranch_execz .LBB34_26
; %bb.17:
	v_lshlrev_b64 v[11:12], 8, v[1:2]
	v_lshlrev_b64 v[13:14], 4, v[3:4]
	v_mov_b32_e32 v4, 0
	s_lshl_b64 s[22:23], s[20:21], 6
	s_mul_hi_i32 s14, s20, 3
	s_mul_i32 s17, s20, 3
	s_lshl_b64 s[24:25], s[20:21], 1
	v_add_co_u32 v21, vcc_lo, v11, v13
	v_add_co_ci_u32_e32 v22, vcc_lo, v12, v14, vcc_lo
	v_dual_mov_b32 v12, v8 :: v_dual_mov_b32 v11, v7
	s_lshl_b64 s[26:27], s[20:21], 4
	s_mov_b32 s34, 0
                                        ; implicit-def: $sgpr35
	s_branch .LBB34_21
.LBB34_18:                              ;   in Loop: Header=BB34_21 Depth=1
	s_or_b32 exec_lo, exec_lo, s38
	s_delay_alu instid0(SALU_CYCLE_1)
	s_or_not1_b32 s3, s3, exec_lo
.LBB34_19:                              ;   in Loop: Header=BB34_21 Depth=1
	s_or_b32 exec_lo, exec_lo, s37
	s_delay_alu instid0(SALU_CYCLE_1) | instskip(SKIP_1) | instid1(SALU_CYCLE_1)
	s_and_not1_b32 s35, s35, exec_lo
	s_and_b32 s3, s3, exec_lo
	s_or_b32 s35, s35, s3
.LBB34_20:                              ;   in Loop: Header=BB34_21 Depth=1
	s_or_b32 exec_lo, exec_lo, s36
	s_delay_alu instid0(SALU_CYCLE_1) | instskip(NEXT) | instid1(SALU_CYCLE_1)
	s_and_b32 s3, exec_lo, s35
	s_or_b32 s34, s3, s34
	s_delay_alu instid0(SALU_CYCLE_1)
	s_and_not1_b32 exec_lo, exec_lo, s34
	s_cbranch_execz .LBB34_25
.LBB34_21:                              ; =>This Inner Loop Header: Depth=1
	v_add_co_u32 v15, vcc_lo, s28, v21
	v_add_co_ci_u32_e32 v16, vcc_lo, s29, v22, vcc_lo
	v_add_co_u32 v19, vcc_lo, s30, v21
	v_add_co_ci_u32_e32 v20, vcc_lo, s31, v22, vcc_lo
	v_add_co_u32 v17, vcc_lo, s10, v21
	global_load_b128 v[23:26], v[15:16], off
	global_load_b128 v[29:32], v[19:20], off
	v_add_co_ci_u32_e32 v18, vcc_lo, s11, v22, vcc_lo
	s_or_b32 s35, s35, exec_lo
	s_mov_b32 s36, exec_lo
	global_load_b128 v[33:36], v[17:18], off
	s_waitcnt vmcnt(1)
	v_dual_add_f32 v13, v23, v29 :: v_dual_add_f32 v14, v24, v30
	v_dual_add_f32 v23, v25, v31 :: v_dual_add_f32 v24, v26, v32
	s_waitcnt lgkmcnt(0)
	s_delay_alu instid0(VALU_DEP_2) | instskip(NEXT) | instid1(VALU_DEP_3)
	v_mul_f32_e32 v14, v28, v14
	v_mul_f32_e32 v13, v28, v13
	s_delay_alu instid0(VALU_DEP_3) | instskip(SKIP_2) | instid1(VALU_DEP_3)
	v_mul_f32_e32 v23, v28, v23
	v_mul_f32_e32 v24, v28, v24
	s_waitcnt vmcnt(0)
	v_dual_mul_f32 v26, v34, v14 :: v_dual_mul_f32 v25, v33, v13
	s_delay_alu instid0(VALU_DEP_2) | instskip(SKIP_1) | instid1(VALU_DEP_3)
	v_dual_mul_f32 v23, v35, v23 :: v_dual_mul_f32 v24, v36, v24
	v_add_co_u32 v13, vcc_lo, v11, s20
	v_max3_f32 v4, v4, |v25|, |v26|
	v_add_co_ci_u32_e32 v14, vcc_lo, s21, v12, vcc_lo
	s_delay_alu instid0(VALU_DEP_2) | instskip(NEXT) | instid1(VALU_DEP_2)
	v_max3_f32 v4, v4, |v23|, |v24|
	v_cmpx_lt_i64_e64 v[13:14], v[9:10]
	s_cbranch_execz .LBB34_20
; %bb.22:                               ;   in Loop: Header=BB34_21 Depth=1
	v_add_co_u32 v15, vcc_lo, v15, s26
	v_add_co_ci_u32_e32 v16, vcc_lo, s27, v16, vcc_lo
	v_add_co_u32 v19, vcc_lo, v19, s26
	v_add_co_ci_u32_e32 v20, vcc_lo, s27, v20, vcc_lo
	v_add_co_u32 v17, vcc_lo, v17, s26
	global_load_b128 v[23:26], v[15:16], off
	global_load_b128 v[29:32], v[19:20], off
	v_add_co_ci_u32_e32 v18, vcc_lo, s27, v18, vcc_lo
	s_mov_b32 s3, -1
	s_mov_b32 s37, exec_lo
	global_load_b128 v[33:36], v[17:18], off
	s_waitcnt vmcnt(1)
	v_dual_add_f32 v23, v23, v29 :: v_dual_add_f32 v24, v24, v30
	v_dual_add_f32 v25, v25, v31 :: v_dual_add_f32 v26, v26, v32
	s_delay_alu instid0(VALU_DEP_2) | instskip(NEXT) | instid1(VALU_DEP_3)
	v_mul_f32_e32 v23, v28, v23
	v_mul_f32_e32 v24, v28, v24
	s_delay_alu instid0(VALU_DEP_3) | instskip(SKIP_1) | instid1(VALU_DEP_3)
	v_mul_f32_e32 v25, v28, v25
	s_waitcnt vmcnt(0)
	v_dual_mul_f32 v27, v33, v23 :: v_dual_mul_f32 v26, v28, v26
	s_delay_alu instid0(VALU_DEP_3) | instskip(NEXT) | instid1(VALU_DEP_3)
	v_mul_f32_e32 v29, v34, v24
	v_mul_f32_e32 v25, v35, v25
	v_add_co_u32 v23, vcc_lo, s24, v11
	s_delay_alu instid0(VALU_DEP_4) | instskip(NEXT) | instid1(VALU_DEP_4)
	v_mul_f32_e32 v26, v36, v26
	v_max3_f32 v4, v4, |v27|, |v29|
	v_add_co_ci_u32_e32 v24, vcc_lo, s25, v12, vcc_lo
	s_delay_alu instid0(VALU_DEP_2) | instskip(NEXT) | instid1(VALU_DEP_2)
	v_max3_f32 v4, v4, |v25|, |v26|
	v_cmpx_lt_i64_e64 v[23:24], v[9:10]
	s_cbranch_execz .LBB34_19
; %bb.23:                               ;   in Loop: Header=BB34_21 Depth=1
	v_add_co_u32 v15, vcc_lo, v15, s26
	v_add_co_ci_u32_e32 v16, vcc_lo, s27, v16, vcc_lo
	v_add_co_u32 v19, vcc_lo, v19, s26
	v_add_co_ci_u32_e32 v20, vcc_lo, s27, v20, vcc_lo
	v_add_co_u32 v17, vcc_lo, v17, s26
	global_load_b128 v[23:26], v[15:16], off
	global_load_b128 v[29:32], v[19:20], off
	v_add_co_ci_u32_e32 v18, vcc_lo, s27, v18, vcc_lo
	v_add_co_u32 v11, vcc_lo, s17, v11
	v_add_co_ci_u32_e32 v12, vcc_lo, s14, v12, vcc_lo
	global_load_b128 v[33:36], v[17:18], off
	v_cmp_lt_i64_e32 vcc_lo, v[11:12], v[9:10]
                                        ; implicit-def: $vgpr11_vgpr12
	s_waitcnt vmcnt(1)
	v_dual_add_f32 v23, v23, v29 :: v_dual_add_f32 v24, v24, v30
	v_dual_add_f32 v25, v25, v31 :: v_dual_add_f32 v26, v26, v32
	s_delay_alu instid0(VALU_DEP_2) | instskip(NEXT) | instid1(VALU_DEP_3)
	v_mul_f32_e32 v24, v28, v24
	v_mul_f32_e32 v23, v28, v23
	s_delay_alu instid0(VALU_DEP_3) | instskip(NEXT) | instid1(VALU_DEP_4)
	v_mul_f32_e32 v25, v28, v25
	v_mul_f32_e32 v26, v28, v26
	s_waitcnt vmcnt(0)
	s_delay_alu instid0(VALU_DEP_3) | instskip(NEXT) | instid1(VALU_DEP_3)
	v_dual_mul_f32 v24, v34, v24 :: v_dual_mul_f32 v23, v33, v23
	v_mul_f32_e32 v25, v35, v25
	s_delay_alu instid0(VALU_DEP_2) | instskip(SKIP_1) | instid1(VALU_DEP_1)
	v_max3_f32 v4, v4, |v23|, |v24|
	v_mul_f32_e32 v23, v36, v26
	v_max3_f32 v4, v4, |v25|, |v23|
	s_and_saveexec_b32 s38, vcc_lo
	s_delay_alu instid0(SALU_CYCLE_1)
	s_xor_b32 s38, exec_lo, s38
	s_cbranch_execz .LBB34_18
; %bb.24:                               ;   in Loop: Header=BB34_21 Depth=1
	v_add_co_u32 v11, vcc_lo, v15, s26
	v_add_co_ci_u32_e32 v12, vcc_lo, s27, v16, vcc_lo
	v_add_co_u32 v15, vcc_lo, v19, s26
	v_add_co_ci_u32_e32 v16, vcc_lo, s27, v20, vcc_lo
	s_add_u32 s3, s20, s20
	global_load_b128 v[23:26], v[11:12], off
	global_load_b128 v[29:32], v[15:16], off
	v_add_co_u32 v11, vcc_lo, v17, s26
	v_add_co_ci_u32_e32 v12, vcc_lo, s27, v18, vcc_lo
	s_addc_u32 s39, s21, s21
	s_add_u32 s3, s3, s20
	s_addc_u32 s39, s39, s21
	global_load_b128 v[15:18], v[11:12], off
	s_waitcnt vmcnt(1)
	v_dual_add_f32 v11, v23, v29 :: v_dual_add_f32 v12, v24, v30
	v_dual_add_f32 v19, v25, v31 :: v_dual_add_f32 v20, v26, v32
	s_delay_alu instid0(VALU_DEP_1) | instskip(NEXT) | instid1(VALU_DEP_2)
	v_mul_f32_e32 v19, v28, v19
	v_mul_f32_e32 v20, v28, v20
	s_delay_alu instid0(VALU_DEP_4) | instskip(SKIP_1) | instid1(VALU_DEP_1)
	v_mul_f32_e32 v11, v28, v11
	s_waitcnt vmcnt(0)
	v_dual_mul_f32 v12, v28, v12 :: v_dual_mul_f32 v15, v15, v11
	s_delay_alu instid0(VALU_DEP_1) | instskip(SKIP_3) | instid1(VALU_DEP_4)
	v_mul_f32_e32 v16, v16, v12
	v_add_co_u32 v11, vcc_lo, s3, v13
	v_add_co_ci_u32_e32 v12, vcc_lo, s39, v14, vcc_lo
	v_dual_mul_f32 v13, v17, v19 :: v_dual_mul_f32 v14, v18, v20
	v_max3_f32 v4, v4, |v15|, |v16|
	s_delay_alu instid0(VALU_DEP_3) | instskip(SKIP_1) | instid1(VALU_DEP_1)
	v_cmp_ge_i64_e32 vcc_lo, v[11:12], v[9:10]
	v_add_co_u32 v21, s3, v21, s22
	v_add_co_ci_u32_e64 v22, s3, s23, v22, s3
	s_delay_alu instid0(VALU_DEP_4)
	v_max3_f32 v4, v4, |v13|, |v14|
	s_or_not1_b32 s3, vcc_lo, exec_lo
	s_branch .LBB34_18
.LBB34_25:
	s_or_b32 exec_lo, exec_lo, s34
.LBB34_26:
	s_delay_alu instid0(SALU_CYCLE_1)
	s_or_b32 exec_lo, exec_lo, s9
	s_lshr_b32 s9, s33, 5
	v_lshlrev_b32_e32 v29, 2, v0
	v_cvt_f32_u32_e32 v9, s9
	s_sub_i32 s14, 0, s9
	s_add_i32 s17, s16, s9
	s_delay_alu instid0(SALU_CYCLE_1) | instskip(NEXT) | instid1(VALU_DEP_1)
	s_add_i32 s22, s17, -1
	v_rcp_iflag_f32_e32 v9, v9
	s_abs_i32 s23, s22
	s_ashr_i32 s17, s16, 31
	s_ashr_i32 s22, s22, 31
	ds_store_b32 v29, v4
	s_waitcnt lgkmcnt(0)
	s_barrier
	buffer_gl0_inv
	v_mul_f32_e32 v9, 0x4f7ffffe, v9
	s_delay_alu instid0(VALU_DEP_1) | instskip(NEXT) | instid1(VALU_DEP_1)
	v_cvt_u32_f32_e32 v9, v9
	v_readfirstlane_b32 s3, v9
	s_delay_alu instid0(VALU_DEP_1) | instskip(NEXT) | instid1(SALU_CYCLE_1)
	s_mul_i32 s14, s14, s3
	s_mul_hi_u32 s14, s3, s14
	s_delay_alu instid0(SALU_CYCLE_1) | instskip(NEXT) | instid1(SALU_CYCLE_1)
	s_add_i32 s3, s3, s14
	s_mul_hi_u32 s3, s23, s3
	s_delay_alu instid0(SALU_CYCLE_1) | instskip(NEXT) | instid1(SALU_CYCLE_1)
	s_mul_i32 s14, s3, s9
	s_sub_i32 s14, s23, s14
	s_add_i32 s23, s3, 1
	s_sub_i32 s24, s14, s9
	s_cmp_ge_u32 s14, s9
	s_cselect_b32 s3, s23, s3
	s_cselect_b32 s14, s24, s14
	s_add_i32 s23, s3, 1
	s_cmp_ge_u32 s14, s9
	s_cselect_b32 s3, s23, s3
	s_delay_alu instid0(SALU_CYCLE_1) | instskip(NEXT) | instid1(SALU_CYCLE_1)
	s_xor_b32 s3, s3, s22
	s_sub_i32 s22, s3, s22
	s_delay_alu instid0(SALU_CYCLE_1) | instskip(NEXT) | instid1(SALU_CYCLE_1)
	s_ashr_i32 s23, s22, 31
	v_cmp_lt_i64_e64 s3, s[22:23], 1
	s_delay_alu instid0(VALU_DEP_1)
	s_and_b32 vcc_lo, exec_lo, s3
	s_cbranch_vccnz .LBB34_46
; %bb.27:
	v_lshrrev_b32_e32 v9, 5, v0
	v_and_b32_e32 v4, 31, v0
	s_mov_b64 s[24:25], 0
	s_mov_b64 s[26:27], src_shared_base
	s_delay_alu instid0(VALU_DEP_2) | instskip(NEXT) | instid1(VALU_DEP_2)
	v_mul_lo_u32 v19, s20, v9
	v_add_co_u32 v11, s3, v4, 16
	s_delay_alu instid0(VALU_DEP_1) | instskip(SKIP_1) | instid1(VALU_DEP_1)
	v_add_co_ci_u32_e64 v12, null, 0, 0, s3
	v_add_co_u32 v13, s3, v4, 8
	v_add_co_ci_u32_e64 v14, null, 0, 0, s3
	v_add_co_u32 v15, s3, v4, 4
	v_dual_mov_b32 v10, 0 :: v_dual_lshlrev_b32 v21, 2, v19
	v_lshlrev_b32_e32 v22, 2, v4
	v_add_co_ci_u32_e64 v16, null, 0, 0, s3
	v_add_co_u32 v17, s3, v4, 2
	s_delay_alu instid0(VALU_DEP_1) | instskip(SKIP_1) | instid1(VALU_DEP_1)
	v_add_co_ci_u32_e64 v18, null, 0, 0, s3
	v_add_co_u32 v19, s3, v4, 1
	v_add_co_ci_u32_e64 v20, null, 0, 0, s3
	v_add3_u32 v30, v21, v22, 0x80
	s_mul_i32 s3, s20, s9
	s_delay_alu instid0(SALU_CYCLE_1)
	s_lshl_b32 s14, s3, 2
	s_branch .LBB34_30
.LBB34_28:                              ;   in Loop: Header=BB34_30 Depth=1
	s_or_b32 exec_lo, exec_lo, s3
	v_mov_b32_e32 v22, s27
	flat_load_b32 v21, v[21:22] glc dlc
	s_waitcnt vmcnt(0)
.LBB34_29:                              ;   in Loop: Header=BB34_30 Depth=1
	s_or_b32 exec_lo, exec_lo, s26
	s_add_u32 s24, s24, 1
	v_add_nc_u32_e32 v30, s14, v30
	s_addc_u32 s25, s25, 0
	s_delay_alu instid0(SALU_CYCLE_1)
	s_cmp_eq_u64 s[24:25], s[22:23]
	s_cbranch_scc1 .LBB34_46
.LBB34_30:                              ; =>This Loop Header: Depth=1
                                        ;     Child Loop BB34_33 Depth 2
	s_waitcnt lgkmcnt(0)
	v_mad_u64_u32 v[21:22], null, s24, s9, v[9:10]
	s_mov_b32 s26, exec_lo
	s_delay_alu instid0(VALU_DEP_1) | instskip(NEXT) | instid1(VALU_DEP_1)
	v_mad_u64_u32 v[23:24], null, s25, s9, v[22:23]
	v_mov_b32_e32 v22, v23
	s_delay_alu instid0(VALU_DEP_1)
	v_cmpx_gt_i64_e64 s[16:17], v[21:22]
	s_cbranch_execz .LBB34_29
; %bb.31:                               ;   in Loop: Header=BB34_30 Depth=1
	v_mul_lo_u32 v24, v22, s20
	v_mul_lo_u32 v25, v21, s21
	v_mad_u64_u32 v[22:23], null, v21, s20, 0
	s_delay_alu instid0(VALU_DEP_1) | instskip(NEXT) | instid1(VALU_DEP_2)
	v_add3_u32 v23, v23, v25, v24
	v_add_co_u32 v24, vcc_lo, v22, s20
	v_add_co_u32 v31, s3, v22, v4
	s_delay_alu instid0(VALU_DEP_3) | instskip(SKIP_2) | instid1(VALU_DEP_2)
	v_add_co_ci_u32_e32 v25, vcc_lo, s21, v23, vcc_lo
	v_add_co_ci_u32_e64 v21, s3, 0, v23, s3
	s_mov_b32 s3, exec_lo
	v_cmp_gt_i64_e32 vcc_lo, s[18:19], v[24:25]
	v_cndmask_b32_e32 v25, s19, v25, vcc_lo
	v_cndmask_b32_e32 v24, s18, v24, vcc_lo
	v_add_co_u32 v26, vcc_lo, v31, 32
	v_add_co_ci_u32_e32 v27, vcc_lo, 0, v21, vcc_lo
	v_lshlrev_b32_e32 v21, 2, v31
	s_delay_alu instid0(VALU_DEP_2)
	v_cmpx_lt_i64_e64 v[26:27], v[24:25]
	s_cbranch_execz .LBB34_34
; %bb.32:                               ;   in Loop: Header=BB34_30 Depth=1
	ds_load_b32 v33, v21
	v_mov_b32_e32 v32, v30
	s_mov_b32 s34, 0
.LBB34_33:                              ;   Parent Loop BB34_30 Depth=1
                                        ; =>  This Inner Loop Header: Depth=2
	ds_load_b32 v34, v32
	v_add_co_u32 v26, vcc_lo, v26, 32
	v_add_co_ci_u32_e32 v27, vcc_lo, 0, v27, vcc_lo
	s_waitcnt lgkmcnt(1)
	v_dual_max_f32 v33, v33, v33 :: v_dual_add_nc_u32 v32, 0x80, v32
	s_delay_alu instid0(VALU_DEP_2) | instskip(SKIP_3) | instid1(VALU_DEP_1)
	v_cmp_ge_i64_e32 vcc_lo, v[26:27], v[24:25]
	s_or_b32 s34, vcc_lo, s34
	s_waitcnt lgkmcnt(0)
	v_max_f32_e32 v34, v34, v34
	v_max_f32_e32 v33, v33, v34
	ds_store_b32 v21, v33
	s_and_not1_b32 exec_lo, exec_lo, s34
	s_cbranch_execnz .LBB34_33
.LBB34_34:                              ;   in Loop: Header=BB34_30 Depth=1
	s_or_b32 exec_lo, exec_lo, s3
	v_sub_co_u32 v22, vcc_lo, v24, v22
	v_sub_co_ci_u32_e32 v23, vcc_lo, v25, v23, vcc_lo
	s_mov_b32 s3, exec_lo
	s_delay_alu instid0(VALU_DEP_1) | instskip(SKIP_1) | instid1(VALU_DEP_1)
	v_cmp_gt_i64_e32 vcc_lo, 32, v[22:23]
	v_dual_cndmask_b32 v24, 0, v23 :: v_dual_cndmask_b32 v23, 32, v22
	v_cmpx_lt_i64_e64 v[11:12], v[23:24]
	s_cbranch_execz .LBB34_36
; %bb.35:                               ;   in Loop: Header=BB34_30 Depth=1
	v_dual_mov_b32 v22, s27 :: v_dual_add_nc_u32 v25, 64, v21
	v_mov_b32_e32 v26, s27
	flat_load_b32 v27, v[21:22] glc dlc
	s_waitcnt vmcnt(0)
	flat_load_b32 v25, v[25:26] glc dlc
	s_waitcnt vmcnt(0) lgkmcnt(0)
	v_dual_max_f32 v26, v27, v27 :: v_dual_max_f32 v25, v25, v25
	s_delay_alu instid0(VALU_DEP_1)
	v_max_f32_e32 v25, v26, v25
	flat_store_b32 v[21:22], v25 dlc
	s_waitcnt_vscnt null, 0x0
.LBB34_36:                              ;   in Loop: Header=BB34_30 Depth=1
	s_or_b32 exec_lo, exec_lo, s3
	s_delay_alu instid0(SALU_CYCLE_1)
	s_mov_b32 s3, exec_lo
	v_cmpx_lt_i64_e64 v[13:14], v[23:24]
	s_cbranch_execz .LBB34_38
; %bb.37:                               ;   in Loop: Header=BB34_30 Depth=1
	v_dual_mov_b32 v22, s27 :: v_dual_add_nc_u32 v25, 32, v21
	v_mov_b32_e32 v26, s27
	flat_load_b32 v27, v[21:22] glc dlc
	s_waitcnt vmcnt(0)
	flat_load_b32 v25, v[25:26] glc dlc
	s_waitcnt vmcnt(0) lgkmcnt(0)
	v_dual_max_f32 v26, v27, v27 :: v_dual_max_f32 v25, v25, v25
	s_delay_alu instid0(VALU_DEP_1)
	v_max_f32_e32 v25, v26, v25
	flat_store_b32 v[21:22], v25 dlc
	s_waitcnt_vscnt null, 0x0
.LBB34_38:                              ;   in Loop: Header=BB34_30 Depth=1
	s_or_b32 exec_lo, exec_lo, s3
	s_delay_alu instid0(SALU_CYCLE_1)
	s_mov_b32 s3, exec_lo
	v_cmpx_ge_i64_e64 v[15:16], v[23:24]
	s_xor_b32 s3, exec_lo, s3
; %bb.39:                               ;   in Loop: Header=BB34_30 Depth=1
                                        ; implicit-def: $vgpr21
; %bb.40:                               ;   in Loop: Header=BB34_30 Depth=1
	s_delay_alu instid0(SALU_CYCLE_1)
	s_and_not1_saveexec_b32 s3, s3
	s_cbranch_execz .LBB34_42
; %bb.41:                               ;   in Loop: Header=BB34_30 Depth=1
	v_dual_mov_b32 v22, s27 :: v_dual_add_nc_u32 v25, 16, v21
	v_mov_b32_e32 v26, s27
	flat_load_b32 v27, v[21:22] glc dlc
	s_waitcnt vmcnt(0)
	flat_load_b32 v25, v[25:26] glc dlc
	s_waitcnt vmcnt(0) lgkmcnt(0)
	v_dual_max_f32 v26, v27, v27 :: v_dual_max_f32 v25, v25, v25
	s_delay_alu instid0(VALU_DEP_1)
	v_max_f32_e32 v25, v26, v25
	flat_store_b32 v[21:22], v25 dlc
	s_waitcnt_vscnt null, 0x0
.LBB34_42:                              ;   in Loop: Header=BB34_30 Depth=1
	s_or_b32 exec_lo, exec_lo, s3
	v_lshlrev_b32_e32 v21, 2, v31
	s_mov_b32 s3, exec_lo
	v_cmpx_lt_i64_e64 v[17:18], v[23:24]
	s_cbranch_execz .LBB34_44
; %bb.43:                               ;   in Loop: Header=BB34_30 Depth=1
	s_delay_alu instid0(VALU_DEP_2)
	v_dual_mov_b32 v22, s27 :: v_dual_add_nc_u32 v25, 8, v21
	v_mov_b32_e32 v26, s27
	flat_load_b32 v27, v[21:22] glc dlc
	s_waitcnt vmcnt(0)
	flat_load_b32 v25, v[25:26] glc dlc
	s_waitcnt vmcnt(0) lgkmcnt(0)
	v_dual_max_f32 v26, v27, v27 :: v_dual_max_f32 v25, v25, v25
	s_delay_alu instid0(VALU_DEP_1)
	v_max_f32_e32 v25, v26, v25
	flat_store_b32 v[21:22], v25 dlc
	s_waitcnt_vscnt null, 0x0
.LBB34_44:                              ;   in Loop: Header=BB34_30 Depth=1
	s_or_b32 exec_lo, exec_lo, s3
	s_delay_alu instid0(SALU_CYCLE_1)
	s_mov_b32 s3, exec_lo
	v_cmpx_lt_i64_e64 v[19:20], v[23:24]
	s_cbranch_execz .LBB34_28
; %bb.45:                               ;   in Loop: Header=BB34_30 Depth=1
	v_dual_mov_b32 v22, s27 :: v_dual_add_nc_u32 v23, 4, v21
	v_mov_b32_e32 v24, s27
	flat_load_b32 v25, v[21:22] glc dlc
	s_waitcnt vmcnt(0)
	flat_load_b32 v23, v[23:24] glc dlc
	s_waitcnt vmcnt(0) lgkmcnt(0)
	v_dual_max_f32 v24, v25, v25 :: v_dual_max_f32 v23, v23, v23
	s_delay_alu instid0(VALU_DEP_1)
	v_max_f32_e32 v23, v24, v23
	flat_store_b32 v[21:22], v23 dlc
	s_waitcnt_vscnt null, 0x0
	s_branch .LBB34_28
.LBB34_46:
	v_cmp_lt_i64_e32 vcc_lo, v[7:8], v[5:6]
	v_cmp_eq_u32_e64 s3, 0, v3
	s_mul_i32 s9, s17, s15
	s_mul_hi_u32 s17, s16, s15
	s_mul_i32 s14, s16, s15
	s_waitcnt lgkmcnt(0)
	s_and_b32 s18, s3, vcc_lo
	s_barrier
	buffer_gl0_inv
	s_and_saveexec_b32 s3, s18
	s_cbranch_execz .LBB34_50
; %bb.47:
	s_load_b64 s[0:1], s[0:1], 0x20
	ds_load_b32 v3, v29
	s_waitcnt lgkmcnt(0)
	s_cmp_eq_u64 s[0:1], 0
	s_cbranch_scc1 .LBB34_49
; %bb.48:
	s_load_b32 s0, s[0:1], 0x0
	v_max_f32_e32 v3, v3, v3
	s_waitcnt lgkmcnt(0)
	v_max_f32_e64 v4, s0, s0
	s_delay_alu instid0(VALU_DEP_1)
	v_min_f32_e32 v3, v3, v4
.LBB34_49:
	s_delay_alu instid0(VALU_DEP_1) | instskip(SKIP_2) | instid1(VALU_DEP_2)
	v_div_scale_f32 v4, null, 0x43600000, 0x43600000, v3
	v_div_scale_f32 v7, vcc_lo, v3, 0x43600000, v3
	s_add_i32 s15, s17, s9
	v_rcp_f32_e32 v5, v4
	v_lshlrev_b64 v[1:2], 2, v[1:2]
	s_lshl_b64 s[0:1], s[14:15], 2
	s_delay_alu instid0(SALU_CYCLE_1) | instskip(SKIP_3) | instid1(VALU_DEP_1)
	s_add_u32 s0, s6, s0
	s_addc_u32 s1, s7, s1
	s_waitcnt_depctr 0xfff
	v_fma_f32 v6, -v4, v5, 1.0
	v_fmac_f32_e32 v5, v6, v5
	s_delay_alu instid0(VALU_DEP_1) | instskip(NEXT) | instid1(VALU_DEP_1)
	v_mul_f32_e32 v6, v7, v5
	v_fma_f32 v8, -v4, v6, v7
	s_delay_alu instid0(VALU_DEP_1) | instskip(NEXT) | instid1(VALU_DEP_1)
	v_fmac_f32_e32 v6, v8, v5
	v_fma_f32 v4, -v4, v6, v7
	s_delay_alu instid0(VALU_DEP_1) | instskip(SKIP_2) | instid1(VALU_DEP_3)
	v_div_fmas_f32 v4, v4, v5, v6
	v_add_co_u32 v1, vcc_lo, s0, v1
	v_add_co_ci_u32_e32 v2, vcc_lo, s1, v2, vcc_lo
	v_div_fixup_f32 v3, v4, 0x43600000, v3
	s_delay_alu instid0(VALU_DEP_1)
	v_max_f32_e32 v3, 0x37124925, v3
	global_store_b32 v[1:2], v3, off
.LBB34_50:
	s_or_b32 exec_lo, exec_lo, s3
	s_waitcnt_vscnt null, 0x0
	s_barrier
	buffer_gl0_inv
	s_and_saveexec_b32 s0, s2
	s_cbranch_execz .LBB34_187
; %bb.51:
	s_add_u32 s2, s4, s12
	s_addc_u32 s3, s5, s13
	s_add_i32 s15, s17, s9
	v_mov_b32_e32 v1, 0
	s_lshl_b64 s[0:1], s[14:15], 2
	s_mul_i32 s4, s33, 3
	s_add_u32 s0, s6, s0
	s_addc_u32 s1, s7, s1
	s_lshl_b32 s5, s33, 1
	s_mov_b32 s6, 0
	s_mov_b32 s7, 0x43600000
	s_branch .LBB34_57
.LBB34_52:                              ;   in Loop: Header=BB34_57 Depth=1
	s_or_b32 exec_lo, exec_lo, s16
.LBB34_53:                              ;   in Loop: Header=BB34_57 Depth=1
	s_delay_alu instid0(SALU_CYCLE_1)
	s_or_b32 exec_lo, exec_lo, s14
	v_lshlrev_b32_e32 v6, 16, v4
	v_lshlrev_b64 v[4:5], 2, v[0:1]
	v_lshlrev_b32_e32 v7, 8, v11
	s_add_i32 s14, s33, s33
	v_and_b32_e32 v8, 0xff, v2
	v_add3_u32 v0, s14, s33, v10
	v_perm_b32 v6, v3, v6, 0x4020c0c
	v_and_b32_e32 v7, 0xff00, v7
	v_add_co_u32 v2, vcc_lo, s2, v4
	v_add_co_ci_u32_e32 v3, vcc_lo, s3, v5, vcc_lo
	v_cmp_le_u32_e32 vcc_lo, s8, v0
	s_delay_alu instid0(VALU_DEP_4)
	v_or3_b32 v4, v6, v7, v8
	s_or_not1_b32 s14, vcc_lo, exec_lo
	global_store_b32 v[2:3], v4, off
.LBB34_54:                              ;   in Loop: Header=BB34_57 Depth=1
	s_or_b32 exec_lo, exec_lo, s13
	s_delay_alu instid0(SALU_CYCLE_1)
	s_or_not1_b32 s13, s14, exec_lo
.LBB34_55:                              ;   in Loop: Header=BB34_57 Depth=1
	s_or_b32 exec_lo, exec_lo, s12
	s_delay_alu instid0(SALU_CYCLE_1)
	s_or_not1_b32 s12, s13, exec_lo
.LBB34_56:                              ;   in Loop: Header=BB34_57 Depth=1
	s_or_b32 exec_lo, exec_lo, s9
	s_delay_alu instid0(SALU_CYCLE_1) | instskip(NEXT) | instid1(SALU_CYCLE_1)
	s_and_b32 s9, exec_lo, s12
	s_or_b32 s6, s9, s6
	s_delay_alu instid0(SALU_CYCLE_1)
	s_and_not1_b32 exec_lo, exec_lo, s6
	s_cbranch_execz .LBB34_187
.LBB34_57:                              ; =>This Inner Loop Header: Depth=1
	v_lshlrev_b64 v[2:3], 4, v[0:1]
	s_mov_b32 s9, exec_lo
	s_delay_alu instid0(VALU_DEP_1) | instskip(NEXT) | instid1(VALU_DEP_2)
	v_add_co_u32 v4, vcc_lo, s28, v2
	v_add_co_ci_u32_e32 v5, vcc_lo, s29, v3, vcc_lo
	v_add_co_u32 v17, vcc_lo, s30, v2
	v_add_co_ci_u32_e32 v18, vcc_lo, s31, v3, vcc_lo
	v_add_co_u32 v2, vcc_lo, s10, v2
	global_load_b128 v[6:9], v[4:5], off
	global_load_b128 v[13:16], v[17:18], off
	v_lshrrev_b32_e32 v4, 2, v0
	v_add_co_ci_u32_e32 v3, vcc_lo, s11, v3, vcc_lo
	s_waitcnt vmcnt(0)
	s_delay_alu instid0(VALU_DEP_2) | instskip(SKIP_4) | instid1(VALU_DEP_2)
	v_dual_add_f32 v7, v7, v14 :: v_dual_and_b32 v10, 0xffffffc, v4
	global_load_b128 v[2:5], v[2:3], off
	global_load_b32 v11, v10, s[0:1]
	v_add_f32_e32 v6, v6, v13
	v_dual_add_f32 v8, v8, v15 :: v_dual_add_f32 v9, v9, v16
	v_mul_f32_e32 v10, v28, v6
	s_waitcnt vmcnt(1)
	s_delay_alu instid0(VALU_DEP_1) | instskip(SKIP_1) | instid1(VALU_DEP_1)
	v_mul_f32_e32 v2, v2, v10
	s_waitcnt vmcnt(0)
	v_div_scale_f32 v10, null, v11, v11, v2
	v_div_scale_f32 v19, vcc_lo, v2, v11, v2
	s_delay_alu instid0(VALU_DEP_2) | instskip(SKIP_2) | instid1(VALU_DEP_1)
	v_rcp_f32_e32 v12, v10
	s_waitcnt_depctr 0xfff
	v_fma_f32 v13, -v10, v12, 1.0
	v_fmac_f32_e32 v12, v13, v12
	s_delay_alu instid0(VALU_DEP_1) | instskip(SKIP_2) | instid1(VALU_DEP_1)
	v_mul_f32_e32 v13, v19, v12
	global_store_b128 v[17:18], v[6:9], off
	v_fma_f32 v20, -v10, v13, v19
	v_fmac_f32_e32 v13, v20, v12
	s_delay_alu instid0(VALU_DEP_1) | instskip(NEXT) | instid1(VALU_DEP_1)
	v_fma_f32 v10, -v10, v13, v19
	v_div_fmas_f32 v10, v10, v12, v13
	s_delay_alu instid0(VALU_DEP_1) | instskip(SKIP_1) | instid1(VALU_DEP_2)
	v_div_fixup_f32 v2, v10, v11, v2
	v_mov_b32_e32 v10, 0x80
	v_minmax_f32 v12, v2, s7, 0xc3600000
	v_mov_b32_e32 v2, 0x80
	s_delay_alu instid0(VALU_DEP_2) | instskip(NEXT) | instid1(VALU_DEP_1)
	v_and_b32_e32 v13, 0x7fffffff, v12
	v_cmpx_gt_u32_e32 0x43800000, v13
	s_cbranch_execz .LBB34_63
; %bb.58:                               ;   in Loop: Header=BB34_57 Depth=1
	s_mov_b32 s12, 0
	s_mov_b32 s13, exec_lo
                                        ; implicit-def: $vgpr6
	v_cmpx_lt_u32_e32 0x3bffffff, v13
	s_xor_b32 s13, exec_lo, s13
	s_cbranch_execnz .LBB34_154
; %bb.59:                               ;   in Loop: Header=BB34_57 Depth=1
	s_or_saveexec_b32 s13, s13
                                        ; implicit-def: $sgpr14
	s_delay_alu instid0(SALU_CYCLE_1)
	s_xor_b32 exec_lo, exec_lo, s13
	s_cbranch_execnz .LBB34_155
.LBB34_60:                              ;   in Loop: Header=BB34_57 Depth=1
	s_or_b32 exec_lo, exec_lo, s13
	v_mov_b32_e32 v10, s14
	s_and_saveexec_b32 s13, s12
.LBB34_61:                              ;   in Loop: Header=BB34_57 Depth=1
	v_lshrrev_b32_e32 v10, 24, v12
	s_delay_alu instid0(VALU_DEP_1)
	v_and_or_b32 v10, 0x80, v10, v6
.LBB34_62:                              ;   in Loop: Header=BB34_57 Depth=1
	s_or_b32 exec_lo, exec_lo, s13
.LBB34_63:                              ;   in Loop: Header=BB34_57 Depth=1
	s_delay_alu instid0(SALU_CYCLE_1) | instskip(SKIP_2) | instid1(VALU_DEP_1)
	s_or_b32 exec_lo, exec_lo, s9
	v_mul_f32_e32 v6, v28, v7
	s_mov_b32 s9, exec_lo
	v_mul_f32_e32 v3, v3, v6
	s_delay_alu instid0(VALU_DEP_1) | instskip(NEXT) | instid1(VALU_DEP_1)
	v_div_scale_f32 v6, null, v11, v11, v3
	v_rcp_f32_e32 v7, v6
	s_waitcnt_depctr 0xfff
	v_fma_f32 v12, -v6, v7, 1.0
	s_delay_alu instid0(VALU_DEP_1) | instskip(SKIP_1) | instid1(VALU_DEP_1)
	v_fmac_f32_e32 v7, v12, v7
	v_div_scale_f32 v12, vcc_lo, v3, v11, v3
	v_mul_f32_e32 v13, v12, v7
	s_delay_alu instid0(VALU_DEP_1) | instskip(NEXT) | instid1(VALU_DEP_1)
	v_fma_f32 v14, -v6, v13, v12
	v_fmac_f32_e32 v13, v14, v7
	s_delay_alu instid0(VALU_DEP_1) | instskip(NEXT) | instid1(VALU_DEP_1)
	v_fma_f32 v6, -v6, v13, v12
	v_div_fmas_f32 v6, v6, v7, v13
	s_delay_alu instid0(VALU_DEP_1) | instskip(NEXT) | instid1(VALU_DEP_1)
	v_div_fixup_f32 v3, v6, v11, v3
	v_minmax_f32 v3, v3, s7, 0xc3600000
	s_delay_alu instid0(VALU_DEP_1) | instskip(NEXT) | instid1(VALU_DEP_1)
	v_and_b32_e32 v6, 0x7fffffff, v3
	v_cmpx_gt_u32_e32 0x43800000, v6
	s_cbranch_execz .LBB34_69
; %bb.64:                               ;   in Loop: Header=BB34_57 Depth=1
	v_cmp_lt_u32_e32 vcc_lo, 0x3bffffff, v6
	s_mov_b32 s12, 0
                                        ; implicit-def: $vgpr6
	s_and_saveexec_b32 s13, vcc_lo
	s_delay_alu instid0(SALU_CYCLE_1)
	s_xor_b32 s13, exec_lo, s13
	s_cbranch_execnz .LBB34_156
; %bb.65:                               ;   in Loop: Header=BB34_57 Depth=1
	s_or_saveexec_b32 s13, s13
                                        ; implicit-def: $sgpr14
	s_delay_alu instid0(SALU_CYCLE_1)
	s_xor_b32 exec_lo, exec_lo, s13
	s_cbranch_execnz .LBB34_157
.LBB34_66:                              ;   in Loop: Header=BB34_57 Depth=1
	s_or_b32 exec_lo, exec_lo, s13
	v_mov_b32_e32 v2, s14
	s_and_saveexec_b32 s13, s12
.LBB34_67:                              ;   in Loop: Header=BB34_57 Depth=1
	v_lshrrev_b32_e32 v2, 24, v3
	s_delay_alu instid0(VALU_DEP_1)
	v_and_or_b32 v2, 0x80, v2, v6
.LBB34_68:                              ;   in Loop: Header=BB34_57 Depth=1
	s_or_b32 exec_lo, exec_lo, s13
.LBB34_69:                              ;   in Loop: Header=BB34_57 Depth=1
	s_delay_alu instid0(SALU_CYCLE_1) | instskip(SKIP_2) | instid1(VALU_DEP_1)
	s_or_b32 exec_lo, exec_lo, s9
	v_mul_f32_e32 v3, v28, v8
	s_mov_b32 s9, exec_lo
	v_mul_f32_e32 v3, v4, v3
	s_delay_alu instid0(VALU_DEP_1) | instskip(SKIP_1) | instid1(VALU_DEP_2)
	v_div_scale_f32 v4, null, v11, v11, v3
	v_div_scale_f32 v8, vcc_lo, v3, v11, v3
	v_rcp_f32_e32 v6, v4
	s_waitcnt_depctr 0xfff
	v_fma_f32 v7, -v4, v6, 1.0
	s_delay_alu instid0(VALU_DEP_1) | instskip(NEXT) | instid1(VALU_DEP_1)
	v_fmac_f32_e32 v6, v7, v6
	v_mul_f32_e32 v7, v8, v6
	s_delay_alu instid0(VALU_DEP_1) | instskip(NEXT) | instid1(VALU_DEP_1)
	v_fma_f32 v12, -v4, v7, v8
	v_fmac_f32_e32 v7, v12, v6
	s_delay_alu instid0(VALU_DEP_1) | instskip(NEXT) | instid1(VALU_DEP_1)
	v_fma_f32 v4, -v4, v7, v8
	v_div_fmas_f32 v4, v4, v6, v7
	s_delay_alu instid0(VALU_DEP_1) | instskip(SKIP_1) | instid1(VALU_DEP_2)
	v_div_fixup_f32 v3, v4, v11, v3
	v_mov_b32_e32 v4, 0x80
	v_minmax_f32 v6, v3, s7, 0xc3600000
	v_mov_b32_e32 v3, 0x80
	s_delay_alu instid0(VALU_DEP_2) | instskip(NEXT) | instid1(VALU_DEP_1)
	v_and_b32_e32 v7, 0x7fffffff, v6
	v_cmpx_gt_u32_e32 0x43800000, v7
	s_cbranch_execz .LBB34_75
; %bb.70:                               ;   in Loop: Header=BB34_57 Depth=1
	v_cmp_lt_u32_e32 vcc_lo, 0x3bffffff, v7
	s_mov_b32 s12, 0
                                        ; implicit-def: $vgpr7
	s_and_saveexec_b32 s13, vcc_lo
	s_delay_alu instid0(SALU_CYCLE_1)
	s_xor_b32 s13, exec_lo, s13
	s_cbranch_execnz .LBB34_158
; %bb.71:                               ;   in Loop: Header=BB34_57 Depth=1
	s_or_saveexec_b32 s13, s13
                                        ; implicit-def: $sgpr14
	s_delay_alu instid0(SALU_CYCLE_1)
	s_xor_b32 exec_lo, exec_lo, s13
	s_cbranch_execnz .LBB34_159
.LBB34_72:                              ;   in Loop: Header=BB34_57 Depth=1
	s_or_b32 exec_lo, exec_lo, s13
	v_mov_b32_e32 v4, s14
	s_and_saveexec_b32 s13, s12
.LBB34_73:                              ;   in Loop: Header=BB34_57 Depth=1
	v_lshrrev_b32_e32 v4, 24, v6
	s_delay_alu instid0(VALU_DEP_1)
	v_and_or_b32 v4, 0x80, v4, v7
.LBB34_74:                              ;   in Loop: Header=BB34_57 Depth=1
	s_or_b32 exec_lo, exec_lo, s13
.LBB34_75:                              ;   in Loop: Header=BB34_57 Depth=1
	s_delay_alu instid0(SALU_CYCLE_1) | instskip(SKIP_2) | instid1(VALU_DEP_1)
	s_or_b32 exec_lo, exec_lo, s9
	v_mul_f32_e32 v6, v28, v9
	s_mov_b32 s9, exec_lo
	v_mul_f32_e32 v5, v5, v6
	s_delay_alu instid0(VALU_DEP_1) | instskip(NEXT) | instid1(VALU_DEP_1)
	v_div_scale_f32 v6, null, v11, v11, v5
	v_rcp_f32_e32 v7, v6
	s_waitcnt_depctr 0xfff
	v_fma_f32 v8, -v6, v7, 1.0
	s_delay_alu instid0(VALU_DEP_1) | instskip(SKIP_1) | instid1(VALU_DEP_1)
	v_fmac_f32_e32 v7, v8, v7
	v_div_scale_f32 v8, vcc_lo, v5, v11, v5
	v_mul_f32_e32 v9, v8, v7
	s_delay_alu instid0(VALU_DEP_1) | instskip(NEXT) | instid1(VALU_DEP_1)
	v_fma_f32 v12, -v6, v9, v8
	v_fmac_f32_e32 v9, v12, v7
	s_delay_alu instid0(VALU_DEP_1) | instskip(NEXT) | instid1(VALU_DEP_1)
	v_fma_f32 v6, -v6, v9, v8
	v_div_fmas_f32 v6, v6, v7, v9
	s_delay_alu instid0(VALU_DEP_1) | instskip(NEXT) | instid1(VALU_DEP_1)
	v_div_fixup_f32 v5, v6, v11, v5
	v_minmax_f32 v5, v5, s7, 0xc3600000
	s_delay_alu instid0(VALU_DEP_1) | instskip(NEXT) | instid1(VALU_DEP_1)
	v_and_b32_e32 v6, 0x7fffffff, v5
	v_cmpx_gt_u32_e32 0x43800000, v6
	s_cbranch_execz .LBB34_81
; %bb.76:                               ;   in Loop: Header=BB34_57 Depth=1
	v_cmp_lt_u32_e32 vcc_lo, 0x3bffffff, v6
	s_mov_b32 s12, 0
                                        ; implicit-def: $vgpr6
	s_and_saveexec_b32 s13, vcc_lo
	s_delay_alu instid0(SALU_CYCLE_1)
	s_xor_b32 s13, exec_lo, s13
	s_cbranch_execnz .LBB34_160
; %bb.77:                               ;   in Loop: Header=BB34_57 Depth=1
	s_or_saveexec_b32 s13, s13
                                        ; implicit-def: $sgpr14
	s_delay_alu instid0(SALU_CYCLE_1)
	s_xor_b32 exec_lo, exec_lo, s13
	s_cbranch_execnz .LBB34_161
.LBB34_78:                              ;   in Loop: Header=BB34_57 Depth=1
	s_or_b32 exec_lo, exec_lo, s13
	v_mov_b32_e32 v3, s14
	s_and_saveexec_b32 s13, s12
.LBB34_79:                              ;   in Loop: Header=BB34_57 Depth=1
	v_lshrrev_b32_e32 v3, 24, v5
	s_delay_alu instid0(VALU_DEP_1)
	v_and_or_b32 v3, 0x80, v3, v6
.LBB34_80:                              ;   in Loop: Header=BB34_57 Depth=1
	s_or_b32 exec_lo, exec_lo, s13
.LBB34_81:                              ;   in Loop: Header=BB34_57 Depth=1
	s_delay_alu instid0(SALU_CYCLE_1)
	s_or_b32 exec_lo, exec_lo, s9
	v_lshlrev_b32_e32 v6, 16, v4
	v_lshlrev_b32_e32 v2, 8, v2
	v_lshlrev_b64 v[4:5], 2, v[0:1]
	v_and_b32_e32 v7, 0xff, v10
	v_add_nc_u32_e32 v10, s33, v0
	v_perm_b32 v6, v3, v6, 0x4020c0c
	v_and_b32_e32 v8, 0xff00, v2
	s_mov_b32 s12, -1
	v_add_co_u32 v2, vcc_lo, s2, v4
	v_add_co_ci_u32_e32 v3, vcc_lo, s3, v5, vcc_lo
	s_delay_alu instid0(VALU_DEP_3)
	v_or3_b32 v4, v6, v8, v7
	s_mov_b32 s9, exec_lo
	global_store_b32 v[2:3], v4, off
	v_cmpx_gt_u32_e64 s8, v10
	s_cbranch_execz .LBB34_56
; %bb.82:                               ;   in Loop: Header=BB34_57 Depth=1
	v_mov_b32_e32 v11, v1
	s_mov_b32 s12, exec_lo
	s_delay_alu instid0(VALU_DEP_1) | instskip(NEXT) | instid1(VALU_DEP_1)
	v_lshlrev_b64 v[2:3], 4, v[10:11]
	v_add_co_u32 v4, vcc_lo, s28, v2
	s_delay_alu instid0(VALU_DEP_2)
	v_add_co_ci_u32_e32 v5, vcc_lo, s29, v3, vcc_lo
	v_add_co_u32 v19, vcc_lo, s30, v2
	v_add_co_ci_u32_e32 v20, vcc_lo, s31, v3, vcc_lo
	v_add_co_u32 v2, vcc_lo, s10, v2
	global_load_b128 v[6:9], v[4:5], off
	global_load_b128 v[15:18], v[19:20], off
	v_lshrrev_b32_e32 v4, 2, v10
	v_add_co_ci_u32_e32 v3, vcc_lo, s11, v3, vcc_lo
	s_delay_alu instid0(VALU_DEP_2)
	v_and_b32_e32 v12, 0xffffffc, v4
	global_load_b128 v[2:5], v[2:3], off
	global_load_b32 v13, v12, s[0:1]
	s_waitcnt vmcnt(2)
	v_add_f32_e32 v6, v6, v15
	v_dual_add_f32 v8, v8, v17 :: v_dual_add_f32 v9, v9, v18
	s_delay_alu instid0(VALU_DEP_2) | instskip(SKIP_1) | instid1(VALU_DEP_1)
	v_dual_add_f32 v7, v7, v16 :: v_dual_mul_f32 v12, v28, v6
	s_waitcnt vmcnt(1)
	v_mul_f32_e32 v2, v2, v12
	s_waitcnt vmcnt(0)
	s_delay_alu instid0(VALU_DEP_1) | instskip(SKIP_1) | instid1(VALU_DEP_2)
	v_div_scale_f32 v12, null, v13, v13, v2
	v_div_scale_f32 v21, vcc_lo, v2, v13, v2
	v_rcp_f32_e32 v14, v12
	s_waitcnt_depctr 0xfff
	v_fma_f32 v15, -v12, v14, 1.0
	s_delay_alu instid0(VALU_DEP_1) | instskip(NEXT) | instid1(VALU_DEP_1)
	v_fmac_f32_e32 v14, v15, v14
	v_mul_f32_e32 v15, v21, v14
	global_store_b128 v[19:20], v[6:9], off
	v_fma_f32 v22, -v12, v15, v21
	s_delay_alu instid0(VALU_DEP_1) | instskip(NEXT) | instid1(VALU_DEP_1)
	v_fmac_f32_e32 v15, v22, v14
	v_fma_f32 v12, -v12, v15, v21
	s_delay_alu instid0(VALU_DEP_1) | instskip(NEXT) | instid1(VALU_DEP_1)
	v_div_fmas_f32 v12, v12, v14, v15
	v_div_fixup_f32 v2, v12, v13, v2
	v_mov_b32_e32 v12, 0x80
	s_delay_alu instid0(VALU_DEP_2) | instskip(SKIP_1) | instid1(VALU_DEP_2)
	v_minmax_f32 v14, v2, s7, 0xc3600000
	v_mov_b32_e32 v2, 0x80
	v_and_b32_e32 v15, 0x7fffffff, v14
	s_delay_alu instid0(VALU_DEP_1)
	v_cmpx_gt_u32_e32 0x43800000, v15
	s_cbranch_execz .LBB34_88
; %bb.83:                               ;   in Loop: Header=BB34_57 Depth=1
	s_mov_b32 s13, 0
	s_mov_b32 s14, exec_lo
                                        ; implicit-def: $vgpr6
	v_cmpx_lt_u32_e32 0x3bffffff, v15
	s_xor_b32 s14, exec_lo, s14
	s_cbranch_execnz .LBB34_162
; %bb.84:                               ;   in Loop: Header=BB34_57 Depth=1
	s_or_saveexec_b32 s14, s14
                                        ; implicit-def: $sgpr15
	s_delay_alu instid0(SALU_CYCLE_1)
	s_xor_b32 exec_lo, exec_lo, s14
	s_cbranch_execnz .LBB34_163
.LBB34_85:                              ;   in Loop: Header=BB34_57 Depth=1
	s_or_b32 exec_lo, exec_lo, s14
	v_mov_b32_e32 v12, s15
	s_and_saveexec_b32 s14, s13
.LBB34_86:                              ;   in Loop: Header=BB34_57 Depth=1
	v_lshrrev_b32_e32 v12, 24, v14
	s_delay_alu instid0(VALU_DEP_1)
	v_and_or_b32 v12, 0x80, v12, v6
.LBB34_87:                              ;   in Loop: Header=BB34_57 Depth=1
	s_or_b32 exec_lo, exec_lo, s14
.LBB34_88:                              ;   in Loop: Header=BB34_57 Depth=1
	s_delay_alu instid0(SALU_CYCLE_1) | instskip(SKIP_2) | instid1(VALU_DEP_1)
	s_or_b32 exec_lo, exec_lo, s12
	v_mul_f32_e32 v6, v28, v7
	s_mov_b32 s12, exec_lo
	v_mul_f32_e32 v3, v3, v6
	s_delay_alu instid0(VALU_DEP_1) | instskip(NEXT) | instid1(VALU_DEP_1)
	v_div_scale_f32 v6, null, v13, v13, v3
	v_rcp_f32_e32 v7, v6
	s_waitcnt_depctr 0xfff
	v_fma_f32 v14, -v6, v7, 1.0
	s_delay_alu instid0(VALU_DEP_1) | instskip(SKIP_1) | instid1(VALU_DEP_1)
	v_fmac_f32_e32 v7, v14, v7
	v_div_scale_f32 v14, vcc_lo, v3, v13, v3
	v_mul_f32_e32 v15, v14, v7
	s_delay_alu instid0(VALU_DEP_1) | instskip(NEXT) | instid1(VALU_DEP_1)
	v_fma_f32 v16, -v6, v15, v14
	v_fmac_f32_e32 v15, v16, v7
	s_delay_alu instid0(VALU_DEP_1) | instskip(NEXT) | instid1(VALU_DEP_1)
	v_fma_f32 v6, -v6, v15, v14
	v_div_fmas_f32 v6, v6, v7, v15
	s_delay_alu instid0(VALU_DEP_1) | instskip(NEXT) | instid1(VALU_DEP_1)
	v_div_fixup_f32 v3, v6, v13, v3
	v_minmax_f32 v3, v3, s7, 0xc3600000
	s_delay_alu instid0(VALU_DEP_1) | instskip(NEXT) | instid1(VALU_DEP_1)
	v_and_b32_e32 v6, 0x7fffffff, v3
	v_cmpx_gt_u32_e32 0x43800000, v6
	s_cbranch_execz .LBB34_94
; %bb.89:                               ;   in Loop: Header=BB34_57 Depth=1
	v_cmp_lt_u32_e32 vcc_lo, 0x3bffffff, v6
	s_mov_b32 s13, 0
                                        ; implicit-def: $vgpr6
	s_and_saveexec_b32 s14, vcc_lo
	s_delay_alu instid0(SALU_CYCLE_1)
	s_xor_b32 s14, exec_lo, s14
	s_cbranch_execnz .LBB34_164
; %bb.90:                               ;   in Loop: Header=BB34_57 Depth=1
	s_or_saveexec_b32 s14, s14
                                        ; implicit-def: $sgpr15
	s_delay_alu instid0(SALU_CYCLE_1)
	s_xor_b32 exec_lo, exec_lo, s14
	s_cbranch_execnz .LBB34_165
.LBB34_91:                              ;   in Loop: Header=BB34_57 Depth=1
	s_or_b32 exec_lo, exec_lo, s14
	v_mov_b32_e32 v2, s15
	s_and_saveexec_b32 s14, s13
.LBB34_92:                              ;   in Loop: Header=BB34_57 Depth=1
	v_lshrrev_b32_e32 v2, 24, v3
	s_delay_alu instid0(VALU_DEP_1)
	v_and_or_b32 v2, 0x80, v2, v6
.LBB34_93:                              ;   in Loop: Header=BB34_57 Depth=1
	s_or_b32 exec_lo, exec_lo, s14
.LBB34_94:                              ;   in Loop: Header=BB34_57 Depth=1
	s_delay_alu instid0(SALU_CYCLE_1) | instskip(SKIP_2) | instid1(VALU_DEP_1)
	s_or_b32 exec_lo, exec_lo, s12
	v_mul_f32_e32 v3, v28, v8
	s_mov_b32 s12, exec_lo
	v_mul_f32_e32 v3, v4, v3
	s_delay_alu instid0(VALU_DEP_1) | instskip(SKIP_1) | instid1(VALU_DEP_2)
	v_div_scale_f32 v4, null, v13, v13, v3
	v_div_scale_f32 v8, vcc_lo, v3, v13, v3
	v_rcp_f32_e32 v6, v4
	s_waitcnt_depctr 0xfff
	v_fma_f32 v7, -v4, v6, 1.0
	s_delay_alu instid0(VALU_DEP_1) | instskip(NEXT) | instid1(VALU_DEP_1)
	v_fmac_f32_e32 v6, v7, v6
	v_mul_f32_e32 v7, v8, v6
	s_delay_alu instid0(VALU_DEP_1) | instskip(NEXT) | instid1(VALU_DEP_1)
	v_fma_f32 v14, -v4, v7, v8
	v_fmac_f32_e32 v7, v14, v6
	s_delay_alu instid0(VALU_DEP_1) | instskip(NEXT) | instid1(VALU_DEP_1)
	v_fma_f32 v4, -v4, v7, v8
	v_div_fmas_f32 v4, v4, v6, v7
	s_delay_alu instid0(VALU_DEP_1) | instskip(SKIP_1) | instid1(VALU_DEP_2)
	v_div_fixup_f32 v3, v4, v13, v3
	v_mov_b32_e32 v4, 0x80
	v_minmax_f32 v6, v3, s7, 0xc3600000
	v_mov_b32_e32 v3, 0x80
	s_delay_alu instid0(VALU_DEP_2) | instskip(NEXT) | instid1(VALU_DEP_1)
	v_and_b32_e32 v7, 0x7fffffff, v6
	v_cmpx_gt_u32_e32 0x43800000, v7
	s_cbranch_execz .LBB34_100
; %bb.95:                               ;   in Loop: Header=BB34_57 Depth=1
	v_cmp_lt_u32_e32 vcc_lo, 0x3bffffff, v7
	s_mov_b32 s13, 0
                                        ; implicit-def: $vgpr7
	s_and_saveexec_b32 s14, vcc_lo
	s_delay_alu instid0(SALU_CYCLE_1)
	s_xor_b32 s14, exec_lo, s14
	s_cbranch_execnz .LBB34_166
; %bb.96:                               ;   in Loop: Header=BB34_57 Depth=1
	s_or_saveexec_b32 s14, s14
                                        ; implicit-def: $sgpr15
	s_delay_alu instid0(SALU_CYCLE_1)
	s_xor_b32 exec_lo, exec_lo, s14
	s_cbranch_execnz .LBB34_167
.LBB34_97:                              ;   in Loop: Header=BB34_57 Depth=1
	s_or_b32 exec_lo, exec_lo, s14
	v_mov_b32_e32 v4, s15
	s_and_saveexec_b32 s14, s13
.LBB34_98:                              ;   in Loop: Header=BB34_57 Depth=1
	v_lshrrev_b32_e32 v4, 24, v6
	s_delay_alu instid0(VALU_DEP_1)
	v_and_or_b32 v4, 0x80, v4, v7
.LBB34_99:                              ;   in Loop: Header=BB34_57 Depth=1
	s_or_b32 exec_lo, exec_lo, s14
.LBB34_100:                             ;   in Loop: Header=BB34_57 Depth=1
	s_delay_alu instid0(SALU_CYCLE_1) | instskip(SKIP_2) | instid1(VALU_DEP_1)
	s_or_b32 exec_lo, exec_lo, s12
	v_mul_f32_e32 v6, v28, v9
	s_mov_b32 s12, exec_lo
	v_mul_f32_e32 v5, v5, v6
	s_delay_alu instid0(VALU_DEP_1) | instskip(NEXT) | instid1(VALU_DEP_1)
	v_div_scale_f32 v6, null, v13, v13, v5
	v_rcp_f32_e32 v7, v6
	s_waitcnt_depctr 0xfff
	v_fma_f32 v8, -v6, v7, 1.0
	s_delay_alu instid0(VALU_DEP_1) | instskip(SKIP_1) | instid1(VALU_DEP_1)
	v_fmac_f32_e32 v7, v8, v7
	v_div_scale_f32 v8, vcc_lo, v5, v13, v5
	v_mul_f32_e32 v9, v8, v7
	s_delay_alu instid0(VALU_DEP_1) | instskip(NEXT) | instid1(VALU_DEP_1)
	v_fma_f32 v14, -v6, v9, v8
	v_fmac_f32_e32 v9, v14, v7
	s_delay_alu instid0(VALU_DEP_1) | instskip(NEXT) | instid1(VALU_DEP_1)
	v_fma_f32 v6, -v6, v9, v8
	v_div_fmas_f32 v6, v6, v7, v9
	s_delay_alu instid0(VALU_DEP_1) | instskip(NEXT) | instid1(VALU_DEP_1)
	v_div_fixup_f32 v5, v6, v13, v5
	v_minmax_f32 v5, v5, s7, 0xc3600000
	s_delay_alu instid0(VALU_DEP_1) | instskip(NEXT) | instid1(VALU_DEP_1)
	v_and_b32_e32 v6, 0x7fffffff, v5
	v_cmpx_gt_u32_e32 0x43800000, v6
	s_cbranch_execz .LBB34_106
; %bb.101:                              ;   in Loop: Header=BB34_57 Depth=1
	v_cmp_lt_u32_e32 vcc_lo, 0x3bffffff, v6
	s_mov_b32 s13, 0
                                        ; implicit-def: $vgpr6
	s_and_saveexec_b32 s14, vcc_lo
	s_delay_alu instid0(SALU_CYCLE_1)
	s_xor_b32 s14, exec_lo, s14
	s_cbranch_execnz .LBB34_168
; %bb.102:                              ;   in Loop: Header=BB34_57 Depth=1
	s_or_saveexec_b32 s14, s14
                                        ; implicit-def: $sgpr15
	s_delay_alu instid0(SALU_CYCLE_1)
	s_xor_b32 exec_lo, exec_lo, s14
	s_cbranch_execnz .LBB34_169
.LBB34_103:                             ;   in Loop: Header=BB34_57 Depth=1
	s_or_b32 exec_lo, exec_lo, s14
	v_mov_b32_e32 v3, s15
	s_and_saveexec_b32 s14, s13
.LBB34_104:                             ;   in Loop: Header=BB34_57 Depth=1
	v_lshrrev_b32_e32 v3, 24, v5
	s_delay_alu instid0(VALU_DEP_1)
	v_and_or_b32 v3, 0x80, v3, v6
.LBB34_105:                             ;   in Loop: Header=BB34_57 Depth=1
	s_or_b32 exec_lo, exec_lo, s14
.LBB34_106:                             ;   in Loop: Header=BB34_57 Depth=1
	s_delay_alu instid0(SALU_CYCLE_1)
	s_or_b32 exec_lo, exec_lo, s12
	v_lshlrev_b32_e32 v6, 16, v4
	v_lshlrev_b32_e32 v2, 8, v2
	v_lshlrev_b64 v[4:5], 2, v[10:11]
	v_and_b32_e32 v7, 0xff, v12
	v_add_nc_u32_e32 v11, s5, v0
	v_perm_b32 v6, v3, v6, 0x4020c0c
	v_and_b32_e32 v8, 0xff00, v2
	s_mov_b32 s13, -1
	v_add_co_u32 v2, vcc_lo, s2, v4
	v_add_co_ci_u32_e32 v3, vcc_lo, s3, v5, vcc_lo
	s_delay_alu instid0(VALU_DEP_3)
	v_or3_b32 v4, v6, v8, v7
	s_mov_b32 s12, exec_lo
	global_store_b32 v[2:3], v4, off
	v_cmpx_gt_u32_e64 s8, v11
	s_cbranch_execz .LBB34_55
; %bb.107:                              ;   in Loop: Header=BB34_57 Depth=1
	v_mov_b32_e32 v12, v1
	s_mov_b32 s13, exec_lo
	s_delay_alu instid0(VALU_DEP_1) | instskip(NEXT) | instid1(VALU_DEP_1)
	v_lshlrev_b64 v[2:3], 4, v[11:12]
	v_add_co_u32 v4, vcc_lo, s28, v2
	s_delay_alu instid0(VALU_DEP_2)
	v_add_co_ci_u32_e32 v5, vcc_lo, s29, v3, vcc_lo
	v_add_co_u32 v20, vcc_lo, s30, v2
	v_add_co_ci_u32_e32 v21, vcc_lo, s31, v3, vcc_lo
	v_add_co_u32 v2, vcc_lo, s10, v2
	global_load_b128 v[6:9], v[4:5], off
	global_load_b128 v[16:19], v[20:21], off
	v_lshrrev_b32_e32 v4, 2, v11
	v_add_co_ci_u32_e32 v3, vcc_lo, s11, v3, vcc_lo
	s_delay_alu instid0(VALU_DEP_2)
	v_and_b32_e32 v13, 0xffffffc, v4
	global_load_b128 v[2:5], v[2:3], off
	global_load_b32 v14, v13, s[0:1]
	s_waitcnt vmcnt(2)
	v_add_f32_e32 v6, v6, v16
	v_dual_add_f32 v8, v8, v18 :: v_dual_add_f32 v9, v9, v19
	v_add_f32_e32 v7, v7, v17
	s_delay_alu instid0(VALU_DEP_3) | instskip(SKIP_1) | instid1(VALU_DEP_1)
	v_mul_f32_e32 v13, v28, v6
	s_waitcnt vmcnt(1)
	v_mul_f32_e32 v2, v2, v13
	s_waitcnt vmcnt(0)
	s_delay_alu instid0(VALU_DEP_1) | instskip(SKIP_1) | instid1(VALU_DEP_2)
	v_div_scale_f32 v13, null, v14, v14, v2
	v_div_scale_f32 v22, vcc_lo, v2, v14, v2
	v_rcp_f32_e32 v15, v13
	s_waitcnt_depctr 0xfff
	v_fma_f32 v16, -v13, v15, 1.0
	s_delay_alu instid0(VALU_DEP_1) | instskip(SKIP_2) | instid1(VALU_DEP_1)
	v_fmac_f32_e32 v15, v16, v15
	global_store_b128 v[20:21], v[6:9], off
	v_mul_f32_e32 v16, v22, v15
	v_fma_f32 v23, -v13, v16, v22
	s_delay_alu instid0(VALU_DEP_1) | instskip(NEXT) | instid1(VALU_DEP_1)
	v_fmac_f32_e32 v16, v23, v15
	v_fma_f32 v13, -v13, v16, v22
	s_delay_alu instid0(VALU_DEP_1) | instskip(NEXT) | instid1(VALU_DEP_1)
	v_div_fmas_f32 v13, v13, v15, v16
	v_div_fixup_f32 v2, v13, v14, v2
	v_mov_b32_e32 v13, 0x80
	s_delay_alu instid0(VALU_DEP_2) | instskip(SKIP_1) | instid1(VALU_DEP_2)
	v_minmax_f32 v15, v2, s7, 0xc3600000
	v_mov_b32_e32 v2, 0x80
	v_and_b32_e32 v16, 0x7fffffff, v15
	s_delay_alu instid0(VALU_DEP_1)
	v_cmpx_gt_u32_e32 0x43800000, v16
	s_cbranch_execz .LBB34_113
; %bb.108:                              ;   in Loop: Header=BB34_57 Depth=1
	s_mov_b32 s14, 0
	s_mov_b32 s15, exec_lo
                                        ; implicit-def: $vgpr6
	v_cmpx_lt_u32_e32 0x3bffffff, v16
	s_xor_b32 s15, exec_lo, s15
	s_cbranch_execnz .LBB34_170
; %bb.109:                              ;   in Loop: Header=BB34_57 Depth=1
	s_or_saveexec_b32 s15, s15
                                        ; implicit-def: $sgpr16
	s_delay_alu instid0(SALU_CYCLE_1)
	s_xor_b32 exec_lo, exec_lo, s15
	s_cbranch_execnz .LBB34_171
.LBB34_110:                             ;   in Loop: Header=BB34_57 Depth=1
	s_or_b32 exec_lo, exec_lo, s15
	v_mov_b32_e32 v13, s16
	s_and_saveexec_b32 s15, s14
.LBB34_111:                             ;   in Loop: Header=BB34_57 Depth=1
	v_lshrrev_b32_e32 v13, 24, v15
	s_delay_alu instid0(VALU_DEP_1)
	v_and_or_b32 v13, 0x80, v13, v6
.LBB34_112:                             ;   in Loop: Header=BB34_57 Depth=1
	s_or_b32 exec_lo, exec_lo, s15
.LBB34_113:                             ;   in Loop: Header=BB34_57 Depth=1
	s_delay_alu instid0(SALU_CYCLE_1) | instskip(SKIP_2) | instid1(VALU_DEP_1)
	s_or_b32 exec_lo, exec_lo, s13
	v_mul_f32_e32 v6, v28, v7
	s_mov_b32 s13, exec_lo
	v_mul_f32_e32 v3, v3, v6
	s_delay_alu instid0(VALU_DEP_1) | instskip(NEXT) | instid1(VALU_DEP_1)
	v_div_scale_f32 v6, null, v14, v14, v3
	v_rcp_f32_e32 v7, v6
	s_waitcnt_depctr 0xfff
	v_fma_f32 v15, -v6, v7, 1.0
	s_delay_alu instid0(VALU_DEP_1) | instskip(SKIP_1) | instid1(VALU_DEP_1)
	v_fmac_f32_e32 v7, v15, v7
	v_div_scale_f32 v15, vcc_lo, v3, v14, v3
	v_mul_f32_e32 v16, v15, v7
	s_delay_alu instid0(VALU_DEP_1) | instskip(NEXT) | instid1(VALU_DEP_1)
	v_fma_f32 v17, -v6, v16, v15
	v_fmac_f32_e32 v16, v17, v7
	s_delay_alu instid0(VALU_DEP_1) | instskip(NEXT) | instid1(VALU_DEP_1)
	v_fma_f32 v6, -v6, v16, v15
	v_div_fmas_f32 v6, v6, v7, v16
	s_delay_alu instid0(VALU_DEP_1) | instskip(NEXT) | instid1(VALU_DEP_1)
	v_div_fixup_f32 v3, v6, v14, v3
	v_minmax_f32 v3, v3, s7, 0xc3600000
	s_delay_alu instid0(VALU_DEP_1) | instskip(NEXT) | instid1(VALU_DEP_1)
	v_and_b32_e32 v6, 0x7fffffff, v3
	v_cmpx_gt_u32_e32 0x43800000, v6
	s_cbranch_execz .LBB34_119
; %bb.114:                              ;   in Loop: Header=BB34_57 Depth=1
	v_cmp_lt_u32_e32 vcc_lo, 0x3bffffff, v6
	s_mov_b32 s14, 0
                                        ; implicit-def: $vgpr6
	s_and_saveexec_b32 s15, vcc_lo
	s_delay_alu instid0(SALU_CYCLE_1)
	s_xor_b32 s15, exec_lo, s15
	s_cbranch_execnz .LBB34_172
; %bb.115:                              ;   in Loop: Header=BB34_57 Depth=1
	s_or_saveexec_b32 s15, s15
                                        ; implicit-def: $sgpr16
	s_delay_alu instid0(SALU_CYCLE_1)
	s_xor_b32 exec_lo, exec_lo, s15
	s_cbranch_execnz .LBB34_173
.LBB34_116:                             ;   in Loop: Header=BB34_57 Depth=1
	s_or_b32 exec_lo, exec_lo, s15
	v_mov_b32_e32 v2, s16
	s_and_saveexec_b32 s15, s14
.LBB34_117:                             ;   in Loop: Header=BB34_57 Depth=1
	v_lshrrev_b32_e32 v2, 24, v3
	s_delay_alu instid0(VALU_DEP_1)
	v_and_or_b32 v2, 0x80, v2, v6
.LBB34_118:                             ;   in Loop: Header=BB34_57 Depth=1
	s_or_b32 exec_lo, exec_lo, s15
.LBB34_119:                             ;   in Loop: Header=BB34_57 Depth=1
	s_delay_alu instid0(SALU_CYCLE_1) | instskip(SKIP_2) | instid1(VALU_DEP_1)
	s_or_b32 exec_lo, exec_lo, s13
	v_mul_f32_e32 v3, v28, v8
	s_mov_b32 s13, exec_lo
	v_mul_f32_e32 v3, v4, v3
	s_delay_alu instid0(VALU_DEP_1) | instskip(SKIP_1) | instid1(VALU_DEP_2)
	v_div_scale_f32 v4, null, v14, v14, v3
	v_div_scale_f32 v8, vcc_lo, v3, v14, v3
	v_rcp_f32_e32 v6, v4
	s_waitcnt_depctr 0xfff
	v_fma_f32 v7, -v4, v6, 1.0
	s_delay_alu instid0(VALU_DEP_1) | instskip(NEXT) | instid1(VALU_DEP_1)
	v_fmac_f32_e32 v6, v7, v6
	v_mul_f32_e32 v7, v8, v6
	s_delay_alu instid0(VALU_DEP_1) | instskip(NEXT) | instid1(VALU_DEP_1)
	v_fma_f32 v15, -v4, v7, v8
	v_fmac_f32_e32 v7, v15, v6
	s_delay_alu instid0(VALU_DEP_1) | instskip(NEXT) | instid1(VALU_DEP_1)
	v_fma_f32 v4, -v4, v7, v8
	v_div_fmas_f32 v4, v4, v6, v7
	s_delay_alu instid0(VALU_DEP_1) | instskip(SKIP_1) | instid1(VALU_DEP_2)
	v_div_fixup_f32 v3, v4, v14, v3
	v_mov_b32_e32 v4, 0x80
	v_minmax_f32 v6, v3, s7, 0xc3600000
	v_mov_b32_e32 v3, 0x80
	s_delay_alu instid0(VALU_DEP_2) | instskip(NEXT) | instid1(VALU_DEP_1)
	v_and_b32_e32 v7, 0x7fffffff, v6
	v_cmpx_gt_u32_e32 0x43800000, v7
	s_cbranch_execz .LBB34_125
; %bb.120:                              ;   in Loop: Header=BB34_57 Depth=1
	v_cmp_lt_u32_e32 vcc_lo, 0x3bffffff, v7
	s_mov_b32 s14, 0
                                        ; implicit-def: $vgpr7
	s_and_saveexec_b32 s15, vcc_lo
	s_delay_alu instid0(SALU_CYCLE_1)
	s_xor_b32 s15, exec_lo, s15
	s_cbranch_execnz .LBB34_174
; %bb.121:                              ;   in Loop: Header=BB34_57 Depth=1
	s_or_saveexec_b32 s15, s15
                                        ; implicit-def: $sgpr16
	s_delay_alu instid0(SALU_CYCLE_1)
	s_xor_b32 exec_lo, exec_lo, s15
	s_cbranch_execnz .LBB34_175
.LBB34_122:                             ;   in Loop: Header=BB34_57 Depth=1
	s_or_b32 exec_lo, exec_lo, s15
	v_mov_b32_e32 v4, s16
	s_and_saveexec_b32 s15, s14
.LBB34_123:                             ;   in Loop: Header=BB34_57 Depth=1
	v_lshrrev_b32_e32 v4, 24, v6
	s_delay_alu instid0(VALU_DEP_1)
	v_and_or_b32 v4, 0x80, v4, v7
.LBB34_124:                             ;   in Loop: Header=BB34_57 Depth=1
	s_or_b32 exec_lo, exec_lo, s15
.LBB34_125:                             ;   in Loop: Header=BB34_57 Depth=1
	s_delay_alu instid0(SALU_CYCLE_1) | instskip(SKIP_2) | instid1(VALU_DEP_1)
	s_or_b32 exec_lo, exec_lo, s13
	v_mul_f32_e32 v6, v28, v9
	s_mov_b32 s13, exec_lo
	v_mul_f32_e32 v5, v5, v6
	s_delay_alu instid0(VALU_DEP_1) | instskip(NEXT) | instid1(VALU_DEP_1)
	v_div_scale_f32 v6, null, v14, v14, v5
	v_rcp_f32_e32 v7, v6
	s_waitcnt_depctr 0xfff
	v_fma_f32 v8, -v6, v7, 1.0
	s_delay_alu instid0(VALU_DEP_1) | instskip(SKIP_1) | instid1(VALU_DEP_1)
	v_fmac_f32_e32 v7, v8, v7
	v_div_scale_f32 v8, vcc_lo, v5, v14, v5
	v_mul_f32_e32 v9, v8, v7
	s_delay_alu instid0(VALU_DEP_1) | instskip(NEXT) | instid1(VALU_DEP_1)
	v_fma_f32 v15, -v6, v9, v8
	v_fmac_f32_e32 v9, v15, v7
	s_delay_alu instid0(VALU_DEP_1) | instskip(NEXT) | instid1(VALU_DEP_1)
	v_fma_f32 v6, -v6, v9, v8
	v_div_fmas_f32 v6, v6, v7, v9
	s_delay_alu instid0(VALU_DEP_1) | instskip(NEXT) | instid1(VALU_DEP_1)
	v_div_fixup_f32 v5, v6, v14, v5
	v_minmax_f32 v5, v5, s7, 0xc3600000
	s_delay_alu instid0(VALU_DEP_1) | instskip(NEXT) | instid1(VALU_DEP_1)
	v_and_b32_e32 v6, 0x7fffffff, v5
	v_cmpx_gt_u32_e32 0x43800000, v6
	s_cbranch_execz .LBB34_131
; %bb.126:                              ;   in Loop: Header=BB34_57 Depth=1
	v_cmp_lt_u32_e32 vcc_lo, 0x3bffffff, v6
	s_mov_b32 s14, 0
                                        ; implicit-def: $vgpr6
	s_and_saveexec_b32 s15, vcc_lo
	s_delay_alu instid0(SALU_CYCLE_1)
	s_xor_b32 s15, exec_lo, s15
	s_cbranch_execnz .LBB34_176
; %bb.127:                              ;   in Loop: Header=BB34_57 Depth=1
	s_or_saveexec_b32 s15, s15
                                        ; implicit-def: $sgpr16
	s_delay_alu instid0(SALU_CYCLE_1)
	s_xor_b32 exec_lo, exec_lo, s15
	s_cbranch_execnz .LBB34_177
.LBB34_128:                             ;   in Loop: Header=BB34_57 Depth=1
	s_or_b32 exec_lo, exec_lo, s15
	v_mov_b32_e32 v3, s16
	s_and_saveexec_b32 s15, s14
.LBB34_129:                             ;   in Loop: Header=BB34_57 Depth=1
	v_lshrrev_b32_e32 v3, 24, v5
	s_delay_alu instid0(VALU_DEP_1)
	v_and_or_b32 v3, 0x80, v3, v6
.LBB34_130:                             ;   in Loop: Header=BB34_57 Depth=1
	s_or_b32 exec_lo, exec_lo, s15
.LBB34_131:                             ;   in Loop: Header=BB34_57 Depth=1
	s_delay_alu instid0(SALU_CYCLE_1)
	s_or_b32 exec_lo, exec_lo, s13
	v_lshlrev_b32_e32 v6, 16, v4
	v_lshlrev_b32_e32 v2, 8, v2
	v_lshlrev_b64 v[4:5], 2, v[11:12]
	v_and_b32_e32 v7, 0xff, v13
	v_add_nc_u32_e32 v0, s4, v0
	v_perm_b32 v6, v3, v6, 0x4020c0c
	v_and_b32_e32 v8, 0xff00, v2
	s_mov_b32 s14, -1
	v_add_co_u32 v2, vcc_lo, s2, v4
	v_add_co_ci_u32_e32 v3, vcc_lo, s3, v5, vcc_lo
	s_delay_alu instid0(VALU_DEP_3)
	v_or3_b32 v4, v6, v8, v7
	s_mov_b32 s13, exec_lo
	global_store_b32 v[2:3], v4, off
	v_cmpx_gt_u32_e64 s8, v0
	s_cbranch_execz .LBB34_54
; %bb.132:                              ;   in Loop: Header=BB34_57 Depth=1
	v_lshlrev_b64 v[2:3], 4, v[0:1]
	s_mov_b32 s14, exec_lo
	s_delay_alu instid0(VALU_DEP_1) | instskip(NEXT) | instid1(VALU_DEP_2)
	v_add_co_u32 v4, vcc_lo, s28, v2
	v_add_co_ci_u32_e32 v5, vcc_lo, s29, v3, vcc_lo
	v_add_co_u32 v18, vcc_lo, s30, v2
	v_add_co_ci_u32_e32 v19, vcc_lo, s31, v3, vcc_lo
	v_add_co_u32 v2, vcc_lo, s10, v2
	global_load_b128 v[6:9], v[4:5], off
	global_load_b128 v[14:17], v[18:19], off
	v_lshrrev_b32_e32 v4, 2, v0
	v_add_co_ci_u32_e32 v3, vcc_lo, s11, v3, vcc_lo
	s_waitcnt vmcnt(0)
	s_delay_alu instid0(VALU_DEP_2)
	v_dual_add_f32 v6, v6, v14 :: v_dual_and_b32 v11, 0xffffffc, v4
	global_load_b128 v[2:5], v[2:3], off
	global_load_b32 v12, v11, s[0:1]
	v_dual_add_f32 v9, v9, v17 :: v_dual_add_f32 v8, v8, v16
	v_add_f32_e32 v7, v7, v15
	v_mul_f32_e32 v11, v28, v6
	s_waitcnt vmcnt(1)
	s_delay_alu instid0(VALU_DEP_1) | instskip(SKIP_1) | instid1(VALU_DEP_1)
	v_mul_f32_e32 v2, v2, v11
	s_waitcnt vmcnt(0)
	v_div_scale_f32 v11, null, v12, v12, v2
	v_div_scale_f32 v20, vcc_lo, v2, v12, v2
	s_delay_alu instid0(VALU_DEP_2) | instskip(SKIP_2) | instid1(VALU_DEP_1)
	v_rcp_f32_e32 v13, v11
	s_waitcnt_depctr 0xfff
	v_fma_f32 v14, -v11, v13, 1.0
	v_fmac_f32_e32 v13, v14, v13
	s_delay_alu instid0(VALU_DEP_1) | instskip(NEXT) | instid1(VALU_DEP_1)
	v_mul_f32_e32 v14, v20, v13
	v_fma_f32 v21, -v11, v14, v20
	s_delay_alu instid0(VALU_DEP_1) | instskip(NEXT) | instid1(VALU_DEP_1)
	v_fmac_f32_e32 v14, v21, v13
	v_fma_f32 v11, -v11, v14, v20
	s_delay_alu instid0(VALU_DEP_1) | instskip(NEXT) | instid1(VALU_DEP_1)
	v_div_fmas_f32 v11, v11, v13, v14
	v_div_fixup_f32 v2, v11, v12, v2
	v_mov_b32_e32 v11, 0x80
	s_delay_alu instid0(VALU_DEP_2) | instskip(SKIP_3) | instid1(VALU_DEP_1)
	v_minmax_f32 v13, v2, s7, 0xc3600000
	v_mov_b32_e32 v2, 0x80
	global_store_b128 v[18:19], v[6:9], off
	v_and_b32_e32 v14, 0x7fffffff, v13
	v_cmpx_gt_u32_e32 0x43800000, v14
	s_cbranch_execz .LBB34_138
; %bb.133:                              ;   in Loop: Header=BB34_57 Depth=1
	s_mov_b32 s15, 0
	s_mov_b32 s16, exec_lo
                                        ; implicit-def: $vgpr6
	v_cmpx_lt_u32_e32 0x3bffffff, v14
	s_xor_b32 s16, exec_lo, s16
	s_cbranch_execnz .LBB34_178
; %bb.134:                              ;   in Loop: Header=BB34_57 Depth=1
	s_or_saveexec_b32 s16, s16
                                        ; implicit-def: $sgpr17
	s_delay_alu instid0(SALU_CYCLE_1)
	s_xor_b32 exec_lo, exec_lo, s16
	s_cbranch_execnz .LBB34_179
.LBB34_135:                             ;   in Loop: Header=BB34_57 Depth=1
	s_or_b32 exec_lo, exec_lo, s16
	v_mov_b32_e32 v2, s17
	s_and_saveexec_b32 s16, s15
.LBB34_136:                             ;   in Loop: Header=BB34_57 Depth=1
	v_lshrrev_b32_e32 v2, 24, v13
	s_delay_alu instid0(VALU_DEP_1)
	v_and_or_b32 v2, 0x80, v2, v6
.LBB34_137:                             ;   in Loop: Header=BB34_57 Depth=1
	s_or_b32 exec_lo, exec_lo, s16
.LBB34_138:                             ;   in Loop: Header=BB34_57 Depth=1
	s_delay_alu instid0(SALU_CYCLE_1) | instskip(SKIP_2) | instid1(VALU_DEP_1)
	s_or_b32 exec_lo, exec_lo, s14
	v_mul_f32_e32 v6, v28, v7
	s_mov_b32 s14, exec_lo
	v_mul_f32_e32 v3, v3, v6
	s_delay_alu instid0(VALU_DEP_1) | instskip(NEXT) | instid1(VALU_DEP_1)
	v_div_scale_f32 v6, null, v12, v12, v3
	v_rcp_f32_e32 v7, v6
	s_waitcnt_depctr 0xfff
	v_fma_f32 v13, -v6, v7, 1.0
	s_delay_alu instid0(VALU_DEP_1) | instskip(SKIP_1) | instid1(VALU_DEP_1)
	v_fmac_f32_e32 v7, v13, v7
	v_div_scale_f32 v13, vcc_lo, v3, v12, v3
	v_mul_f32_e32 v14, v13, v7
	s_delay_alu instid0(VALU_DEP_1) | instskip(NEXT) | instid1(VALU_DEP_1)
	v_fma_f32 v15, -v6, v14, v13
	v_fmac_f32_e32 v14, v15, v7
	s_delay_alu instid0(VALU_DEP_1) | instskip(NEXT) | instid1(VALU_DEP_1)
	v_fma_f32 v6, -v6, v14, v13
	v_div_fmas_f32 v6, v6, v7, v14
	s_delay_alu instid0(VALU_DEP_1) | instskip(NEXT) | instid1(VALU_DEP_1)
	v_div_fixup_f32 v3, v6, v12, v3
	v_minmax_f32 v3, v3, s7, 0xc3600000
	s_delay_alu instid0(VALU_DEP_1) | instskip(NEXT) | instid1(VALU_DEP_1)
	v_and_b32_e32 v6, 0x7fffffff, v3
	v_cmpx_gt_u32_e32 0x43800000, v6
	s_cbranch_execz .LBB34_144
; %bb.139:                              ;   in Loop: Header=BB34_57 Depth=1
	v_cmp_lt_u32_e32 vcc_lo, 0x3bffffff, v6
	s_mov_b32 s15, 0
                                        ; implicit-def: $vgpr6
	s_and_saveexec_b32 s16, vcc_lo
	s_delay_alu instid0(SALU_CYCLE_1)
	s_xor_b32 s16, exec_lo, s16
	s_cbranch_execnz .LBB34_180
; %bb.140:                              ;   in Loop: Header=BB34_57 Depth=1
	s_or_saveexec_b32 s16, s16
                                        ; implicit-def: $sgpr17
	s_delay_alu instid0(SALU_CYCLE_1)
	s_xor_b32 exec_lo, exec_lo, s16
	s_cbranch_execnz .LBB34_181
.LBB34_141:                             ;   in Loop: Header=BB34_57 Depth=1
	s_or_b32 exec_lo, exec_lo, s16
	v_mov_b32_e32 v11, s17
	s_and_saveexec_b32 s16, s15
.LBB34_142:                             ;   in Loop: Header=BB34_57 Depth=1
	v_lshrrev_b32_e32 v3, 24, v3
	s_delay_alu instid0(VALU_DEP_1)
	v_and_or_b32 v11, 0x80, v3, v6
.LBB34_143:                             ;   in Loop: Header=BB34_57 Depth=1
	s_or_b32 exec_lo, exec_lo, s16
.LBB34_144:                             ;   in Loop: Header=BB34_57 Depth=1
	s_delay_alu instid0(SALU_CYCLE_1) | instskip(SKIP_2) | instid1(VALU_DEP_1)
	s_or_b32 exec_lo, exec_lo, s14
	v_mul_f32_e32 v3, v28, v8
	s_mov_b32 s14, exec_lo
	v_mul_f32_e32 v3, v4, v3
	s_delay_alu instid0(VALU_DEP_1) | instskip(SKIP_1) | instid1(VALU_DEP_2)
	v_div_scale_f32 v4, null, v12, v12, v3
	v_div_scale_f32 v8, vcc_lo, v3, v12, v3
	v_rcp_f32_e32 v6, v4
	s_waitcnt_depctr 0xfff
	v_fma_f32 v7, -v4, v6, 1.0
	s_delay_alu instid0(VALU_DEP_1) | instskip(NEXT) | instid1(VALU_DEP_1)
	v_fmac_f32_e32 v6, v7, v6
	v_mul_f32_e32 v7, v8, v6
	s_delay_alu instid0(VALU_DEP_1) | instskip(NEXT) | instid1(VALU_DEP_1)
	v_fma_f32 v13, -v4, v7, v8
	v_fmac_f32_e32 v7, v13, v6
	s_delay_alu instid0(VALU_DEP_1) | instskip(NEXT) | instid1(VALU_DEP_1)
	v_fma_f32 v4, -v4, v7, v8
	v_div_fmas_f32 v4, v4, v6, v7
	s_delay_alu instid0(VALU_DEP_1) | instskip(SKIP_1) | instid1(VALU_DEP_2)
	v_div_fixup_f32 v3, v4, v12, v3
	v_mov_b32_e32 v4, 0x80
	v_minmax_f32 v6, v3, s7, 0xc3600000
	v_mov_b32_e32 v3, 0x80
	s_delay_alu instid0(VALU_DEP_2) | instskip(NEXT) | instid1(VALU_DEP_1)
	v_and_b32_e32 v7, 0x7fffffff, v6
	v_cmpx_gt_u32_e32 0x43800000, v7
	s_cbranch_execz .LBB34_150
; %bb.145:                              ;   in Loop: Header=BB34_57 Depth=1
	v_cmp_lt_u32_e32 vcc_lo, 0x3bffffff, v7
	s_mov_b32 s15, 0
                                        ; implicit-def: $vgpr7
	s_and_saveexec_b32 s16, vcc_lo
	s_delay_alu instid0(SALU_CYCLE_1)
	s_xor_b32 s16, exec_lo, s16
	s_cbranch_execnz .LBB34_182
; %bb.146:                              ;   in Loop: Header=BB34_57 Depth=1
	s_or_saveexec_b32 s16, s16
                                        ; implicit-def: $sgpr17
	s_delay_alu instid0(SALU_CYCLE_1)
	s_xor_b32 exec_lo, exec_lo, s16
	s_cbranch_execnz .LBB34_183
.LBB34_147:                             ;   in Loop: Header=BB34_57 Depth=1
	s_or_b32 exec_lo, exec_lo, s16
	v_mov_b32_e32 v4, s17
	s_and_saveexec_b32 s16, s15
.LBB34_148:                             ;   in Loop: Header=BB34_57 Depth=1
	v_lshrrev_b32_e32 v4, 24, v6
	s_delay_alu instid0(VALU_DEP_1)
	v_and_or_b32 v4, 0x80, v4, v7
.LBB34_149:                             ;   in Loop: Header=BB34_57 Depth=1
	s_or_b32 exec_lo, exec_lo, s16
.LBB34_150:                             ;   in Loop: Header=BB34_57 Depth=1
	s_delay_alu instid0(SALU_CYCLE_1) | instskip(SKIP_2) | instid1(VALU_DEP_1)
	s_or_b32 exec_lo, exec_lo, s14
	v_mul_f32_e32 v6, v28, v9
	s_mov_b32 s14, exec_lo
	v_mul_f32_e32 v5, v5, v6
	s_delay_alu instid0(VALU_DEP_1) | instskip(NEXT) | instid1(VALU_DEP_1)
	v_div_scale_f32 v6, null, v12, v12, v5
	v_rcp_f32_e32 v7, v6
	s_waitcnt_depctr 0xfff
	v_fma_f32 v8, -v6, v7, 1.0
	s_delay_alu instid0(VALU_DEP_1) | instskip(SKIP_1) | instid1(VALU_DEP_1)
	v_fmac_f32_e32 v7, v8, v7
	v_div_scale_f32 v8, vcc_lo, v5, v12, v5
	v_mul_f32_e32 v9, v8, v7
	s_delay_alu instid0(VALU_DEP_1) | instskip(NEXT) | instid1(VALU_DEP_1)
	v_fma_f32 v13, -v6, v9, v8
	v_fmac_f32_e32 v9, v13, v7
	s_delay_alu instid0(VALU_DEP_1) | instskip(NEXT) | instid1(VALU_DEP_1)
	v_fma_f32 v6, -v6, v9, v8
	v_div_fmas_f32 v6, v6, v7, v9
	s_delay_alu instid0(VALU_DEP_1) | instskip(NEXT) | instid1(VALU_DEP_1)
	v_div_fixup_f32 v5, v6, v12, v5
	v_minmax_f32 v5, v5, s7, 0xc3600000
	s_delay_alu instid0(VALU_DEP_1) | instskip(NEXT) | instid1(VALU_DEP_1)
	v_and_b32_e32 v6, 0x7fffffff, v5
	v_cmpx_gt_u32_e32 0x43800000, v6
	s_cbranch_execz .LBB34_53
; %bb.151:                              ;   in Loop: Header=BB34_57 Depth=1
	v_cmp_lt_u32_e32 vcc_lo, 0x3bffffff, v6
	s_mov_b32 s15, 0
                                        ; implicit-def: $vgpr6
	s_and_saveexec_b32 s16, vcc_lo
	s_delay_alu instid0(SALU_CYCLE_1)
	s_xor_b32 s16, exec_lo, s16
	s_cbranch_execnz .LBB34_184
; %bb.152:                              ;   in Loop: Header=BB34_57 Depth=1
	s_or_saveexec_b32 s16, s16
                                        ; implicit-def: $sgpr17
	s_delay_alu instid0(SALU_CYCLE_1)
	s_xor_b32 exec_lo, exec_lo, s16
	s_cbranch_execnz .LBB34_185
.LBB34_153:                             ;   in Loop: Header=BB34_57 Depth=1
	s_or_b32 exec_lo, exec_lo, s16
	v_mov_b32_e32 v3, s17
	s_and_saveexec_b32 s16, s15
	s_cbranch_execz .LBB34_52
	s_branch .LBB34_186
.LBB34_154:                             ;   in Loop: Header=BB34_57 Depth=1
	v_bfe_u32 v6, v12, 20, 1
	s_mov_b32 s12, exec_lo
	s_delay_alu instid0(VALU_DEP_1) | instskip(NEXT) | instid1(VALU_DEP_1)
	v_add3_u32 v6, v12, v6, 0x487ffff
	v_lshrrev_b32_e32 v6, 20, v6
	s_or_saveexec_b32 s13, s13
                                        ; implicit-def: $sgpr14
	s_delay_alu instid0(SALU_CYCLE_1)
	s_xor_b32 exec_lo, exec_lo, s13
	s_cbranch_execz .LBB34_60
.LBB34_155:                             ;   in Loop: Header=BB34_57 Depth=1
	v_add_f32_e64 v6, 0x46000000, |v12|
	s_and_not1_b32 s12, s12, exec_lo
	s_mov_b32 s14, 0
	s_delay_alu instid0(VALU_DEP_1) | instskip(NEXT) | instid1(VALU_DEP_1)
	v_and_b32_e32 v6, 0xff, v6
	v_cmp_ne_u32_e32 vcc_lo, 0, v6
	s_and_b32 s15, vcc_lo, exec_lo
	s_delay_alu instid0(SALU_CYCLE_1)
	s_or_b32 s12, s12, s15
	s_or_b32 exec_lo, exec_lo, s13
	v_mov_b32_e32 v10, s14
	s_and_saveexec_b32 s13, s12
	s_cbranch_execnz .LBB34_61
	s_branch .LBB34_62
.LBB34_156:                             ;   in Loop: Header=BB34_57 Depth=1
	v_bfe_u32 v2, v3, 20, 1
	s_mov_b32 s12, exec_lo
	s_delay_alu instid0(VALU_DEP_1) | instskip(NEXT) | instid1(VALU_DEP_1)
	v_add3_u32 v2, v3, v2, 0x487ffff
	v_lshrrev_b32_e32 v6, 20, v2
	s_or_saveexec_b32 s13, s13
                                        ; implicit-def: $sgpr14
	s_delay_alu instid0(SALU_CYCLE_1)
	s_xor_b32 exec_lo, exec_lo, s13
	s_cbranch_execz .LBB34_66
.LBB34_157:                             ;   in Loop: Header=BB34_57 Depth=1
	v_add_f32_e64 v2, 0x46000000, |v3|
	s_and_not1_b32 s12, s12, exec_lo
	s_mov_b32 s14, 0
	s_delay_alu instid0(VALU_DEP_1) | instskip(NEXT) | instid1(VALU_DEP_1)
	v_and_b32_e32 v6, 0xff, v2
	v_cmp_ne_u32_e32 vcc_lo, 0, v6
	s_and_b32 s15, vcc_lo, exec_lo
	s_delay_alu instid0(SALU_CYCLE_1)
	s_or_b32 s12, s12, s15
	s_or_b32 exec_lo, exec_lo, s13
	v_mov_b32_e32 v2, s14
	s_and_saveexec_b32 s13, s12
	s_cbranch_execnz .LBB34_67
	s_branch .LBB34_68
.LBB34_158:                             ;   in Loop: Header=BB34_57 Depth=1
	v_bfe_u32 v4, v6, 20, 1
	s_mov_b32 s12, exec_lo
	s_delay_alu instid0(VALU_DEP_1) | instskip(NEXT) | instid1(VALU_DEP_1)
	v_add3_u32 v4, v6, v4, 0x487ffff
	v_lshrrev_b32_e32 v7, 20, v4
	s_or_saveexec_b32 s13, s13
                                        ; implicit-def: $sgpr14
	s_delay_alu instid0(SALU_CYCLE_1)
	s_xor_b32 exec_lo, exec_lo, s13
	s_cbranch_execz .LBB34_72
.LBB34_159:                             ;   in Loop: Header=BB34_57 Depth=1
	v_add_f32_e64 v4, 0x46000000, |v6|
	s_and_not1_b32 s12, s12, exec_lo
	s_mov_b32 s14, 0
	s_delay_alu instid0(VALU_DEP_1) | instskip(NEXT) | instid1(VALU_DEP_1)
	v_and_b32_e32 v7, 0xff, v4
	v_cmp_ne_u32_e32 vcc_lo, 0, v7
	s_and_b32 s15, vcc_lo, exec_lo
	s_delay_alu instid0(SALU_CYCLE_1)
	s_or_b32 s12, s12, s15
	s_or_b32 exec_lo, exec_lo, s13
	v_mov_b32_e32 v4, s14
	s_and_saveexec_b32 s13, s12
	s_cbranch_execnz .LBB34_73
	s_branch .LBB34_74
.LBB34_160:                             ;   in Loop: Header=BB34_57 Depth=1
	v_bfe_u32 v3, v5, 20, 1
	s_mov_b32 s12, exec_lo
	s_delay_alu instid0(VALU_DEP_1) | instskip(NEXT) | instid1(VALU_DEP_1)
	v_add3_u32 v3, v5, v3, 0x487ffff
	v_lshrrev_b32_e32 v6, 20, v3
	s_or_saveexec_b32 s13, s13
                                        ; implicit-def: $sgpr14
	s_delay_alu instid0(SALU_CYCLE_1)
	s_xor_b32 exec_lo, exec_lo, s13
	s_cbranch_execz .LBB34_78
.LBB34_161:                             ;   in Loop: Header=BB34_57 Depth=1
	v_add_f32_e64 v3, 0x46000000, |v5|
	s_and_not1_b32 s12, s12, exec_lo
	s_mov_b32 s14, 0
	s_delay_alu instid0(VALU_DEP_1) | instskip(NEXT) | instid1(VALU_DEP_1)
	v_and_b32_e32 v6, 0xff, v3
	v_cmp_ne_u32_e32 vcc_lo, 0, v6
	s_and_b32 s15, vcc_lo, exec_lo
	s_delay_alu instid0(SALU_CYCLE_1)
	s_or_b32 s12, s12, s15
	s_or_b32 exec_lo, exec_lo, s13
	v_mov_b32_e32 v3, s14
	s_and_saveexec_b32 s13, s12
	s_cbranch_execnz .LBB34_79
	s_branch .LBB34_80
.LBB34_162:                             ;   in Loop: Header=BB34_57 Depth=1
	v_bfe_u32 v6, v14, 20, 1
	s_mov_b32 s13, exec_lo
	s_delay_alu instid0(VALU_DEP_1) | instskip(NEXT) | instid1(VALU_DEP_1)
	v_add3_u32 v6, v14, v6, 0x487ffff
	v_lshrrev_b32_e32 v6, 20, v6
	s_or_saveexec_b32 s14, s14
                                        ; implicit-def: $sgpr15
	s_delay_alu instid0(SALU_CYCLE_1)
	s_xor_b32 exec_lo, exec_lo, s14
	s_cbranch_execz .LBB34_85
.LBB34_163:                             ;   in Loop: Header=BB34_57 Depth=1
	v_add_f32_e64 v6, 0x46000000, |v14|
	s_and_not1_b32 s13, s13, exec_lo
	s_mov_b32 s15, 0
	s_delay_alu instid0(VALU_DEP_1) | instskip(NEXT) | instid1(VALU_DEP_1)
	v_and_b32_e32 v6, 0xff, v6
	v_cmp_ne_u32_e32 vcc_lo, 0, v6
	s_and_b32 s16, vcc_lo, exec_lo
	s_delay_alu instid0(SALU_CYCLE_1)
	s_or_b32 s13, s13, s16
	s_or_b32 exec_lo, exec_lo, s14
	v_mov_b32_e32 v12, s15
	s_and_saveexec_b32 s14, s13
	s_cbranch_execnz .LBB34_86
	s_branch .LBB34_87
.LBB34_164:                             ;   in Loop: Header=BB34_57 Depth=1
	v_bfe_u32 v2, v3, 20, 1
	s_mov_b32 s13, exec_lo
	s_delay_alu instid0(VALU_DEP_1) | instskip(NEXT) | instid1(VALU_DEP_1)
	v_add3_u32 v2, v3, v2, 0x487ffff
	v_lshrrev_b32_e32 v6, 20, v2
	s_or_saveexec_b32 s14, s14
                                        ; implicit-def: $sgpr15
	s_delay_alu instid0(SALU_CYCLE_1)
	s_xor_b32 exec_lo, exec_lo, s14
	s_cbranch_execz .LBB34_91
.LBB34_165:                             ;   in Loop: Header=BB34_57 Depth=1
	v_add_f32_e64 v2, 0x46000000, |v3|
	s_and_not1_b32 s13, s13, exec_lo
	s_mov_b32 s15, 0
	s_delay_alu instid0(VALU_DEP_1) | instskip(NEXT) | instid1(VALU_DEP_1)
	v_and_b32_e32 v6, 0xff, v2
	v_cmp_ne_u32_e32 vcc_lo, 0, v6
	s_and_b32 s16, vcc_lo, exec_lo
	s_delay_alu instid0(SALU_CYCLE_1)
	s_or_b32 s13, s13, s16
	s_or_b32 exec_lo, exec_lo, s14
	v_mov_b32_e32 v2, s15
	s_and_saveexec_b32 s14, s13
	s_cbranch_execnz .LBB34_92
	s_branch .LBB34_93
.LBB34_166:                             ;   in Loop: Header=BB34_57 Depth=1
	v_bfe_u32 v4, v6, 20, 1
	s_mov_b32 s13, exec_lo
	s_delay_alu instid0(VALU_DEP_1) | instskip(NEXT) | instid1(VALU_DEP_1)
	v_add3_u32 v4, v6, v4, 0x487ffff
	v_lshrrev_b32_e32 v7, 20, v4
	s_or_saveexec_b32 s14, s14
                                        ; implicit-def: $sgpr15
	s_delay_alu instid0(SALU_CYCLE_1)
	s_xor_b32 exec_lo, exec_lo, s14
	s_cbranch_execz .LBB34_97
.LBB34_167:                             ;   in Loop: Header=BB34_57 Depth=1
	v_add_f32_e64 v4, 0x46000000, |v6|
	s_and_not1_b32 s13, s13, exec_lo
	s_mov_b32 s15, 0
	s_delay_alu instid0(VALU_DEP_1) | instskip(NEXT) | instid1(VALU_DEP_1)
	v_and_b32_e32 v7, 0xff, v4
	v_cmp_ne_u32_e32 vcc_lo, 0, v7
	s_and_b32 s16, vcc_lo, exec_lo
	s_delay_alu instid0(SALU_CYCLE_1)
	s_or_b32 s13, s13, s16
	s_or_b32 exec_lo, exec_lo, s14
	v_mov_b32_e32 v4, s15
	s_and_saveexec_b32 s14, s13
	s_cbranch_execnz .LBB34_98
	s_branch .LBB34_99
.LBB34_168:                             ;   in Loop: Header=BB34_57 Depth=1
	v_bfe_u32 v3, v5, 20, 1
	s_mov_b32 s13, exec_lo
	s_delay_alu instid0(VALU_DEP_1) | instskip(NEXT) | instid1(VALU_DEP_1)
	v_add3_u32 v3, v5, v3, 0x487ffff
	v_lshrrev_b32_e32 v6, 20, v3
	s_or_saveexec_b32 s14, s14
                                        ; implicit-def: $sgpr15
	s_delay_alu instid0(SALU_CYCLE_1)
	s_xor_b32 exec_lo, exec_lo, s14
	s_cbranch_execz .LBB34_103
.LBB34_169:                             ;   in Loop: Header=BB34_57 Depth=1
	v_add_f32_e64 v3, 0x46000000, |v5|
	s_and_not1_b32 s13, s13, exec_lo
	s_mov_b32 s15, 0
	s_delay_alu instid0(VALU_DEP_1) | instskip(NEXT) | instid1(VALU_DEP_1)
	v_and_b32_e32 v6, 0xff, v3
	v_cmp_ne_u32_e32 vcc_lo, 0, v6
	s_and_b32 s16, vcc_lo, exec_lo
	s_delay_alu instid0(SALU_CYCLE_1)
	s_or_b32 s13, s13, s16
	s_or_b32 exec_lo, exec_lo, s14
	v_mov_b32_e32 v3, s15
	s_and_saveexec_b32 s14, s13
	s_cbranch_execnz .LBB34_104
	s_branch .LBB34_105
.LBB34_170:                             ;   in Loop: Header=BB34_57 Depth=1
	v_bfe_u32 v6, v15, 20, 1
	s_mov_b32 s14, exec_lo
	s_delay_alu instid0(VALU_DEP_1) | instskip(NEXT) | instid1(VALU_DEP_1)
	v_add3_u32 v6, v15, v6, 0x487ffff
	v_lshrrev_b32_e32 v6, 20, v6
	s_or_saveexec_b32 s15, s15
                                        ; implicit-def: $sgpr16
	s_delay_alu instid0(SALU_CYCLE_1)
	s_xor_b32 exec_lo, exec_lo, s15
	s_cbranch_execz .LBB34_110
.LBB34_171:                             ;   in Loop: Header=BB34_57 Depth=1
	v_add_f32_e64 v6, 0x46000000, |v15|
	s_and_not1_b32 s14, s14, exec_lo
	s_mov_b32 s16, 0
	s_delay_alu instid0(VALU_DEP_1) | instskip(NEXT) | instid1(VALU_DEP_1)
	v_and_b32_e32 v6, 0xff, v6
	v_cmp_ne_u32_e32 vcc_lo, 0, v6
	s_and_b32 s17, vcc_lo, exec_lo
	s_delay_alu instid0(SALU_CYCLE_1)
	s_or_b32 s14, s14, s17
	s_or_b32 exec_lo, exec_lo, s15
	v_mov_b32_e32 v13, s16
	s_and_saveexec_b32 s15, s14
	s_cbranch_execnz .LBB34_111
	s_branch .LBB34_112
.LBB34_172:                             ;   in Loop: Header=BB34_57 Depth=1
	v_bfe_u32 v2, v3, 20, 1
	s_mov_b32 s14, exec_lo
	s_delay_alu instid0(VALU_DEP_1) | instskip(NEXT) | instid1(VALU_DEP_1)
	v_add3_u32 v2, v3, v2, 0x487ffff
	v_lshrrev_b32_e32 v6, 20, v2
	s_or_saveexec_b32 s15, s15
                                        ; implicit-def: $sgpr16
	s_delay_alu instid0(SALU_CYCLE_1)
	s_xor_b32 exec_lo, exec_lo, s15
	s_cbranch_execz .LBB34_116
.LBB34_173:                             ;   in Loop: Header=BB34_57 Depth=1
	v_add_f32_e64 v2, 0x46000000, |v3|
	s_and_not1_b32 s14, s14, exec_lo
	s_mov_b32 s16, 0
	s_delay_alu instid0(VALU_DEP_1) | instskip(NEXT) | instid1(VALU_DEP_1)
	v_and_b32_e32 v6, 0xff, v2
	v_cmp_ne_u32_e32 vcc_lo, 0, v6
	s_and_b32 s17, vcc_lo, exec_lo
	s_delay_alu instid0(SALU_CYCLE_1)
	s_or_b32 s14, s14, s17
	s_or_b32 exec_lo, exec_lo, s15
	v_mov_b32_e32 v2, s16
	s_and_saveexec_b32 s15, s14
	s_cbranch_execnz .LBB34_117
	s_branch .LBB34_118
.LBB34_174:                             ;   in Loop: Header=BB34_57 Depth=1
	v_bfe_u32 v4, v6, 20, 1
	s_mov_b32 s14, exec_lo
	s_delay_alu instid0(VALU_DEP_1) | instskip(NEXT) | instid1(VALU_DEP_1)
	v_add3_u32 v4, v6, v4, 0x487ffff
	v_lshrrev_b32_e32 v7, 20, v4
	s_or_saveexec_b32 s15, s15
                                        ; implicit-def: $sgpr16
	s_delay_alu instid0(SALU_CYCLE_1)
	s_xor_b32 exec_lo, exec_lo, s15
	s_cbranch_execz .LBB34_122
.LBB34_175:                             ;   in Loop: Header=BB34_57 Depth=1
	v_add_f32_e64 v4, 0x46000000, |v6|
	s_and_not1_b32 s14, s14, exec_lo
	s_mov_b32 s16, 0
	s_delay_alu instid0(VALU_DEP_1) | instskip(NEXT) | instid1(VALU_DEP_1)
	v_and_b32_e32 v7, 0xff, v4
	v_cmp_ne_u32_e32 vcc_lo, 0, v7
	s_and_b32 s17, vcc_lo, exec_lo
	s_delay_alu instid0(SALU_CYCLE_1)
	s_or_b32 s14, s14, s17
	s_or_b32 exec_lo, exec_lo, s15
	v_mov_b32_e32 v4, s16
	s_and_saveexec_b32 s15, s14
	s_cbranch_execnz .LBB34_123
	s_branch .LBB34_124
.LBB34_176:                             ;   in Loop: Header=BB34_57 Depth=1
	v_bfe_u32 v3, v5, 20, 1
	s_mov_b32 s14, exec_lo
	s_delay_alu instid0(VALU_DEP_1) | instskip(NEXT) | instid1(VALU_DEP_1)
	v_add3_u32 v3, v5, v3, 0x487ffff
	v_lshrrev_b32_e32 v6, 20, v3
	s_or_saveexec_b32 s15, s15
                                        ; implicit-def: $sgpr16
	s_delay_alu instid0(SALU_CYCLE_1)
	s_xor_b32 exec_lo, exec_lo, s15
	s_cbranch_execz .LBB34_128
.LBB34_177:                             ;   in Loop: Header=BB34_57 Depth=1
	v_add_f32_e64 v3, 0x46000000, |v5|
	s_and_not1_b32 s14, s14, exec_lo
	s_mov_b32 s16, 0
	s_delay_alu instid0(VALU_DEP_1) | instskip(NEXT) | instid1(VALU_DEP_1)
	v_and_b32_e32 v6, 0xff, v3
	v_cmp_ne_u32_e32 vcc_lo, 0, v6
	s_and_b32 s17, vcc_lo, exec_lo
	s_delay_alu instid0(SALU_CYCLE_1)
	s_or_b32 s14, s14, s17
	s_or_b32 exec_lo, exec_lo, s15
	v_mov_b32_e32 v3, s16
	s_and_saveexec_b32 s15, s14
	s_cbranch_execnz .LBB34_129
	s_branch .LBB34_130
.LBB34_178:                             ;   in Loop: Header=BB34_57 Depth=1
	v_bfe_u32 v2, v13, 20, 1
	s_mov_b32 s15, exec_lo
	s_delay_alu instid0(VALU_DEP_1) | instskip(NEXT) | instid1(VALU_DEP_1)
	v_add3_u32 v2, v13, v2, 0x487ffff
	v_lshrrev_b32_e32 v6, 20, v2
	s_or_saveexec_b32 s16, s16
                                        ; implicit-def: $sgpr17
	s_delay_alu instid0(SALU_CYCLE_1)
	s_xor_b32 exec_lo, exec_lo, s16
	s_cbranch_execz .LBB34_135
.LBB34_179:                             ;   in Loop: Header=BB34_57 Depth=1
	v_add_f32_e64 v2, 0x46000000, |v13|
	s_and_not1_b32 s15, s15, exec_lo
	s_mov_b32 s17, 0
	s_delay_alu instid0(VALU_DEP_1) | instskip(NEXT) | instid1(VALU_DEP_1)
	v_and_b32_e32 v6, 0xff, v2
	v_cmp_ne_u32_e32 vcc_lo, 0, v6
	s_and_b32 s18, vcc_lo, exec_lo
	s_delay_alu instid0(SALU_CYCLE_1)
	s_or_b32 s15, s15, s18
	s_or_b32 exec_lo, exec_lo, s16
	v_mov_b32_e32 v2, s17
	s_and_saveexec_b32 s16, s15
	s_cbranch_execnz .LBB34_136
	s_branch .LBB34_137
.LBB34_180:                             ;   in Loop: Header=BB34_57 Depth=1
	v_bfe_u32 v6, v3, 20, 1
	s_mov_b32 s15, exec_lo
	s_delay_alu instid0(VALU_DEP_1) | instskip(NEXT) | instid1(VALU_DEP_1)
	v_add3_u32 v6, v3, v6, 0x487ffff
	v_lshrrev_b32_e32 v6, 20, v6
	s_or_saveexec_b32 s16, s16
                                        ; implicit-def: $sgpr17
	s_delay_alu instid0(SALU_CYCLE_1)
	s_xor_b32 exec_lo, exec_lo, s16
	s_cbranch_execz .LBB34_141
.LBB34_181:                             ;   in Loop: Header=BB34_57 Depth=1
	v_add_f32_e64 v6, 0x46000000, |v3|
	s_and_not1_b32 s15, s15, exec_lo
	s_mov_b32 s17, 0
	s_delay_alu instid0(VALU_DEP_1) | instskip(NEXT) | instid1(VALU_DEP_1)
	v_and_b32_e32 v6, 0xff, v6
	v_cmp_ne_u32_e32 vcc_lo, 0, v6
	s_and_b32 s18, vcc_lo, exec_lo
	s_delay_alu instid0(SALU_CYCLE_1)
	s_or_b32 s15, s15, s18
	s_or_b32 exec_lo, exec_lo, s16
	v_mov_b32_e32 v11, s17
	s_and_saveexec_b32 s16, s15
	s_cbranch_execnz .LBB34_142
	s_branch .LBB34_143
.LBB34_182:                             ;   in Loop: Header=BB34_57 Depth=1
	v_bfe_u32 v4, v6, 20, 1
	s_mov_b32 s15, exec_lo
	s_delay_alu instid0(VALU_DEP_1) | instskip(NEXT) | instid1(VALU_DEP_1)
	v_add3_u32 v4, v6, v4, 0x487ffff
	v_lshrrev_b32_e32 v7, 20, v4
	s_or_saveexec_b32 s16, s16
                                        ; implicit-def: $sgpr17
	s_delay_alu instid0(SALU_CYCLE_1)
	s_xor_b32 exec_lo, exec_lo, s16
	s_cbranch_execz .LBB34_147
.LBB34_183:                             ;   in Loop: Header=BB34_57 Depth=1
	v_add_f32_e64 v4, 0x46000000, |v6|
	s_and_not1_b32 s15, s15, exec_lo
	s_mov_b32 s17, 0
	s_delay_alu instid0(VALU_DEP_1) | instskip(NEXT) | instid1(VALU_DEP_1)
	v_and_b32_e32 v7, 0xff, v4
	v_cmp_ne_u32_e32 vcc_lo, 0, v7
	s_and_b32 s18, vcc_lo, exec_lo
	s_delay_alu instid0(SALU_CYCLE_1)
	s_or_b32 s15, s15, s18
	s_or_b32 exec_lo, exec_lo, s16
	v_mov_b32_e32 v4, s17
	s_and_saveexec_b32 s16, s15
	s_cbranch_execnz .LBB34_148
	s_branch .LBB34_149
.LBB34_184:                             ;   in Loop: Header=BB34_57 Depth=1
	v_bfe_u32 v3, v5, 20, 1
	s_mov_b32 s15, exec_lo
	s_delay_alu instid0(VALU_DEP_1) | instskip(NEXT) | instid1(VALU_DEP_1)
	v_add3_u32 v3, v5, v3, 0x487ffff
	v_lshrrev_b32_e32 v6, 20, v3
	s_or_saveexec_b32 s16, s16
                                        ; implicit-def: $sgpr17
	s_delay_alu instid0(SALU_CYCLE_1)
	s_xor_b32 exec_lo, exec_lo, s16
	s_cbranch_execz .LBB34_153
.LBB34_185:                             ;   in Loop: Header=BB34_57 Depth=1
	v_add_f32_e64 v3, 0x46000000, |v5|
	s_and_not1_b32 s15, s15, exec_lo
	s_mov_b32 s17, 0
	s_delay_alu instid0(VALU_DEP_1) | instskip(NEXT) | instid1(VALU_DEP_1)
	v_and_b32_e32 v6, 0xff, v3
	v_cmp_ne_u32_e32 vcc_lo, 0, v6
	s_and_b32 s18, vcc_lo, exec_lo
	s_delay_alu instid0(SALU_CYCLE_1)
	s_or_b32 s15, s15, s18
	s_or_b32 exec_lo, exec_lo, s16
	v_mov_b32_e32 v3, s17
	s_and_saveexec_b32 s16, s15
	s_cbranch_execz .LBB34_52
.LBB34_186:                             ;   in Loop: Header=BB34_57 Depth=1
	v_lshrrev_b32_e32 v3, 24, v5
	s_delay_alu instid0(VALU_DEP_1)
	v_and_or_b32 v3, 0x80, v3, v6
	s_branch .LBB34_52
.LBB34_187:
	s_nop 0
	s_sendmsg sendmsg(MSG_DEALLOC_VGPRS)
	s_endpgm
	.section	.rodata,"a",@progbits
	.p2align	6, 0x0
	.amdhsa_kernel _ZN4vllm31rms_norm_per_block_quant_kernelIfN3c1015Float8_e4m3fnuzELb1ELb0ELi64EEEvPT0_PfPKT_S8_PKffiiPS6_l
		.amdhsa_group_segment_fixed_size 4228
		.amdhsa_private_segment_fixed_size 0
		.amdhsa_kernarg_size 328
		.amdhsa_user_sgpr_count 15
		.amdhsa_user_sgpr_dispatch_ptr 0
		.amdhsa_user_sgpr_queue_ptr 0
		.amdhsa_user_sgpr_kernarg_segment_ptr 1
		.amdhsa_user_sgpr_dispatch_id 0
		.amdhsa_user_sgpr_private_segment_size 0
		.amdhsa_wavefront_size32 1
		.amdhsa_uses_dynamic_stack 0
		.amdhsa_enable_private_segment 0
		.amdhsa_system_sgpr_workgroup_id_x 1
		.amdhsa_system_sgpr_workgroup_id_y 0
		.amdhsa_system_sgpr_workgroup_id_z 0
		.amdhsa_system_sgpr_workgroup_info 0
		.amdhsa_system_vgpr_workitem_id 0
		.amdhsa_next_free_vgpr 37
		.amdhsa_next_free_sgpr 40
		.amdhsa_reserve_vcc 1
		.amdhsa_float_round_mode_32 0
		.amdhsa_float_round_mode_16_64 0
		.amdhsa_float_denorm_mode_32 3
		.amdhsa_float_denorm_mode_16_64 3
		.amdhsa_dx10_clamp 1
		.amdhsa_ieee_mode 1
		.amdhsa_fp16_overflow 0
		.amdhsa_workgroup_processor_mode 1
		.amdhsa_memory_ordered 1
		.amdhsa_forward_progress 0
		.amdhsa_shared_vgpr_count 0
		.amdhsa_exception_fp_ieee_invalid_op 0
		.amdhsa_exception_fp_denorm_src 0
		.amdhsa_exception_fp_ieee_div_zero 0
		.amdhsa_exception_fp_ieee_overflow 0
		.amdhsa_exception_fp_ieee_underflow 0
		.amdhsa_exception_fp_ieee_inexact 0
		.amdhsa_exception_int_div_zero 0
	.end_amdhsa_kernel
	.section	.text._ZN4vllm31rms_norm_per_block_quant_kernelIfN3c1015Float8_e4m3fnuzELb1ELb0ELi64EEEvPT0_PfPKT_S8_PKffiiPS6_l,"axG",@progbits,_ZN4vllm31rms_norm_per_block_quant_kernelIfN3c1015Float8_e4m3fnuzELb1ELb0ELi64EEEvPT0_PfPKT_S8_PKffiiPS6_l,comdat
.Lfunc_end34:
	.size	_ZN4vllm31rms_norm_per_block_quant_kernelIfN3c1015Float8_e4m3fnuzELb1ELb0ELi64EEEvPT0_PfPKT_S8_PKffiiPS6_l, .Lfunc_end34-_ZN4vllm31rms_norm_per_block_quant_kernelIfN3c1015Float8_e4m3fnuzELb1ELb0ELi64EEEvPT0_PfPKT_S8_PKffiiPS6_l
                                        ; -- End function
	.section	.AMDGPU.csdata,"",@progbits
; Kernel info:
; codeLenInByte = 11056
; NumSgprs: 42
; NumVgprs: 37
; ScratchSize: 0
; MemoryBound: 0
; FloatMode: 240
; IeeeMode: 1
; LDSByteSize: 4228 bytes/workgroup (compile time only)
; SGPRBlocks: 5
; VGPRBlocks: 4
; NumSGPRsForWavesPerEU: 42
; NumVGPRsForWavesPerEU: 37
; Occupancy: 16
; WaveLimiterHint : 0
; COMPUTE_PGM_RSRC2:SCRATCH_EN: 0
; COMPUTE_PGM_RSRC2:USER_SGPR: 15
; COMPUTE_PGM_RSRC2:TRAP_HANDLER: 0
; COMPUTE_PGM_RSRC2:TGID_X_EN: 1
; COMPUTE_PGM_RSRC2:TGID_Y_EN: 0
; COMPUTE_PGM_RSRC2:TGID_Z_EN: 0
; COMPUTE_PGM_RSRC2:TIDIG_COMP_CNT: 0
	.section	.text._ZN4vllm31rms_norm_per_block_quant_kernelIfaLb1ELb0ELi64EEEvPT0_PfPKT_S6_PKffiiPS4_l,"axG",@progbits,_ZN4vllm31rms_norm_per_block_quant_kernelIfaLb1ELb0ELi64EEEvPT0_PfPKT_S6_PKffiiPS4_l,comdat
	.protected	_ZN4vllm31rms_norm_per_block_quant_kernelIfaLb1ELb0ELi64EEEvPT0_PfPKT_S6_PKffiiPS4_l ; -- Begin function _ZN4vllm31rms_norm_per_block_quant_kernelIfaLb1ELb0ELi64EEEvPT0_PfPKT_S6_PKffiiPS4_l
	.globl	_ZN4vllm31rms_norm_per_block_quant_kernelIfaLb1ELb0ELi64EEEvPT0_PfPKT_S6_PKffiiPS4_l
	.p2align	8
	.type	_ZN4vllm31rms_norm_per_block_quant_kernelIfaLb1ELb0ELi64EEEvPT0_PfPKT_S6_PKffiiPS4_l,@function
_ZN4vllm31rms_norm_per_block_quant_kernelIfaLb1ELb0ELi64EEEvPT0_PfPKT_S6_PKffiiPS4_l: ; @_ZN4vllm31rms_norm_per_block_quant_kernelIfaLb1ELb0ELi64EEEvPT0_PfPKT_S6_PKffiiPS4_l
; %bb.0:
	s_clause 0x2
	s_load_b128 s[16:19], s[0:1], 0x28
	s_load_b256 s[4:11], s[0:1], 0x0
	s_load_b64 s[2:3], s[0:1], 0x38
	v_mov_b32_e32 v6, 0
	s_waitcnt lgkmcnt(0)
	s_ashr_i32 s12, s18, 31
	s_mul_hi_u32 s13, s18, s15
	s_mul_i32 s20, s18, s15
	s_mul_i32 s18, s12, s15
	s_ashr_i32 s19, s17, 31
	s_add_i32 s21, s13, s18
	s_mul_hi_u32 s14, s17, s15
	s_mul_i32 s13, s19, s15
	s_lshl_b64 s[20:21], s[20:21], 2
	s_mul_i32 s12, s17, s15
	s_add_i32 s13, s14, s13
	s_add_u32 s28, s8, s20
	s_addc_u32 s29, s9, s21
	s_lshl_b64 s[8:9], s[12:13], 2
	s_mov_b32 s18, s17
	s_add_u32 s30, s2, s8
	s_addc_u32 s31, s3, s9
	s_ashr_i32 s8, s17, 2
	s_add_u32 s20, s0, 0x48
	v_cmp_gt_u32_e64 s2, s8, v0
	s_mov_b32 s3, 0
	s_addc_u32 s21, s1, 0
	s_delay_alu instid0(VALU_DEP_1)
	s_and_saveexec_b32 s9, s2
	s_cbranch_execz .LBB35_10
; %bb.1:
	s_load_b32 s14, s[20:21], 0x0
	v_dual_mov_b32 v2, 0 :: v_dual_mov_b32 v1, v0
	s_waitcnt lgkmcnt(0)
	s_cmp_lt_u32 s15, s14
	s_cselect_b32 s14, 12, 18
	s_delay_alu instid0(SALU_CYCLE_1)
	s_add_u32 s22, s20, s14
	s_addc_u32 s23, s21, 0
                                        ; implicit-def: $sgpr14
	global_load_u16 v7, v2, s[22:23]
	s_waitcnt vmcnt(0)
	v_lshlrev_b32_e32 v9, 1, v7
	v_mul_lo_u32 v8, v7, 3
	v_add_nc_u32_e32 v10, v7, v7
	v_mov_b32_e32 v6, v2
	s_branch .LBB35_5
.LBB35_2:                               ;   in Loop: Header=BB35_5 Depth=1
	s_or_b32 exec_lo, exec_lo, s23
	s_delay_alu instid0(SALU_CYCLE_1)
	s_or_not1_b32 s23, s24, exec_lo
.LBB35_3:                               ;   in Loop: Header=BB35_5 Depth=1
	s_or_b32 exec_lo, exec_lo, s22
	s_delay_alu instid0(SALU_CYCLE_1) | instskip(SKIP_1) | instid1(SALU_CYCLE_1)
	s_and_not1_b32 s14, s14, exec_lo
	s_and_b32 s22, s23, exec_lo
	s_or_b32 s14, s14, s22
.LBB35_4:                               ;   in Loop: Header=BB35_5 Depth=1
	s_or_b32 exec_lo, exec_lo, s17
	s_delay_alu instid0(SALU_CYCLE_1) | instskip(NEXT) | instid1(SALU_CYCLE_1)
	s_and_b32 s17, exec_lo, s14
	s_or_b32 s3, s17, s3
	s_delay_alu instid0(SALU_CYCLE_1)
	s_and_not1_b32 exec_lo, exec_lo, s3
	s_cbranch_execz .LBB35_9
.LBB35_5:                               ; =>This Inner Loop Header: Depth=1
	v_lshlrev_b64 v[3:4], 4, v[1:2]
	s_or_b32 s14, s14, exec_lo
	s_mov_b32 s17, exec_lo
	s_delay_alu instid0(VALU_DEP_1) | instskip(NEXT) | instid1(VALU_DEP_2)
	v_add_co_u32 v11, vcc_lo, s28, v3
	v_add_co_ci_u32_e32 v12, vcc_lo, s29, v4, vcc_lo
	v_add_co_u32 v3, vcc_lo, s30, v3
	v_add_co_ci_u32_e32 v4, vcc_lo, s31, v4, vcc_lo
	global_load_b128 v[11:14], v[11:12], off
	global_load_b128 v[15:18], v[3:4], off
	s_waitcnt vmcnt(0)
	v_dual_add_f32 v3, v11, v15 :: v_dual_add_f32 v4, v12, v16
	s_delay_alu instid0(VALU_DEP_1) | instskip(NEXT) | instid1(VALU_DEP_1)
	v_dual_fmac_f32 v6, v3, v3 :: v_dual_add_f32 v3, v13, v17
	v_fmac_f32_e32 v6, v4, v4
	v_add_f32_e32 v4, v14, v18
	s_delay_alu instid0(VALU_DEP_2) | instskip(NEXT) | instid1(VALU_DEP_1)
	v_fmac_f32_e32 v6, v3, v3
	v_dual_fmac_f32 v6, v4, v4 :: v_dual_add_nc_u32 v3, v1, v7
	s_delay_alu instid0(VALU_DEP_1)
	v_cmpx_gt_u32_e64 s8, v3
	s_cbranch_execz .LBB35_4
; %bb.6:                                ;   in Loop: Header=BB35_5 Depth=1
	v_mov_b32_e32 v4, v2
	s_mov_b32 s23, -1
	s_mov_b32 s22, exec_lo
	s_delay_alu instid0(VALU_DEP_1) | instskip(NEXT) | instid1(VALU_DEP_1)
	v_lshlrev_b64 v[4:5], 4, v[3:4]
	v_add_co_u32 v11, vcc_lo, s28, v4
	s_delay_alu instid0(VALU_DEP_2)
	v_add_co_ci_u32_e32 v12, vcc_lo, s29, v5, vcc_lo
	v_add_co_u32 v4, vcc_lo, s30, v4
	v_add_co_ci_u32_e32 v5, vcc_lo, s31, v5, vcc_lo
	global_load_b128 v[11:14], v[11:12], off
	global_load_b128 v[15:18], v[4:5], off
	s_waitcnt vmcnt(0)
	v_dual_add_f32 v5, v12, v16 :: v_dual_add_f32 v4, v11, v15
	s_delay_alu instid0(VALU_DEP_1) | instskip(SKIP_1) | instid1(VALU_DEP_2)
	v_fmac_f32_e32 v6, v4, v4
	v_add_f32_e32 v4, v13, v17
	v_dual_fmac_f32 v6, v5, v5 :: v_dual_add_f32 v5, v14, v18
	s_delay_alu instid0(VALU_DEP_1) | instskip(SKIP_1) | instid1(VALU_DEP_2)
	v_fmac_f32_e32 v6, v4, v4
	v_add_nc_u32_e32 v4, v9, v1
	v_fmac_f32_e32 v6, v5, v5
	s_delay_alu instid0(VALU_DEP_2)
	v_cmpx_gt_u32_e64 s8, v4
	s_cbranch_execz .LBB35_3
; %bb.7:                                ;   in Loop: Header=BB35_5 Depth=1
	v_mov_b32_e32 v5, v2
	v_add_nc_u32_e32 v1, v8, v1
	s_mov_b32 s24, -1
	s_mov_b32 s23, exec_lo
	s_delay_alu instid0(VALU_DEP_2) | instskip(NEXT) | instid1(VALU_DEP_1)
	v_lshlrev_b64 v[4:5], 4, v[4:5]
	v_add_co_u32 v11, vcc_lo, s28, v4
	s_delay_alu instid0(VALU_DEP_2)
	v_add_co_ci_u32_e32 v12, vcc_lo, s29, v5, vcc_lo
	v_add_co_u32 v4, vcc_lo, s30, v4
	v_add_co_ci_u32_e32 v5, vcc_lo, s31, v5, vcc_lo
	global_load_b128 v[11:14], v[11:12], off
	global_load_b128 v[15:18], v[4:5], off
	s_waitcnt vmcnt(0)
	v_dual_add_f32 v4, v11, v15 :: v_dual_add_f32 v5, v12, v16
	s_delay_alu instid0(VALU_DEP_1) | instskip(SKIP_1) | instid1(VALU_DEP_2)
	v_fmac_f32_e32 v6, v4, v4
	v_add_f32_e32 v4, v13, v17
	v_dual_fmac_f32 v6, v5, v5 :: v_dual_add_f32 v5, v14, v18
	s_delay_alu instid0(VALU_DEP_1) | instskip(NEXT) | instid1(VALU_DEP_1)
	v_fmac_f32_e32 v6, v4, v4
	v_fmac_f32_e32 v6, v5, v5
	v_cmpx_gt_u32_e64 s8, v1
	s_xor_b32 s23, exec_lo, s23
	s_cbranch_execz .LBB35_2
; %bb.8:                                ;   in Loop: Header=BB35_5 Depth=1
	v_lshlrev_b64 v[4:5], 4, v[1:2]
	s_delay_alu instid0(VALU_DEP_1) | instskip(NEXT) | instid1(VALU_DEP_2)
	v_add_co_u32 v11, vcc_lo, s28, v4
	v_add_co_ci_u32_e32 v12, vcc_lo, s29, v5, vcc_lo
	v_add_co_u32 v4, vcc_lo, s30, v4
	v_add_co_ci_u32_e32 v5, vcc_lo, s31, v5, vcc_lo
	global_load_b128 v[11:14], v[11:12], off
	global_load_b128 v[15:18], v[4:5], off
	s_waitcnt vmcnt(0)
	v_dual_add_f32 v1, v11, v15 :: v_dual_add_f32 v4, v12, v16
	s_delay_alu instid0(VALU_DEP_1) | instskip(SKIP_2) | instid1(VALU_DEP_3)
	v_fmac_f32_e32 v6, v1, v1
	v_add3_u32 v1, v10, v7, v3
	v_add_f32_e32 v3, v14, v18
	v_dual_add_f32 v5, v13, v17 :: v_dual_fmac_f32 v6, v4, v4
	s_delay_alu instid0(VALU_DEP_3) | instskip(NEXT) | instid1(VALU_DEP_2)
	v_cmp_le_u32_e32 vcc_lo, s8, v1
	v_fmac_f32_e32 v6, v5, v5
	s_or_not1_b32 s24, vcc_lo, exec_lo
	s_delay_alu instid0(VALU_DEP_1)
	v_fmac_f32_e32 v6, v3, v3
	s_branch .LBB35_2
.LBB35_9:
	s_or_b32 exec_lo, exec_lo, s3
.LBB35_10:
	s_delay_alu instid0(SALU_CYCLE_1) | instskip(SKIP_3) | instid1(VALU_DEP_2)
	s_or_b32 exec_lo, exec_lo, s9
	v_mbcnt_lo_u32_b32 v1, -1, 0
	s_load_b32 s3, s[20:21], 0xc
	v_and_b32_e32 v7, 0x3e0, v0
	v_cmp_ne_u32_e32 vcc_lo, 31, v1
	v_add_nc_u32_e32 v3, 1, v1
	v_add_co_ci_u32_e32 v2, vcc_lo, 0, v1, vcc_lo
	v_cmp_gt_u32_e32 vcc_lo, 30, v1
	s_delay_alu instid0(VALU_DEP_2)
	v_lshlrev_b32_e32 v2, 2, v2
	v_cndmask_b32_e64 v5, 0, 1, vcc_lo
	ds_bpermute_b32 v4, v2, v6
	s_waitcnt lgkmcnt(0)
	s_and_b32 s33, s3, 0xffff
	v_lshlrev_b32_e32 v5, 1, v5
	v_sub_nc_u32_e64 v12, s33, v7 clamp
	s_mov_b32 s3, exec_lo
	s_delay_alu instid0(VALU_DEP_1) | instskip(SKIP_2) | instid1(VALU_DEP_2)
	v_cmp_lt_u32_e32 vcc_lo, v3, v12
	v_add_f32_e32 v7, v6, v4
	v_add_lshl_u32 v4, v5, v1, 2
	v_cndmask_b32_e32 v7, v6, v7, vcc_lo
	v_cmp_gt_u32_e32 vcc_lo, 28, v1
	v_cndmask_b32_e64 v5, 0, 1, vcc_lo
	s_delay_alu instid0(VALU_DEP_1) | instskip(SKIP_2) | instid1(VALU_DEP_1)
	v_lshlrev_b32_e32 v8, 2, v5
	ds_bpermute_b32 v6, v4, v7
	v_add_nc_u32_e32 v5, 2, v1
	v_cmp_lt_u32_e32 vcc_lo, v5, v12
	s_waitcnt lgkmcnt(0)
	v_add_f32_e32 v9, v7, v6
	v_add_lshl_u32 v6, v8, v1, 2
	s_delay_alu instid0(VALU_DEP_2) | instskip(SKIP_3) | instid1(VALU_DEP_1)
	v_cndmask_b32_e32 v9, v7, v9, vcc_lo
	v_cmp_gt_u32_e32 vcc_lo, 24, v1
	ds_bpermute_b32 v8, v6, v9
	v_cndmask_b32_e64 v7, 0, 1, vcc_lo
	v_lshlrev_b32_e32 v10, 3, v7
	v_add_nc_u32_e32 v7, 4, v1
	s_delay_alu instid0(VALU_DEP_1) | instskip(SKIP_3) | instid1(VALU_DEP_2)
	v_cmp_lt_u32_e32 vcc_lo, v7, v12
	s_waitcnt lgkmcnt(0)
	v_add_f32_e32 v11, v9, v8
	v_add_lshl_u32 v8, v10, v1, 2
	v_cndmask_b32_e32 v11, v9, v11, vcc_lo
	v_cmp_gt_u32_e32 vcc_lo, 16, v1
	ds_bpermute_b32 v10, v8, v11
	v_cndmask_b32_e64 v9, 0, 1, vcc_lo
	s_delay_alu instid0(VALU_DEP_1) | instskip(SKIP_1) | instid1(VALU_DEP_1)
	v_lshlrev_b32_e32 v13, 4, v9
	v_add_nc_u32_e32 v9, 8, v1
	v_cmp_lt_u32_e32 vcc_lo, v9, v12
	s_waitcnt lgkmcnt(0)
	v_add_f32_e32 v14, v11, v10
	v_add_lshl_u32 v10, v13, v1, 2
	s_delay_alu instid0(VALU_DEP_2)
	v_cndmask_b32_e32 v13, v11, v14, vcc_lo
	v_add_nc_u32_e32 v11, 16, v1
	ds_bpermute_b32 v14, v10, v13
	v_cmp_lt_u32_e32 vcc_lo, v11, v12
	s_waitcnt lgkmcnt(0)
	v_add_f32_e32 v14, v13, v14
	s_delay_alu instid0(VALU_DEP_1)
	v_cndmask_b32_e32 v12, v13, v14, vcc_lo
	v_cmpx_eq_u32_e32 0, v1
	s_cbranch_execz .LBB35_12
; %bb.11:
	v_lshrrev_b32_e32 v13, 3, v0
	s_delay_alu instid0(VALU_DEP_1)
	v_and_b32_e32 v13, 0x7c, v13
	ds_store_b32 v13, v12 offset:4096
.LBB35_12:
	s_or_b32 exec_lo, exec_lo, s3
	s_delay_alu instid0(SALU_CYCLE_1)
	s_mov_b32 s3, exec_lo
	s_waitcnt lgkmcnt(0)
	s_barrier
	buffer_gl0_inv
	v_cmpx_gt_u32_e32 32, v0
	s_cbranch_execz .LBB35_14
; %bb.13:
	v_lshlrev_b32_e32 v1, 2, v1
	s_add_i32 s9, s33, 31
	s_delay_alu instid0(SALU_CYCLE_1) | instskip(NEXT) | instid1(SALU_CYCLE_1)
	s_lshr_b32 s9, s9, 5
	v_cmp_gt_u32_e32 vcc_lo, s9, v3
	ds_load_b32 v1, v1 offset:4096
	s_waitcnt lgkmcnt(0)
	ds_bpermute_b32 v2, v2, v1
	s_waitcnt lgkmcnt(0)
	v_add_f32_e32 v2, v1, v2
	s_delay_alu instid0(VALU_DEP_1) | instskip(SKIP_4) | instid1(VALU_DEP_1)
	v_cndmask_b32_e32 v1, v1, v2, vcc_lo
	v_cmp_gt_u32_e32 vcc_lo, s9, v5
	ds_bpermute_b32 v2, v4, v1
	s_waitcnt lgkmcnt(0)
	v_add_f32_e32 v2, v1, v2
	v_cndmask_b32_e32 v1, v1, v2, vcc_lo
	v_cmp_gt_u32_e32 vcc_lo, s9, v7
	ds_bpermute_b32 v2, v6, v1
	s_waitcnt lgkmcnt(0)
	v_add_f32_e32 v2, v1, v2
	s_delay_alu instid0(VALU_DEP_1) | instskip(SKIP_4) | instid1(VALU_DEP_1)
	v_cndmask_b32_e32 v1, v1, v2, vcc_lo
	v_cmp_gt_u32_e32 vcc_lo, s9, v9
	ds_bpermute_b32 v2, v8, v1
	s_waitcnt lgkmcnt(0)
	v_add_f32_e32 v2, v1, v2
	v_cndmask_b32_e32 v1, v1, v2, vcc_lo
	v_cmp_gt_u32_e32 vcc_lo, s9, v11
	ds_bpermute_b32 v2, v10, v1
	s_waitcnt lgkmcnt(0)
	v_add_f32_e32 v2, v1, v2
	s_delay_alu instid0(VALU_DEP_1)
	v_cndmask_b32_e32 v12, v1, v2, vcc_lo
.LBB35_14:
	s_or_b32 exec_lo, exec_lo, s3
	s_delay_alu instid0(SALU_CYCLE_1)
	s_mov_b32 s3, exec_lo
	v_cmpx_eq_u32_e32 0, v0
	s_cbranch_execz .LBB35_16
; %bb.15:
	v_cvt_f32_i32_e32 v1, s18
	s_delay_alu instid0(VALU_DEP_1) | instskip(SKIP_1) | instid1(VALU_DEP_2)
	v_div_scale_f32 v2, null, v1, v1, v12
	v_div_scale_f32 v5, vcc_lo, v12, v1, v12
	v_rcp_f32_e32 v3, v2
	s_waitcnt_depctr 0xfff
	v_fma_f32 v4, -v2, v3, 1.0
	s_delay_alu instid0(VALU_DEP_1) | instskip(NEXT) | instid1(VALU_DEP_1)
	v_fmac_f32_e32 v3, v4, v3
	v_mul_f32_e32 v4, v5, v3
	s_delay_alu instid0(VALU_DEP_1) | instskip(NEXT) | instid1(VALU_DEP_1)
	v_fma_f32 v6, -v2, v4, v5
	v_fmac_f32_e32 v4, v6, v3
	s_delay_alu instid0(VALU_DEP_1) | instskip(NEXT) | instid1(VALU_DEP_1)
	v_fma_f32 v2, -v2, v4, v5
	v_div_fmas_f32 v2, v2, v3, v4
	s_delay_alu instid0(VALU_DEP_1) | instskip(NEXT) | instid1(VALU_DEP_1)
	v_div_fixup_f32 v1, v2, v1, v12
	v_add_f32_e32 v1, s16, v1
	s_delay_alu instid0(VALU_DEP_1) | instskip(SKIP_1) | instid1(VALU_DEP_2)
	v_mul_f32_e32 v2, 0x4b800000, v1
	v_cmp_gt_f32_e32 vcc_lo, 0x800000, v1
	v_cndmask_b32_e32 v1, v1, v2, vcc_lo
	s_delay_alu instid0(VALU_DEP_1) | instskip(SKIP_2) | instid1(VALU_DEP_1)
	v_rsq_f32_e32 v1, v1
	s_waitcnt_depctr 0xfff
	v_mul_f32_e32 v2, 0x45800000, v1
	v_dual_cndmask_b32 v1, v1, v2 :: v_dual_mov_b32 v2, 0
	ds_store_b32 v2, v1 offset:4224
.LBB35_16:
	s_or_b32 exec_lo, exec_lo, s3
	s_ashr_i32 s3, s18, 31
	s_waitcnt lgkmcnt(0)
	s_lshr_b32 s3, s3, 26
	s_barrier
	s_add_i32 s3, s18, s3
	buffer_gl0_inv
	s_ashr_i32 s16, s3, 6
	s_ashr_i32 s3, s3, 31
	s_abs_i32 s9, s16
	s_delay_alu instid0(SALU_CYCLE_1) | instskip(SKIP_1) | instid1(VALU_DEP_1)
	v_cvt_f32_u32_e32 v1, s9
	s_sub_i32 s17, 0, s9
	v_rcp_iflag_f32_e32 v1, v1
	s_waitcnt_depctr 0xfff
	v_mul_f32_e32 v1, 0x4f7ffffe, v1
	s_delay_alu instid0(VALU_DEP_1) | instskip(NEXT) | instid1(VALU_DEP_1)
	v_cvt_u32_f32_e32 v1, v1
	v_readfirstlane_b32 s14, v1
	s_delay_alu instid0(VALU_DEP_1) | instskip(NEXT) | instid1(SALU_CYCLE_1)
	s_mul_i32 s17, s17, s14
	s_mul_hi_u32 s17, s14, s17
	s_delay_alu instid0(SALU_CYCLE_1) | instskip(NEXT) | instid1(SALU_CYCLE_1)
	s_add_i32 s14, s14, s17
	s_mul_hi_u32 s14, s33, s14
	s_delay_alu instid0(SALU_CYCLE_1) | instskip(SKIP_2) | instid1(SALU_CYCLE_1)
	s_mul_i32 s17, s14, s9
	s_add_i32 s20, s14, 1
	s_sub_i32 s17, s33, s17
	s_sub_i32 s21, s17, s9
	s_cmp_ge_u32 s17, s9
	s_cselect_b32 s14, s20, s14
	s_cselect_b32 s17, s21, s17
	s_add_i32 s20, s14, 1
	s_cmp_ge_u32 s17, s9
	s_cselect_b32 s9, s20, s14
	s_delay_alu instid0(SALU_CYCLE_1) | instskip(NEXT) | instid1(SALU_CYCLE_1)
	s_xor_b32 s9, s9, s3
	s_sub_i32 s20, s9, s3
	s_delay_alu instid0(SALU_CYCLE_1) | instskip(SKIP_3) | instid1(VALU_DEP_1)
	s_abs_i32 s3, s20
	s_ashr_i32 s21, s20, 31
	v_cvt_f32_u32_e32 v1, s3
	s_sub_i32 s9, 0, s3
	v_rcp_iflag_f32_e32 v1, v1
	s_waitcnt_depctr 0xfff
	v_mul_f32_e32 v1, 0x4f7ffffe, v1
	s_delay_alu instid0(VALU_DEP_1) | instskip(NEXT) | instid1(VALU_DEP_1)
	v_cvt_u32_f32_e32 v1, v1
	v_mul_lo_u32 v2, s9, v1
	s_ashr_i32 s9, s8, 31
	s_delay_alu instid0(VALU_DEP_1) | instskip(NEXT) | instid1(VALU_DEP_1)
	v_mul_hi_u32 v2, v1, v2
	v_add_nc_u32_e32 v1, v1, v2
	s_delay_alu instid0(VALU_DEP_1) | instskip(NEXT) | instid1(VALU_DEP_1)
	v_mul_hi_u32 v1, v0, v1
	v_mul_lo_u32 v2, v1, s3
	v_add_nc_u32_e32 v3, 1, v1
	s_delay_alu instid0(VALU_DEP_2) | instskip(NEXT) | instid1(VALU_DEP_1)
	v_sub_nc_u32_e32 v2, v0, v2
	v_subrev_nc_u32_e32 v4, s3, v2
	v_cmp_le_u32_e32 vcc_lo, s3, v2
	s_delay_alu instid0(VALU_DEP_2) | instskip(NEXT) | instid1(VALU_DEP_1)
	v_dual_cndmask_b32 v1, v1, v3 :: v_dual_cndmask_b32 v2, v2, v4
	v_dual_mov_b32 v4, 0 :: v_dual_add_nc_u32 v3, 1, v1
	s_delay_alu instid0(VALU_DEP_2) | instskip(SKIP_2) | instid1(VALU_DEP_1)
	v_cmp_le_u32_e32 vcc_lo, s3, v2
	ds_load_b32 v28, v4 offset:4224
	v_cndmask_b32_e32 v1, v1, v3, vcc_lo
	v_xor_b32_e32 v1, s21, v1
	s_delay_alu instid0(VALU_DEP_1) | instskip(NEXT) | instid1(VALU_DEP_1)
	v_subrev_nc_u32_e32 v1, s21, v1
	v_ashrrev_i32_e32 v2, 31, v1
	v_mul_lo_u32 v3, v1, s20
	s_delay_alu instid0(VALU_DEP_2) | instskip(NEXT) | instid1(VALU_DEP_2)
	v_lshlrev_b64 v[7:8], 4, v[1:2]
	v_sub_nc_u32_e32 v3, v0, v3
	s_delay_alu instid0(VALU_DEP_2) | instskip(NEXT) | instid1(VALU_DEP_3)
	v_add_co_u32 v5, vcc_lo, v7, 16
	v_add_co_ci_u32_e32 v6, vcc_lo, 0, v8, vcc_lo
	s_delay_alu instid0(VALU_DEP_1) | instskip(SKIP_4) | instid1(VALU_DEP_3)
	v_cmp_gt_i64_e32 vcc_lo, s[8:9], v[5:6]
	v_cndmask_b32_e32 v6, s9, v6, vcc_lo
	v_cndmask_b32_e32 v5, s8, v5, vcc_lo
	v_add_co_u32 v7, vcc_lo, v7, v3
	v_add_co_ci_u32_e32 v8, vcc_lo, 0, v8, vcc_lo
	v_ashrrev_i32_e32 v10, 31, v5
	v_mov_b32_e32 v9, v5
	s_mov_b32 s9, exec_lo
	s_delay_alu instid0(VALU_DEP_1)
	v_cmpx_lt_i64_e64 v[7:8], v[9:10]
	s_cbranch_execz .LBB35_26
; %bb.17:
	v_lshlrev_b64 v[11:12], 8, v[1:2]
	v_lshlrev_b64 v[13:14], 4, v[3:4]
	v_mov_b32_e32 v4, 0
	s_lshl_b64 s[22:23], s[20:21], 6
	s_mul_hi_i32 s14, s20, 3
	s_mul_i32 s17, s20, 3
	s_lshl_b64 s[24:25], s[20:21], 1
	v_add_co_u32 v21, vcc_lo, v11, v13
	v_add_co_ci_u32_e32 v22, vcc_lo, v12, v14, vcc_lo
	v_dual_mov_b32 v12, v8 :: v_dual_mov_b32 v11, v7
	s_lshl_b64 s[26:27], s[20:21], 4
	s_mov_b32 s34, 0
                                        ; implicit-def: $sgpr35
	s_branch .LBB35_21
.LBB35_18:                              ;   in Loop: Header=BB35_21 Depth=1
	s_or_b32 exec_lo, exec_lo, s38
	s_delay_alu instid0(SALU_CYCLE_1)
	s_or_not1_b32 s3, s3, exec_lo
.LBB35_19:                              ;   in Loop: Header=BB35_21 Depth=1
	s_or_b32 exec_lo, exec_lo, s37
	s_delay_alu instid0(SALU_CYCLE_1) | instskip(SKIP_1) | instid1(SALU_CYCLE_1)
	s_and_not1_b32 s35, s35, exec_lo
	s_and_b32 s3, s3, exec_lo
	s_or_b32 s35, s35, s3
.LBB35_20:                              ;   in Loop: Header=BB35_21 Depth=1
	s_or_b32 exec_lo, exec_lo, s36
	s_delay_alu instid0(SALU_CYCLE_1) | instskip(NEXT) | instid1(SALU_CYCLE_1)
	s_and_b32 s3, exec_lo, s35
	s_or_b32 s34, s3, s34
	s_delay_alu instid0(SALU_CYCLE_1)
	s_and_not1_b32 exec_lo, exec_lo, s34
	s_cbranch_execz .LBB35_25
.LBB35_21:                              ; =>This Inner Loop Header: Depth=1
	v_add_co_u32 v15, vcc_lo, s28, v21
	v_add_co_ci_u32_e32 v16, vcc_lo, s29, v22, vcc_lo
	v_add_co_u32 v19, vcc_lo, s30, v21
	v_add_co_ci_u32_e32 v20, vcc_lo, s31, v22, vcc_lo
	v_add_co_u32 v17, vcc_lo, s10, v21
	global_load_b128 v[23:26], v[15:16], off
	global_load_b128 v[29:32], v[19:20], off
	v_add_co_ci_u32_e32 v18, vcc_lo, s11, v22, vcc_lo
	s_or_b32 s35, s35, exec_lo
	s_mov_b32 s36, exec_lo
	global_load_b128 v[33:36], v[17:18], off
	s_waitcnt vmcnt(1)
	v_dual_add_f32 v13, v23, v29 :: v_dual_add_f32 v14, v24, v30
	v_dual_add_f32 v23, v25, v31 :: v_dual_add_f32 v24, v26, v32
	s_waitcnt lgkmcnt(0)
	s_delay_alu instid0(VALU_DEP_2) | instskip(NEXT) | instid1(VALU_DEP_3)
	v_mul_f32_e32 v14, v28, v14
	v_mul_f32_e32 v13, v28, v13
	s_delay_alu instid0(VALU_DEP_3) | instskip(SKIP_2) | instid1(VALU_DEP_3)
	v_mul_f32_e32 v23, v28, v23
	v_mul_f32_e32 v24, v28, v24
	s_waitcnt vmcnt(0)
	v_dual_mul_f32 v26, v34, v14 :: v_dual_mul_f32 v25, v33, v13
	s_delay_alu instid0(VALU_DEP_2) | instskip(SKIP_1) | instid1(VALU_DEP_3)
	v_dual_mul_f32 v23, v35, v23 :: v_dual_mul_f32 v24, v36, v24
	v_add_co_u32 v13, vcc_lo, v11, s20
	v_max3_f32 v4, v4, |v25|, |v26|
	v_add_co_ci_u32_e32 v14, vcc_lo, s21, v12, vcc_lo
	s_delay_alu instid0(VALU_DEP_2) | instskip(NEXT) | instid1(VALU_DEP_2)
	v_max3_f32 v4, v4, |v23|, |v24|
	v_cmpx_lt_i64_e64 v[13:14], v[9:10]
	s_cbranch_execz .LBB35_20
; %bb.22:                               ;   in Loop: Header=BB35_21 Depth=1
	v_add_co_u32 v15, vcc_lo, v15, s26
	v_add_co_ci_u32_e32 v16, vcc_lo, s27, v16, vcc_lo
	v_add_co_u32 v19, vcc_lo, v19, s26
	v_add_co_ci_u32_e32 v20, vcc_lo, s27, v20, vcc_lo
	v_add_co_u32 v17, vcc_lo, v17, s26
	global_load_b128 v[23:26], v[15:16], off
	global_load_b128 v[29:32], v[19:20], off
	v_add_co_ci_u32_e32 v18, vcc_lo, s27, v18, vcc_lo
	s_mov_b32 s3, -1
	s_mov_b32 s37, exec_lo
	global_load_b128 v[33:36], v[17:18], off
	s_waitcnt vmcnt(1)
	v_dual_add_f32 v23, v23, v29 :: v_dual_add_f32 v24, v24, v30
	v_dual_add_f32 v25, v25, v31 :: v_dual_add_f32 v26, v26, v32
	s_delay_alu instid0(VALU_DEP_2) | instskip(NEXT) | instid1(VALU_DEP_3)
	v_mul_f32_e32 v23, v28, v23
	v_mul_f32_e32 v24, v28, v24
	s_delay_alu instid0(VALU_DEP_3) | instskip(SKIP_1) | instid1(VALU_DEP_3)
	v_mul_f32_e32 v25, v28, v25
	s_waitcnt vmcnt(0)
	v_dual_mul_f32 v27, v33, v23 :: v_dual_mul_f32 v26, v28, v26
	s_delay_alu instid0(VALU_DEP_3) | instskip(NEXT) | instid1(VALU_DEP_3)
	v_mul_f32_e32 v29, v34, v24
	v_mul_f32_e32 v25, v35, v25
	v_add_co_u32 v23, vcc_lo, s24, v11
	s_delay_alu instid0(VALU_DEP_4) | instskip(NEXT) | instid1(VALU_DEP_4)
	v_mul_f32_e32 v26, v36, v26
	v_max3_f32 v4, v4, |v27|, |v29|
	v_add_co_ci_u32_e32 v24, vcc_lo, s25, v12, vcc_lo
	s_delay_alu instid0(VALU_DEP_2) | instskip(NEXT) | instid1(VALU_DEP_2)
	v_max3_f32 v4, v4, |v25|, |v26|
	v_cmpx_lt_i64_e64 v[23:24], v[9:10]
	s_cbranch_execz .LBB35_19
; %bb.23:                               ;   in Loop: Header=BB35_21 Depth=1
	v_add_co_u32 v15, vcc_lo, v15, s26
	v_add_co_ci_u32_e32 v16, vcc_lo, s27, v16, vcc_lo
	v_add_co_u32 v19, vcc_lo, v19, s26
	v_add_co_ci_u32_e32 v20, vcc_lo, s27, v20, vcc_lo
	v_add_co_u32 v17, vcc_lo, v17, s26
	global_load_b128 v[23:26], v[15:16], off
	global_load_b128 v[29:32], v[19:20], off
	v_add_co_ci_u32_e32 v18, vcc_lo, s27, v18, vcc_lo
	v_add_co_u32 v11, vcc_lo, s17, v11
	v_add_co_ci_u32_e32 v12, vcc_lo, s14, v12, vcc_lo
	global_load_b128 v[33:36], v[17:18], off
	v_cmp_lt_i64_e32 vcc_lo, v[11:12], v[9:10]
                                        ; implicit-def: $vgpr11_vgpr12
	s_waitcnt vmcnt(1)
	v_dual_add_f32 v23, v23, v29 :: v_dual_add_f32 v24, v24, v30
	v_dual_add_f32 v25, v25, v31 :: v_dual_add_f32 v26, v26, v32
	s_delay_alu instid0(VALU_DEP_2) | instskip(NEXT) | instid1(VALU_DEP_3)
	v_mul_f32_e32 v24, v28, v24
	v_mul_f32_e32 v23, v28, v23
	s_delay_alu instid0(VALU_DEP_3) | instskip(NEXT) | instid1(VALU_DEP_4)
	v_mul_f32_e32 v25, v28, v25
	v_mul_f32_e32 v26, v28, v26
	s_waitcnt vmcnt(0)
	s_delay_alu instid0(VALU_DEP_3) | instskip(NEXT) | instid1(VALU_DEP_3)
	v_dual_mul_f32 v24, v34, v24 :: v_dual_mul_f32 v23, v33, v23
	v_mul_f32_e32 v25, v35, v25
	s_delay_alu instid0(VALU_DEP_2) | instskip(SKIP_1) | instid1(VALU_DEP_1)
	v_max3_f32 v4, v4, |v23|, |v24|
	v_mul_f32_e32 v23, v36, v26
	v_max3_f32 v4, v4, |v25|, |v23|
	s_and_saveexec_b32 s38, vcc_lo
	s_delay_alu instid0(SALU_CYCLE_1)
	s_xor_b32 s38, exec_lo, s38
	s_cbranch_execz .LBB35_18
; %bb.24:                               ;   in Loop: Header=BB35_21 Depth=1
	v_add_co_u32 v11, vcc_lo, v15, s26
	v_add_co_ci_u32_e32 v12, vcc_lo, s27, v16, vcc_lo
	v_add_co_u32 v15, vcc_lo, v19, s26
	v_add_co_ci_u32_e32 v16, vcc_lo, s27, v20, vcc_lo
	s_add_u32 s3, s20, s20
	global_load_b128 v[23:26], v[11:12], off
	global_load_b128 v[29:32], v[15:16], off
	v_add_co_u32 v11, vcc_lo, v17, s26
	v_add_co_ci_u32_e32 v12, vcc_lo, s27, v18, vcc_lo
	s_addc_u32 s39, s21, s21
	s_add_u32 s3, s3, s20
	s_addc_u32 s39, s39, s21
	global_load_b128 v[15:18], v[11:12], off
	s_waitcnt vmcnt(1)
	v_dual_add_f32 v11, v23, v29 :: v_dual_add_f32 v12, v24, v30
	v_dual_add_f32 v19, v25, v31 :: v_dual_add_f32 v20, v26, v32
	s_delay_alu instid0(VALU_DEP_1) | instskip(NEXT) | instid1(VALU_DEP_2)
	v_mul_f32_e32 v19, v28, v19
	v_mul_f32_e32 v20, v28, v20
	s_delay_alu instid0(VALU_DEP_4) | instskip(SKIP_1) | instid1(VALU_DEP_1)
	v_mul_f32_e32 v11, v28, v11
	s_waitcnt vmcnt(0)
	v_dual_mul_f32 v12, v28, v12 :: v_dual_mul_f32 v15, v15, v11
	s_delay_alu instid0(VALU_DEP_1) | instskip(SKIP_3) | instid1(VALU_DEP_4)
	v_mul_f32_e32 v16, v16, v12
	v_add_co_u32 v11, vcc_lo, s3, v13
	v_add_co_ci_u32_e32 v12, vcc_lo, s39, v14, vcc_lo
	v_dual_mul_f32 v13, v17, v19 :: v_dual_mul_f32 v14, v18, v20
	v_max3_f32 v4, v4, |v15|, |v16|
	s_delay_alu instid0(VALU_DEP_3) | instskip(SKIP_1) | instid1(VALU_DEP_1)
	v_cmp_ge_i64_e32 vcc_lo, v[11:12], v[9:10]
	v_add_co_u32 v21, s3, v21, s22
	v_add_co_ci_u32_e64 v22, s3, s23, v22, s3
	s_delay_alu instid0(VALU_DEP_4)
	v_max3_f32 v4, v4, |v13|, |v14|
	s_or_not1_b32 s3, vcc_lo, exec_lo
	s_branch .LBB35_18
.LBB35_25:
	s_or_b32 exec_lo, exec_lo, s34
.LBB35_26:
	s_delay_alu instid0(SALU_CYCLE_1)
	s_or_b32 exec_lo, exec_lo, s9
	s_lshr_b32 s9, s33, 5
	v_lshlrev_b32_e32 v29, 2, v0
	v_cvt_f32_u32_e32 v9, s9
	s_sub_i32 s14, 0, s9
	s_add_i32 s17, s16, s9
	s_delay_alu instid0(SALU_CYCLE_1) | instskip(NEXT) | instid1(VALU_DEP_1)
	s_add_i32 s22, s17, -1
	v_rcp_iflag_f32_e32 v9, v9
	s_abs_i32 s23, s22
	s_ashr_i32 s17, s16, 31
	s_ashr_i32 s22, s22, 31
	ds_store_b32 v29, v4
	s_waitcnt lgkmcnt(0)
	s_barrier
	buffer_gl0_inv
	v_mul_f32_e32 v9, 0x4f7ffffe, v9
	s_delay_alu instid0(VALU_DEP_1) | instskip(NEXT) | instid1(VALU_DEP_1)
	v_cvt_u32_f32_e32 v9, v9
	v_readfirstlane_b32 s3, v9
	s_delay_alu instid0(VALU_DEP_1) | instskip(NEXT) | instid1(SALU_CYCLE_1)
	s_mul_i32 s14, s14, s3
	s_mul_hi_u32 s14, s3, s14
	s_delay_alu instid0(SALU_CYCLE_1) | instskip(NEXT) | instid1(SALU_CYCLE_1)
	s_add_i32 s3, s3, s14
	s_mul_hi_u32 s3, s23, s3
	s_delay_alu instid0(SALU_CYCLE_1) | instskip(NEXT) | instid1(SALU_CYCLE_1)
	s_mul_i32 s14, s3, s9
	s_sub_i32 s14, s23, s14
	s_add_i32 s23, s3, 1
	s_sub_i32 s24, s14, s9
	s_cmp_ge_u32 s14, s9
	s_cselect_b32 s3, s23, s3
	s_cselect_b32 s14, s24, s14
	s_add_i32 s23, s3, 1
	s_cmp_ge_u32 s14, s9
	s_cselect_b32 s3, s23, s3
	s_delay_alu instid0(SALU_CYCLE_1) | instskip(NEXT) | instid1(SALU_CYCLE_1)
	s_xor_b32 s3, s3, s22
	s_sub_i32 s22, s3, s22
	s_delay_alu instid0(SALU_CYCLE_1) | instskip(NEXT) | instid1(SALU_CYCLE_1)
	s_ashr_i32 s23, s22, 31
	v_cmp_lt_i64_e64 s3, s[22:23], 1
	s_delay_alu instid0(VALU_DEP_1)
	s_and_b32 vcc_lo, exec_lo, s3
	s_cbranch_vccnz .LBB35_46
; %bb.27:
	v_lshrrev_b32_e32 v9, 5, v0
	v_and_b32_e32 v4, 31, v0
	s_mov_b64 s[24:25], 0
	s_mov_b64 s[26:27], src_shared_base
	s_delay_alu instid0(VALU_DEP_2) | instskip(NEXT) | instid1(VALU_DEP_2)
	v_mul_lo_u32 v19, s20, v9
	v_add_co_u32 v11, s3, v4, 16
	s_delay_alu instid0(VALU_DEP_1) | instskip(SKIP_1) | instid1(VALU_DEP_1)
	v_add_co_ci_u32_e64 v12, null, 0, 0, s3
	v_add_co_u32 v13, s3, v4, 8
	v_add_co_ci_u32_e64 v14, null, 0, 0, s3
	v_add_co_u32 v15, s3, v4, 4
	v_dual_mov_b32 v10, 0 :: v_dual_lshlrev_b32 v21, 2, v19
	v_lshlrev_b32_e32 v22, 2, v4
	v_add_co_ci_u32_e64 v16, null, 0, 0, s3
	v_add_co_u32 v17, s3, v4, 2
	s_delay_alu instid0(VALU_DEP_1) | instskip(SKIP_1) | instid1(VALU_DEP_1)
	v_add_co_ci_u32_e64 v18, null, 0, 0, s3
	v_add_co_u32 v19, s3, v4, 1
	v_add_co_ci_u32_e64 v20, null, 0, 0, s3
	v_add3_u32 v30, v21, v22, 0x80
	s_mul_i32 s3, s20, s9
	s_delay_alu instid0(SALU_CYCLE_1)
	s_lshl_b32 s14, s3, 2
	s_branch .LBB35_30
.LBB35_28:                              ;   in Loop: Header=BB35_30 Depth=1
	s_or_b32 exec_lo, exec_lo, s3
	v_mov_b32_e32 v22, s27
	flat_load_b32 v21, v[21:22] glc dlc
	s_waitcnt vmcnt(0)
.LBB35_29:                              ;   in Loop: Header=BB35_30 Depth=1
	s_or_b32 exec_lo, exec_lo, s26
	s_add_u32 s24, s24, 1
	v_add_nc_u32_e32 v30, s14, v30
	s_addc_u32 s25, s25, 0
	s_delay_alu instid0(SALU_CYCLE_1)
	s_cmp_eq_u64 s[24:25], s[22:23]
	s_cbranch_scc1 .LBB35_46
.LBB35_30:                              ; =>This Loop Header: Depth=1
                                        ;     Child Loop BB35_33 Depth 2
	s_waitcnt lgkmcnt(0)
	v_mad_u64_u32 v[21:22], null, s24, s9, v[9:10]
	s_mov_b32 s26, exec_lo
	s_delay_alu instid0(VALU_DEP_1) | instskip(NEXT) | instid1(VALU_DEP_1)
	v_mad_u64_u32 v[23:24], null, s25, s9, v[22:23]
	v_mov_b32_e32 v22, v23
	s_delay_alu instid0(VALU_DEP_1)
	v_cmpx_gt_i64_e64 s[16:17], v[21:22]
	s_cbranch_execz .LBB35_29
; %bb.31:                               ;   in Loop: Header=BB35_30 Depth=1
	v_mul_lo_u32 v24, v22, s20
	v_mul_lo_u32 v25, v21, s21
	v_mad_u64_u32 v[22:23], null, v21, s20, 0
	s_delay_alu instid0(VALU_DEP_1) | instskip(NEXT) | instid1(VALU_DEP_2)
	v_add3_u32 v23, v23, v25, v24
	v_add_co_u32 v24, vcc_lo, v22, s20
	v_add_co_u32 v31, s3, v22, v4
	s_delay_alu instid0(VALU_DEP_3) | instskip(SKIP_2) | instid1(VALU_DEP_2)
	v_add_co_ci_u32_e32 v25, vcc_lo, s21, v23, vcc_lo
	v_add_co_ci_u32_e64 v21, s3, 0, v23, s3
	s_mov_b32 s3, exec_lo
	v_cmp_gt_i64_e32 vcc_lo, s[18:19], v[24:25]
	v_cndmask_b32_e32 v25, s19, v25, vcc_lo
	v_cndmask_b32_e32 v24, s18, v24, vcc_lo
	v_add_co_u32 v26, vcc_lo, v31, 32
	v_add_co_ci_u32_e32 v27, vcc_lo, 0, v21, vcc_lo
	v_lshlrev_b32_e32 v21, 2, v31
	s_delay_alu instid0(VALU_DEP_2)
	v_cmpx_lt_i64_e64 v[26:27], v[24:25]
	s_cbranch_execz .LBB35_34
; %bb.32:                               ;   in Loop: Header=BB35_30 Depth=1
	ds_load_b32 v33, v21
	v_mov_b32_e32 v32, v30
	s_mov_b32 s34, 0
.LBB35_33:                              ;   Parent Loop BB35_30 Depth=1
                                        ; =>  This Inner Loop Header: Depth=2
	ds_load_b32 v34, v32
	v_add_co_u32 v26, vcc_lo, v26, 32
	v_add_co_ci_u32_e32 v27, vcc_lo, 0, v27, vcc_lo
	s_waitcnt lgkmcnt(1)
	v_dual_max_f32 v33, v33, v33 :: v_dual_add_nc_u32 v32, 0x80, v32
	s_delay_alu instid0(VALU_DEP_2) | instskip(SKIP_3) | instid1(VALU_DEP_1)
	v_cmp_ge_i64_e32 vcc_lo, v[26:27], v[24:25]
	s_or_b32 s34, vcc_lo, s34
	s_waitcnt lgkmcnt(0)
	v_max_f32_e32 v34, v34, v34
	v_max_f32_e32 v33, v33, v34
	ds_store_b32 v21, v33
	s_and_not1_b32 exec_lo, exec_lo, s34
	s_cbranch_execnz .LBB35_33
.LBB35_34:                              ;   in Loop: Header=BB35_30 Depth=1
	s_or_b32 exec_lo, exec_lo, s3
	v_sub_co_u32 v22, vcc_lo, v24, v22
	v_sub_co_ci_u32_e32 v23, vcc_lo, v25, v23, vcc_lo
	s_mov_b32 s3, exec_lo
	s_delay_alu instid0(VALU_DEP_1) | instskip(SKIP_1) | instid1(VALU_DEP_1)
	v_cmp_gt_i64_e32 vcc_lo, 32, v[22:23]
	v_dual_cndmask_b32 v24, 0, v23 :: v_dual_cndmask_b32 v23, 32, v22
	v_cmpx_lt_i64_e64 v[11:12], v[23:24]
	s_cbranch_execz .LBB35_36
; %bb.35:                               ;   in Loop: Header=BB35_30 Depth=1
	v_dual_mov_b32 v22, s27 :: v_dual_add_nc_u32 v25, 64, v21
	v_mov_b32_e32 v26, s27
	flat_load_b32 v27, v[21:22] glc dlc
	s_waitcnt vmcnt(0)
	flat_load_b32 v25, v[25:26] glc dlc
	s_waitcnt vmcnt(0) lgkmcnt(0)
	v_dual_max_f32 v26, v27, v27 :: v_dual_max_f32 v25, v25, v25
	s_delay_alu instid0(VALU_DEP_1)
	v_max_f32_e32 v25, v26, v25
	flat_store_b32 v[21:22], v25 dlc
	s_waitcnt_vscnt null, 0x0
.LBB35_36:                              ;   in Loop: Header=BB35_30 Depth=1
	s_or_b32 exec_lo, exec_lo, s3
	s_delay_alu instid0(SALU_CYCLE_1)
	s_mov_b32 s3, exec_lo
	v_cmpx_lt_i64_e64 v[13:14], v[23:24]
	s_cbranch_execz .LBB35_38
; %bb.37:                               ;   in Loop: Header=BB35_30 Depth=1
	v_dual_mov_b32 v22, s27 :: v_dual_add_nc_u32 v25, 32, v21
	v_mov_b32_e32 v26, s27
	flat_load_b32 v27, v[21:22] glc dlc
	s_waitcnt vmcnt(0)
	flat_load_b32 v25, v[25:26] glc dlc
	s_waitcnt vmcnt(0) lgkmcnt(0)
	v_dual_max_f32 v26, v27, v27 :: v_dual_max_f32 v25, v25, v25
	s_delay_alu instid0(VALU_DEP_1)
	v_max_f32_e32 v25, v26, v25
	flat_store_b32 v[21:22], v25 dlc
	s_waitcnt_vscnt null, 0x0
.LBB35_38:                              ;   in Loop: Header=BB35_30 Depth=1
	s_or_b32 exec_lo, exec_lo, s3
	s_delay_alu instid0(SALU_CYCLE_1)
	s_mov_b32 s3, exec_lo
	v_cmpx_ge_i64_e64 v[15:16], v[23:24]
	s_xor_b32 s3, exec_lo, s3
; %bb.39:                               ;   in Loop: Header=BB35_30 Depth=1
                                        ; implicit-def: $vgpr21
; %bb.40:                               ;   in Loop: Header=BB35_30 Depth=1
	s_delay_alu instid0(SALU_CYCLE_1)
	s_and_not1_saveexec_b32 s3, s3
	s_cbranch_execz .LBB35_42
; %bb.41:                               ;   in Loop: Header=BB35_30 Depth=1
	v_dual_mov_b32 v22, s27 :: v_dual_add_nc_u32 v25, 16, v21
	v_mov_b32_e32 v26, s27
	flat_load_b32 v27, v[21:22] glc dlc
	s_waitcnt vmcnt(0)
	flat_load_b32 v25, v[25:26] glc dlc
	s_waitcnt vmcnt(0) lgkmcnt(0)
	v_dual_max_f32 v26, v27, v27 :: v_dual_max_f32 v25, v25, v25
	s_delay_alu instid0(VALU_DEP_1)
	v_max_f32_e32 v25, v26, v25
	flat_store_b32 v[21:22], v25 dlc
	s_waitcnt_vscnt null, 0x0
.LBB35_42:                              ;   in Loop: Header=BB35_30 Depth=1
	s_or_b32 exec_lo, exec_lo, s3
	v_lshlrev_b32_e32 v21, 2, v31
	s_mov_b32 s3, exec_lo
	v_cmpx_lt_i64_e64 v[17:18], v[23:24]
	s_cbranch_execz .LBB35_44
; %bb.43:                               ;   in Loop: Header=BB35_30 Depth=1
	s_delay_alu instid0(VALU_DEP_2)
	v_dual_mov_b32 v22, s27 :: v_dual_add_nc_u32 v25, 8, v21
	v_mov_b32_e32 v26, s27
	flat_load_b32 v27, v[21:22] glc dlc
	s_waitcnt vmcnt(0)
	flat_load_b32 v25, v[25:26] glc dlc
	s_waitcnt vmcnt(0) lgkmcnt(0)
	v_dual_max_f32 v26, v27, v27 :: v_dual_max_f32 v25, v25, v25
	s_delay_alu instid0(VALU_DEP_1)
	v_max_f32_e32 v25, v26, v25
	flat_store_b32 v[21:22], v25 dlc
	s_waitcnt_vscnt null, 0x0
.LBB35_44:                              ;   in Loop: Header=BB35_30 Depth=1
	s_or_b32 exec_lo, exec_lo, s3
	s_delay_alu instid0(SALU_CYCLE_1)
	s_mov_b32 s3, exec_lo
	v_cmpx_lt_i64_e64 v[19:20], v[23:24]
	s_cbranch_execz .LBB35_28
; %bb.45:                               ;   in Loop: Header=BB35_30 Depth=1
	v_dual_mov_b32 v22, s27 :: v_dual_add_nc_u32 v23, 4, v21
	v_mov_b32_e32 v24, s27
	flat_load_b32 v25, v[21:22] glc dlc
	s_waitcnt vmcnt(0)
	flat_load_b32 v23, v[23:24] glc dlc
	s_waitcnt vmcnt(0) lgkmcnt(0)
	v_dual_max_f32 v24, v25, v25 :: v_dual_max_f32 v23, v23, v23
	s_delay_alu instid0(VALU_DEP_1)
	v_max_f32_e32 v23, v24, v23
	flat_store_b32 v[21:22], v23 dlc
	s_waitcnt_vscnt null, 0x0
	s_branch .LBB35_28
.LBB35_46:
	v_cmp_lt_i64_e32 vcc_lo, v[7:8], v[5:6]
	v_cmp_eq_u32_e64 s3, 0, v3
	s_mul_i32 s9, s17, s15
	s_mul_hi_u32 s17, s16, s15
	s_mul_i32 s14, s16, s15
	s_waitcnt lgkmcnt(0)
	s_and_b32 s18, s3, vcc_lo
	s_barrier
	buffer_gl0_inv
	s_and_saveexec_b32 s3, s18
	s_cbranch_execz .LBB35_50
; %bb.47:
	s_load_b64 s[0:1], s[0:1], 0x20
	ds_load_b32 v3, v29
	s_waitcnt lgkmcnt(0)
	s_cmp_eq_u64 s[0:1], 0
	s_cbranch_scc1 .LBB35_49
; %bb.48:
	s_load_b32 s0, s[0:1], 0x0
	v_max_f32_e32 v3, v3, v3
	s_waitcnt lgkmcnt(0)
	v_max_f32_e64 v4, s0, s0
	s_delay_alu instid0(VALU_DEP_1)
	v_min_f32_e32 v3, v3, v4
.LBB35_49:
	s_delay_alu instid0(VALU_DEP_1) | instskip(SKIP_2) | instid1(VALU_DEP_2)
	v_div_scale_f32 v4, null, 0x42fe0000, 0x42fe0000, v3
	v_div_scale_f32 v7, vcc_lo, v3, 0x42fe0000, v3
	s_add_i32 s15, s17, s9
	v_rcp_f32_e32 v5, v4
	v_lshlrev_b64 v[1:2], 2, v[1:2]
	s_lshl_b64 s[0:1], s[14:15], 2
	s_delay_alu instid0(SALU_CYCLE_1) | instskip(SKIP_3) | instid1(VALU_DEP_1)
	s_add_u32 s0, s6, s0
	s_addc_u32 s1, s7, s1
	s_waitcnt_depctr 0xfff
	v_fma_f32 v6, -v4, v5, 1.0
	v_fmac_f32_e32 v5, v6, v5
	s_delay_alu instid0(VALU_DEP_1) | instskip(NEXT) | instid1(VALU_DEP_1)
	v_mul_f32_e32 v6, v7, v5
	v_fma_f32 v8, -v4, v6, v7
	s_delay_alu instid0(VALU_DEP_1) | instskip(NEXT) | instid1(VALU_DEP_1)
	v_fmac_f32_e32 v6, v8, v5
	v_fma_f32 v4, -v4, v6, v7
	s_delay_alu instid0(VALU_DEP_1) | instskip(SKIP_2) | instid1(VALU_DEP_3)
	v_div_fmas_f32 v4, v4, v5, v6
	v_add_co_u32 v1, vcc_lo, s0, v1
	v_add_co_ci_u32_e32 v2, vcc_lo, s1, v2, vcc_lo
	v_div_fixup_f32 v3, v4, 0x42fe0000, v3
	s_delay_alu instid0(VALU_DEP_1)
	v_max_f32_e32 v3, 0x34000000, v3
	global_store_b32 v[1:2], v3, off
.LBB35_50:
	s_or_b32 exec_lo, exec_lo, s3
	s_waitcnt_vscnt null, 0x0
	s_barrier
	buffer_gl0_inv
	s_and_saveexec_b32 s0, s2
	s_cbranch_execz .LBB35_59
; %bb.51:
	s_add_u32 s2, s4, s12
	s_addc_u32 s3, s5, s13
	s_add_i32 s15, s17, s9
	v_mov_b32_e32 v1, 0
	s_lshl_b64 s[0:1], s[14:15], 2
	s_mul_i32 s4, s33, 3
	s_add_u32 s0, s6, s0
	s_addc_u32 s1, s7, s1
	s_lshl_b32 s5, s33, 1
	s_mov_b32 s6, 0
	s_add_i32 s7, s33, s33
                                        ; implicit-def: $sgpr9
	s_branch .LBB35_55
.LBB35_52:                              ;   in Loop: Header=BB35_55 Depth=1
	s_or_b32 exec_lo, exec_lo, s14
	s_delay_alu instid0(SALU_CYCLE_1)
	s_or_not1_b32 s14, s15, exec_lo
.LBB35_53:                              ;   in Loop: Header=BB35_55 Depth=1
	s_or_b32 exec_lo, exec_lo, s13
	s_delay_alu instid0(SALU_CYCLE_1) | instskip(SKIP_1) | instid1(SALU_CYCLE_1)
	s_and_not1_b32 s9, s9, exec_lo
	s_and_b32 s13, s14, exec_lo
	s_or_b32 s9, s9, s13
.LBB35_54:                              ;   in Loop: Header=BB35_55 Depth=1
	s_or_b32 exec_lo, exec_lo, s12
	s_delay_alu instid0(SALU_CYCLE_1) | instskip(NEXT) | instid1(SALU_CYCLE_1)
	s_and_b32 s12, exec_lo, s9
	s_or_b32 s6, s12, s6
	s_delay_alu instid0(SALU_CYCLE_1)
	s_and_not1_b32 exec_lo, exec_lo, s6
	s_cbranch_execz .LBB35_59
.LBB35_55:                              ; =>This Inner Loop Header: Depth=1
	v_lshrrev_b32_e32 v2, 2, v0
	v_lshlrev_b64 v[10:11], 4, v[0:1]
	s_or_b32 s9, s9, exec_lo
	s_mov_b32 s12, exec_lo
	s_delay_alu instid0(VALU_DEP_2)
	v_and_b32_e32 v2, 0xffffffc, v2
	global_load_b32 v16, v2, s[0:1]
	v_add_co_u32 v2, vcc_lo, s28, v10
	v_add_co_ci_u32_e32 v3, vcc_lo, s29, v11, vcc_lo
	v_add_co_u32 v14, vcc_lo, s30, v10
	v_add_co_ci_u32_e32 v15, vcc_lo, s31, v11, vcc_lo
	global_load_b128 v[2:5], v[2:3], off
	global_load_b128 v[6:9], v[14:15], off
	v_add_co_u32 v10, vcc_lo, s10, v10
	v_add_co_ci_u32_e32 v11, vcc_lo, s11, v11, vcc_lo
	global_load_b128 v[10:13], v[10:11], off
	s_waitcnt vmcnt(3)
	v_div_scale_f32 v17, null, v16, v16, 1.0
	v_div_scale_f32 v20, vcc_lo, 1.0, v16, 1.0
	s_delay_alu instid0(VALU_DEP_2)
	v_rcp_f32_e32 v18, v17
	s_waitcnt vmcnt(1)
	v_add_f32_e32 v7, v3, v7
	v_add_f32_e32 v9, v5, v9
	s_waitcnt_depctr 0xfff
	v_fma_f32 v19, -v17, v18, 1.0
	v_mul_f32_e32 v5, v28, v7
	v_add_f32_e32 v8, v4, v8
	s_delay_alu instid0(VALU_DEP_3) | instskip(SKIP_1) | instid1(VALU_DEP_3)
	v_fmac_f32_e32 v18, v19, v18
	s_waitcnt vmcnt(0)
	v_dual_mul_f32 v5, v11, v5 :: v_dual_add_f32 v6, v2, v6
	s_delay_alu instid0(VALU_DEP_3) | instskip(NEXT) | instid1(VALU_DEP_2)
	v_mul_f32_e32 v3, v28, v8
	v_mul_f32_e32 v4, v28, v6
	;; [unrolled: 1-line block ×3, first 2 shown]
	global_store_b128 v[14:15], v[6:9], off
	v_mul_f32_e32 v4, v10, v4
	v_fma_f32 v21, -v17, v19, v20
	s_delay_alu instid0(VALU_DEP_1) | instskip(NEXT) | instid1(VALU_DEP_1)
	v_fmac_f32_e32 v19, v21, v18
	v_fma_f32 v2, -v17, v19, v20
	s_delay_alu instid0(VALU_DEP_1) | instskip(NEXT) | instid1(VALU_DEP_1)
	v_div_fmas_f32 v2, v2, v18, v19
	v_div_fixup_f32 v2, v2, v16, 1.0
	v_mul_f32_e32 v17, v28, v9
	s_delay_alu instid0(VALU_DEP_2) | instskip(SKIP_1) | instid1(VALU_DEP_3)
	v_mul_f32_e32 v5, v5, v2
	v_mul_f32_e32 v4, v4, v2
	;; [unrolled: 1-line block ×3, first 2 shown]
	s_delay_alu instid0(VALU_DEP_3) | instskip(SKIP_1) | instid1(VALU_DEP_4)
	v_rndne_f32_e32 v5, v5
	v_mul_f32_e32 v3, v12, v3
	v_rndne_f32_e32 v4, v4
	s_delay_alu instid0(VALU_DEP_2) | instskip(SKIP_1) | instid1(VALU_DEP_2)
	v_mul_f32_e32 v3, v3, v2
	v_mul_f32_e32 v2, v10, v2
	v_rndne_f32_e32 v3, v3
	s_delay_alu instid0(VALU_DEP_2) | instskip(NEXT) | instid1(VALU_DEP_2)
	v_rndne_f32_e32 v2, v2
	v_cmp_nlt_f32_e32 vcc_lo, 0x42fe0000, v3
	v_cndmask_b32_e32 v10, 0x42fe0000, v3, vcc_lo
	v_cmp_nlt_f32_e32 vcc_lo, 0x42fe0000, v4
	v_cndmask_b32_e32 v11, 0x42fe0000, v4, vcc_lo
	;; [unrolled: 2-line block ×3, first 2 shown]
	v_cmp_ngt_f32_e32 vcc_lo, 0xc3000000, v3
	v_cndmask_b32_e32 v3, 0xc3000000, v10, vcc_lo
	v_cmp_nlt_f32_e32 vcc_lo, 0x42fe0000, v2
	s_delay_alu instid0(VALU_DEP_2) | instskip(NEXT) | instid1(VALU_DEP_1)
	v_cvt_i32_f32_e32 v3, v3
	v_and_b32_e32 v3, 0xff, v3
	v_cndmask_b32_e32 v10, 0x42fe0000, v2, vcc_lo
	v_cmp_ngt_f32_e32 vcc_lo, 0xc3000000, v5
	v_cndmask_b32_e32 v5, 0xc3000000, v12, vcc_lo
	v_cmp_ngt_f32_e32 vcc_lo, 0xc3000000, v4
	s_delay_alu instid0(VALU_DEP_2) | instskip(SKIP_3) | instid1(VALU_DEP_4)
	v_cvt_i32_f32_e32 v5, v5
	v_cndmask_b32_e32 v4, 0xc3000000, v11, vcc_lo
	v_lshlrev_b32_e32 v11, 16, v3
	v_cmp_ngt_f32_e32 vcc_lo, 0xc3000000, v2
	v_and_b32_e32 v5, 0xff, v5
	v_cndmask_b32_e32 v2, 0xc3000000, v10, vcc_lo
	v_cvt_i32_f32_e32 v10, v4
	s_delay_alu instid0(VALU_DEP_3) | instskip(SKIP_1) | instid1(VALU_DEP_4)
	v_lshlrev_b32_e32 v5, 8, v5
	v_lshlrev_b64 v[3:4], 2, v[0:1]
	v_cvt_i32_f32_e32 v2, v2
	s_delay_alu instid0(VALU_DEP_4) | instskip(NEXT) | instid1(VALU_DEP_3)
	v_and_b32_e32 v10, 0xff, v10
	v_add_co_u32 v3, vcc_lo, s2, v3
	s_delay_alu instid0(VALU_DEP_3) | instskip(SKIP_2) | instid1(VALU_DEP_3)
	v_lshl_or_b32 v11, v2, 24, v11
	v_add_nc_u32_e32 v2, s33, v0
	v_add_co_ci_u32_e32 v4, vcc_lo, s3, v4, vcc_lo
	v_or3_b32 v5, v11, v5, v10
	global_store_b32 v[3:4], v5, off
	v_cmpx_gt_u32_e64 s8, v2
	s_cbranch_execz .LBB35_54
; %bb.56:                               ;   in Loop: Header=BB35_55 Depth=1
	v_lshrrev_b32_e32 v3, 2, v2
	s_mov_b32 s14, -1
	s_mov_b32 s13, exec_lo
	s_delay_alu instid0(VALU_DEP_1) | instskip(SKIP_2) | instid1(VALU_DEP_1)
	v_and_b32_e32 v3, 0xffffffc, v3
	global_load_b32 v18, v3, s[0:1]
	v_mov_b32_e32 v3, v1
	v_lshlrev_b64 v[12:13], 4, v[2:3]
	s_delay_alu instid0(VALU_DEP_1) | instskip(NEXT) | instid1(VALU_DEP_2)
	v_add_co_u32 v4, vcc_lo, s28, v12
	v_add_co_ci_u32_e32 v5, vcc_lo, s29, v13, vcc_lo
	v_add_co_u32 v16, vcc_lo, s30, v12
	v_add_co_ci_u32_e32 v17, vcc_lo, s31, v13, vcc_lo
	global_load_b128 v[4:7], v[4:5], off
	global_load_b128 v[8:11], v[16:17], off
	v_add_co_u32 v12, vcc_lo, s10, v12
	v_add_co_ci_u32_e32 v13, vcc_lo, s11, v13, vcc_lo
	global_load_b128 v[12:15], v[12:13], off
	s_waitcnt vmcnt(3)
	v_div_scale_f32 v19, null, v18, v18, 1.0
	v_div_scale_f32 v22, vcc_lo, 1.0, v18, 1.0
	s_delay_alu instid0(VALU_DEP_2) | instskip(SKIP_2) | instid1(VALU_DEP_1)
	v_rcp_f32_e32 v20, v19
	s_waitcnt_depctr 0xfff
	v_fma_f32 v21, -v19, v20, 1.0
	v_fmac_f32_e32 v20, v21, v20
	s_waitcnt vmcnt(1)
	v_add_f32_e32 v6, v6, v10
	v_dual_add_f32 v4, v4, v8 :: v_dual_add_f32 v5, v5, v9
	s_delay_alu instid0(VALU_DEP_1)
	v_dual_add_f32 v7, v7, v11 :: v_dual_mul_f32 v10, v28, v4
	v_mul_f32_e32 v21, v22, v20
	global_store_b128 v[16:17], v[4:7], off
	s_waitcnt vmcnt(0)
	v_mul_f32_e32 v10, v12, v10
	v_fma_f32 v23, -v19, v21, v22
	s_delay_alu instid0(VALU_DEP_1) | instskip(NEXT) | instid1(VALU_DEP_1)
	v_fmac_f32_e32 v21, v23, v20
	v_fma_f32 v8, -v19, v21, v22
	v_mul_f32_e32 v19, v28, v7
	v_mul_f32_e32 v9, v28, v6
	s_delay_alu instid0(VALU_DEP_3) | instskip(NEXT) | instid1(VALU_DEP_3)
	v_div_fmas_f32 v8, v8, v20, v21
	v_mul_f32_e32 v12, v15, v19
	s_delay_alu instid0(VALU_DEP_2) | instskip(SKIP_2) | instid1(VALU_DEP_2)
	v_div_fixup_f32 v8, v8, v18, 1.0
	v_mul_f32_e32 v11, v28, v5
	v_mul_f32_e32 v9, v14, v9
	v_dual_mul_f32 v10, v10, v8 :: v_dual_mul_f32 v11, v13, v11
	s_delay_alu instid0(VALU_DEP_1) | instskip(NEXT) | instid1(VALU_DEP_2)
	v_rndne_f32_e32 v10, v10
	v_mul_f32_e32 v11, v11, v8
	s_delay_alu instid0(VALU_DEP_1) | instskip(SKIP_2) | instid1(VALU_DEP_2)
	v_rndne_f32_e32 v11, v11
	v_mul_f32_e32 v9, v9, v8
	v_mul_f32_e32 v8, v12, v8
	v_rndne_f32_e32 v9, v9
	s_delay_alu instid0(VALU_DEP_2) | instskip(NEXT) | instid1(VALU_DEP_2)
	v_rndne_f32_e32 v8, v8
	v_cmp_nlt_f32_e32 vcc_lo, 0x42fe0000, v9
	v_cndmask_b32_e32 v12, 0x42fe0000, v9, vcc_lo
	v_cmp_nlt_f32_e32 vcc_lo, 0x42fe0000, v10
	v_cndmask_b32_e32 v13, 0x42fe0000, v10, vcc_lo
	;; [unrolled: 2-line block ×3, first 2 shown]
	v_cmp_ngt_f32_e32 vcc_lo, 0xc3000000, v9
	v_cndmask_b32_e32 v9, 0xc3000000, v12, vcc_lo
	v_cmp_nlt_f32_e32 vcc_lo, 0x42fe0000, v8
	s_delay_alu instid0(VALU_DEP_2) | instskip(SKIP_2) | instid1(VALU_DEP_3)
	v_cvt_i32_f32_e32 v9, v9
	v_cndmask_b32_e32 v12, 0x42fe0000, v8, vcc_lo
	v_cmp_ngt_f32_e32 vcc_lo, 0xc3000000, v11
	v_and_b32_e32 v9, 0xff, v9
	v_cndmask_b32_e32 v11, 0xc3000000, v14, vcc_lo
	v_cmp_ngt_f32_e32 vcc_lo, 0xc3000000, v10
	s_delay_alu instid0(VALU_DEP_2) | instskip(SKIP_3) | instid1(VALU_DEP_4)
	v_cvt_i32_f32_e32 v11, v11
	v_cndmask_b32_e32 v10, 0xc3000000, v13, vcc_lo
	v_cmp_ngt_f32_e32 vcc_lo, 0xc3000000, v8
	v_lshlrev_b32_e32 v13, 16, v9
	v_and_b32_e32 v11, 0xff, v11
	s_delay_alu instid0(VALU_DEP_4) | instskip(NEXT) | instid1(VALU_DEP_2)
	v_cvt_i32_f32_e32 v10, v10
	v_dual_cndmask_b32 v8, 0xc3000000, v12 :: v_dual_lshlrev_b32 v11, 8, v11
	s_delay_alu instid0(VALU_DEP_2) | instskip(NEXT) | instid1(VALU_DEP_2)
	v_and_b32_e32 v10, 0xff, v10
	v_cvt_i32_f32_e32 v12, v8
	v_lshlrev_b64 v[8:9], 2, v[2:3]
	v_add_nc_u32_e32 v3, s5, v0
	s_delay_alu instid0(VALU_DEP_3) | instskip(NEXT) | instid1(VALU_DEP_3)
	v_lshl_or_b32 v12, v12, 24, v13
	v_add_co_u32 v8, vcc_lo, s2, v8
	s_delay_alu instid0(VALU_DEP_4) | instskip(NEXT) | instid1(VALU_DEP_3)
	v_add_co_ci_u32_e32 v9, vcc_lo, s3, v9, vcc_lo
	v_or3_b32 v10, v12, v11, v10
	global_store_b32 v[8:9], v10, off
	v_cmpx_gt_u32_e64 s8, v3
	s_cbranch_execz .LBB35_53
; %bb.57:                               ;   in Loop: Header=BB35_55 Depth=1
	v_lshrrev_b32_e32 v4, 2, v3
	v_add_nc_u32_e32 v0, s4, v0
	s_mov_b32 s15, -1
	s_mov_b32 s14, exec_lo
	s_delay_alu instid0(VALU_DEP_2) | instskip(SKIP_2) | instid1(VALU_DEP_1)
	v_and_b32_e32 v4, 0xffffffc, v4
	global_load_b32 v19, v4, s[0:1]
	v_mov_b32_e32 v4, v1
	v_lshlrev_b64 v[13:14], 4, v[3:4]
	s_delay_alu instid0(VALU_DEP_1) | instskip(NEXT) | instid1(VALU_DEP_2)
	v_add_co_u32 v5, vcc_lo, s28, v13
	v_add_co_ci_u32_e32 v6, vcc_lo, s29, v14, vcc_lo
	v_add_co_u32 v17, vcc_lo, s30, v13
	v_add_co_ci_u32_e32 v18, vcc_lo, s31, v14, vcc_lo
	global_load_b128 v[5:8], v[5:6], off
	global_load_b128 v[9:12], v[17:18], off
	v_add_co_u32 v13, vcc_lo, s10, v13
	v_add_co_ci_u32_e32 v14, vcc_lo, s11, v14, vcc_lo
	global_load_b128 v[13:16], v[13:14], off
	s_waitcnt vmcnt(3)
	v_div_scale_f32 v20, null, v19, v19, 1.0
	v_div_scale_f32 v23, vcc_lo, 1.0, v19, 1.0
	s_delay_alu instid0(VALU_DEP_2) | instskip(SKIP_2) | instid1(VALU_DEP_1)
	v_rcp_f32_e32 v21, v20
	s_waitcnt_depctr 0xfff
	v_fma_f32 v22, -v20, v21, 1.0
	v_fmac_f32_e32 v21, v22, v21
	s_waitcnt vmcnt(1)
	v_add_f32_e32 v7, v7, v11
	v_dual_add_f32 v5, v5, v9 :: v_dual_add_f32 v6, v6, v10
	v_lshlrev_b64 v[3:4], 2, v[3:4]
	s_delay_alu instid0(VALU_DEP_2) | instskip(SKIP_1) | instid1(VALU_DEP_1)
	v_mul_f32_e32 v11, v28, v5
	s_waitcnt vmcnt(0)
	v_dual_mul_f32 v22, v23, v21 :: v_dual_mul_f32 v11, v13, v11
	s_delay_alu instid0(VALU_DEP_1) | instskip(NEXT) | instid1(VALU_DEP_1)
	v_fma_f32 v24, -v20, v22, v23
	v_fmac_f32_e32 v22, v24, v21
	s_delay_alu instid0(VALU_DEP_1) | instskip(NEXT) | instid1(VALU_DEP_1)
	v_fma_f32 v9, -v20, v22, v23
	v_div_fmas_f32 v9, v9, v21, v22
	s_delay_alu instid0(VALU_DEP_1) | instskip(SKIP_1) | instid1(VALU_DEP_2)
	v_div_fixup_f32 v9, v9, v19, 1.0
	v_add_f32_e32 v8, v8, v12
	v_dual_mul_f32 v12, v28, v6 :: v_dual_mul_f32 v11, v11, v9
	s_delay_alu instid0(VALU_DEP_2) | instskip(NEXT) | instid1(VALU_DEP_2)
	v_mul_f32_e32 v20, v28, v8
	v_mul_f32_e32 v12, v14, v12
	global_store_b128 v[17:18], v[5:8], off
	v_rndne_f32_e32 v11, v11
	v_mul_f32_e32 v13, v16, v20
	v_mul_f32_e32 v10, v28, v7
	;; [unrolled: 1-line block ×3, first 2 shown]
	s_delay_alu instid0(VALU_DEP_2) | instskip(NEXT) | instid1(VALU_DEP_2)
	v_mul_f32_e32 v10, v15, v10
	v_rndne_f32_e32 v12, v12
	s_delay_alu instid0(VALU_DEP_2) | instskip(SKIP_1) | instid1(VALU_DEP_2)
	v_mul_f32_e32 v10, v10, v9
	v_mul_f32_e32 v9, v13, v9
	v_rndne_f32_e32 v10, v10
	s_delay_alu instid0(VALU_DEP_2) | instskip(NEXT) | instid1(VALU_DEP_2)
	v_rndne_f32_e32 v9, v9
	v_cmp_nlt_f32_e32 vcc_lo, 0x42fe0000, v10
	v_cndmask_b32_e32 v13, 0x42fe0000, v10, vcc_lo
	v_cmp_nlt_f32_e32 vcc_lo, 0x42fe0000, v11
	v_cndmask_b32_e32 v14, 0x42fe0000, v11, vcc_lo
	;; [unrolled: 2-line block ×3, first 2 shown]
	v_cmp_ngt_f32_e32 vcc_lo, 0xc3000000, v10
	v_cndmask_b32_e32 v10, 0xc3000000, v13, vcc_lo
	v_cmp_nlt_f32_e32 vcc_lo, 0x42fe0000, v9
	s_delay_alu instid0(VALU_DEP_2) | instskip(SKIP_2) | instid1(VALU_DEP_3)
	v_cvt_i32_f32_e32 v10, v10
	v_cndmask_b32_e32 v13, 0x42fe0000, v9, vcc_lo
	v_cmp_ngt_f32_e32 vcc_lo, 0xc3000000, v12
	v_and_b32_e32 v10, 0xff, v10
	s_delay_alu instid0(VALU_DEP_1) | instskip(SKIP_2) | instid1(VALU_DEP_2)
	v_lshlrev_b32_e32 v10, 16, v10
	v_cndmask_b32_e32 v12, 0xc3000000, v15, vcc_lo
	v_cmp_ngt_f32_e32 vcc_lo, 0xc3000000, v11
	v_cvt_i32_f32_e32 v12, v12
	v_cndmask_b32_e32 v11, 0xc3000000, v14, vcc_lo
	v_cmp_ngt_f32_e32 vcc_lo, 0xc3000000, v9
	s_delay_alu instid0(VALU_DEP_3) | instskip(NEXT) | instid1(VALU_DEP_3)
	v_and_b32_e32 v12, 0xff, v12
	v_cvt_i32_f32_e32 v11, v11
	v_cndmask_b32_e32 v9, 0xc3000000, v13, vcc_lo
	v_add_co_u32 v3, vcc_lo, s2, v3
	s_delay_alu instid0(VALU_DEP_4) | instskip(NEXT) | instid1(VALU_DEP_4)
	v_lshlrev_b32_e32 v12, 8, v12
	v_and_b32_e32 v11, 0xff, v11
	s_delay_alu instid0(VALU_DEP_4) | instskip(SKIP_1) | instid1(VALU_DEP_2)
	v_cvt_i32_f32_e32 v9, v9
	v_add_co_ci_u32_e32 v4, vcc_lo, s3, v4, vcc_lo
	v_lshl_or_b32 v9, v9, 24, v10
	s_delay_alu instid0(VALU_DEP_1)
	v_or3_b32 v9, v9, v12, v11
	global_store_b32 v[3:4], v9, off
	v_cmpx_gt_u32_e64 s8, v0
	s_cbranch_execz .LBB35_52
; %bb.58:                               ;   in Loop: Header=BB35_55 Depth=1
	v_lshrrev_b32_e32 v3, 2, v0
	v_lshlrev_b64 v[11:12], 4, v[0:1]
	s_delay_alu instid0(VALU_DEP_2)
	v_and_b32_e32 v3, 0xffffffc, v3
	global_load_b32 v17, v3, s[0:1]
	v_add_co_u32 v3, vcc_lo, s28, v11
	v_add_co_ci_u32_e32 v4, vcc_lo, s29, v12, vcc_lo
	v_add_co_u32 v15, vcc_lo, s30, v11
	v_add_co_ci_u32_e32 v16, vcc_lo, s31, v12, vcc_lo
	global_load_b128 v[3:6], v[3:4], off
	global_load_b128 v[7:10], v[15:16], off
	v_add_co_u32 v11, vcc_lo, s10, v11
	v_add_co_ci_u32_e32 v12, vcc_lo, s11, v12, vcc_lo
	global_load_b128 v[11:14], v[11:12], off
	s_waitcnt vmcnt(3)
	v_div_scale_f32 v18, null, v17, v17, 1.0
	v_div_scale_f32 v21, vcc_lo, 1.0, v17, 1.0
	s_delay_alu instid0(VALU_DEP_2)
	v_rcp_f32_e32 v19, v18
	s_waitcnt vmcnt(1)
	v_dual_add_f32 v4, v4, v8 :: v_dual_add_f32 v5, v5, v9
	v_add_f32_e32 v6, v6, v10
	s_waitcnt_depctr 0xfff
	v_fma_f32 v20, -v18, v19, 1.0
	v_dual_mul_f32 v10, v28, v4 :: v_dual_add_f32 v3, v3, v7
	v_mul_f32_e32 v8, v28, v5
	s_delay_alu instid0(VALU_DEP_3) | instskip(SKIP_1) | instid1(VALU_DEP_2)
	v_fmac_f32_e32 v19, v20, v19
	s_waitcnt vmcnt(0)
	v_dual_mul_f32 v9, v28, v3 :: v_dual_mul_f32 v8, v13, v8
	global_store_b128 v[15:16], v[3:6], off
	v_dual_mul_f32 v20, v21, v19 :: v_dual_mul_f32 v9, v11, v9
	s_delay_alu instid0(VALU_DEP_1) | instskip(NEXT) | instid1(VALU_DEP_1)
	v_fma_f32 v22, -v18, v20, v21
	v_fmac_f32_e32 v20, v22, v19
	s_delay_alu instid0(VALU_DEP_1) | instskip(NEXT) | instid1(VALU_DEP_1)
	v_fma_f32 v7, -v18, v20, v21
	v_div_fmas_f32 v7, v7, v19, v20
	s_delay_alu instid0(VALU_DEP_1) | instskip(NEXT) | instid1(VALU_DEP_1)
	v_div_fixup_f32 v7, v7, v17, 1.0
	v_dual_mul_f32 v18, v28, v6 :: v_dual_mul_f32 v9, v9, v7
	s_delay_alu instid0(VALU_DEP_1) | instskip(SKIP_1) | instid1(VALU_DEP_3)
	v_dual_mul_f32 v11, v14, v18 :: v_dual_mul_f32 v8, v8, v7
	v_mul_f32_e32 v10, v12, v10
	v_rndne_f32_e32 v9, v9
	s_delay_alu instid0(VALU_DEP_3) | instskip(NEXT) | instid1(VALU_DEP_3)
	v_rndne_f32_e32 v8, v8
	v_mul_f32_e32 v10, v10, v7
	v_mul_f32_e32 v7, v11, v7
	s_delay_alu instid0(VALU_DEP_3) | instskip(NEXT) | instid1(VALU_DEP_3)
	v_cmp_nlt_f32_e32 vcc_lo, 0x42fe0000, v8
	v_rndne_f32_e32 v10, v10
	s_delay_alu instid0(VALU_DEP_3)
	v_rndne_f32_e32 v7, v7
	v_cndmask_b32_e32 v11, 0x42fe0000, v8, vcc_lo
	v_cmp_nlt_f32_e32 vcc_lo, 0x42fe0000, v9
	v_cndmask_b32_e32 v12, 0x42fe0000, v9, vcc_lo
	v_cmp_nlt_f32_e32 vcc_lo, 0x42fe0000, v10
	v_cndmask_b32_e32 v13, 0x42fe0000, v10, vcc_lo
	v_cmp_ngt_f32_e32 vcc_lo, 0xc3000000, v8
	v_cndmask_b32_e32 v8, 0xc3000000, v11, vcc_lo
	v_cmp_nlt_f32_e32 vcc_lo, 0x42fe0000, v7
	s_delay_alu instid0(VALU_DEP_2) | instskip(SKIP_2) | instid1(VALU_DEP_3)
	v_cvt_i32_f32_e32 v8, v8
	v_cndmask_b32_e32 v11, 0x42fe0000, v7, vcc_lo
	v_cmp_ngt_f32_e32 vcc_lo, 0xc3000000, v10
	v_and_b32_e32 v8, 0xff, v8
	v_cndmask_b32_e32 v10, 0xc3000000, v13, vcc_lo
	v_cmp_ngt_f32_e32 vcc_lo, 0xc3000000, v9
	s_delay_alu instid0(VALU_DEP_2) | instskip(SKIP_3) | instid1(VALU_DEP_4)
	v_cvt_i32_f32_e32 v10, v10
	v_cndmask_b32_e32 v9, 0xc3000000, v12, vcc_lo
	v_lshlrev_b32_e32 v12, 16, v8
	v_cmp_ngt_f32_e32 vcc_lo, 0xc3000000, v7
	v_and_b32_e32 v10, 0xff, v10
	s_delay_alu instid0(VALU_DEP_4) | instskip(SKIP_1) | instid1(VALU_DEP_1)
	v_cvt_i32_f32_e32 v9, v9
	v_cndmask_b32_e32 v7, 0xc3000000, v11, vcc_lo
	v_cvt_i32_f32_e32 v11, v7
	v_lshlrev_b64 v[7:8], 2, v[0:1]
	v_add3_u32 v0, s7, s33, v2
	v_and_b32_e32 v2, 0xff, v9
	v_lshlrev_b32_e32 v9, 8, v10
	v_lshl_or_b32 v10, v11, 24, v12
	v_add_co_u32 v7, vcc_lo, s2, v7
	v_add_co_ci_u32_e32 v8, vcc_lo, s3, v8, vcc_lo
	v_cmp_le_u32_e32 vcc_lo, s8, v0
	s_delay_alu instid0(VALU_DEP_4)
	v_or3_b32 v2, v10, v9, v2
	s_or_not1_b32 s15, vcc_lo, exec_lo
	global_store_b32 v[7:8], v2, off
	s_branch .LBB35_52
.LBB35_59:
	s_nop 0
	s_sendmsg sendmsg(MSG_DEALLOC_VGPRS)
	s_endpgm
	.section	.rodata,"a",@progbits
	.p2align	6, 0x0
	.amdhsa_kernel _ZN4vllm31rms_norm_per_block_quant_kernelIfaLb1ELb0ELi64EEEvPT0_PfPKT_S6_PKffiiPS4_l
		.amdhsa_group_segment_fixed_size 4228
		.amdhsa_private_segment_fixed_size 0
		.amdhsa_kernarg_size 328
		.amdhsa_user_sgpr_count 15
		.amdhsa_user_sgpr_dispatch_ptr 0
		.amdhsa_user_sgpr_queue_ptr 0
		.amdhsa_user_sgpr_kernarg_segment_ptr 1
		.amdhsa_user_sgpr_dispatch_id 0
		.amdhsa_user_sgpr_private_segment_size 0
		.amdhsa_wavefront_size32 1
		.amdhsa_uses_dynamic_stack 0
		.amdhsa_enable_private_segment 0
		.amdhsa_system_sgpr_workgroup_id_x 1
		.amdhsa_system_sgpr_workgroup_id_y 0
		.amdhsa_system_sgpr_workgroup_id_z 0
		.amdhsa_system_sgpr_workgroup_info 0
		.amdhsa_system_vgpr_workitem_id 0
		.amdhsa_next_free_vgpr 37
		.amdhsa_next_free_sgpr 40
		.amdhsa_reserve_vcc 1
		.amdhsa_float_round_mode_32 0
		.amdhsa_float_round_mode_16_64 0
		.amdhsa_float_denorm_mode_32 3
		.amdhsa_float_denorm_mode_16_64 3
		.amdhsa_dx10_clamp 1
		.amdhsa_ieee_mode 1
		.amdhsa_fp16_overflow 0
		.amdhsa_workgroup_processor_mode 1
		.amdhsa_memory_ordered 1
		.amdhsa_forward_progress 0
		.amdhsa_shared_vgpr_count 0
		.amdhsa_exception_fp_ieee_invalid_op 0
		.amdhsa_exception_fp_denorm_src 0
		.amdhsa_exception_fp_ieee_div_zero 0
		.amdhsa_exception_fp_ieee_overflow 0
		.amdhsa_exception_fp_ieee_underflow 0
		.amdhsa_exception_fp_ieee_inexact 0
		.amdhsa_exception_int_div_zero 0
	.end_amdhsa_kernel
	.section	.text._ZN4vllm31rms_norm_per_block_quant_kernelIfaLb1ELb0ELi64EEEvPT0_PfPKT_S6_PKffiiPS4_l,"axG",@progbits,_ZN4vllm31rms_norm_per_block_quant_kernelIfaLb1ELb0ELi64EEEvPT0_PfPKT_S6_PKffiiPS4_l,comdat
.Lfunc_end35:
	.size	_ZN4vllm31rms_norm_per_block_quant_kernelIfaLb1ELb0ELi64EEEvPT0_PfPKT_S6_PKffiiPS4_l, .Lfunc_end35-_ZN4vllm31rms_norm_per_block_quant_kernelIfaLb1ELb0ELi64EEEvPT0_PfPKT_S6_PKffiiPS4_l
                                        ; -- End function
	.section	.AMDGPU.csdata,"",@progbits
; Kernel info:
; codeLenInByte = 6708
; NumSgprs: 42
; NumVgprs: 37
; ScratchSize: 0
; MemoryBound: 0
; FloatMode: 240
; IeeeMode: 1
; LDSByteSize: 4228 bytes/workgroup (compile time only)
; SGPRBlocks: 5
; VGPRBlocks: 4
; NumSGPRsForWavesPerEU: 42
; NumVGPRsForWavesPerEU: 37
; Occupancy: 16
; WaveLimiterHint : 0
; COMPUTE_PGM_RSRC2:SCRATCH_EN: 0
; COMPUTE_PGM_RSRC2:USER_SGPR: 15
; COMPUTE_PGM_RSRC2:TRAP_HANDLER: 0
; COMPUTE_PGM_RSRC2:TGID_X_EN: 1
; COMPUTE_PGM_RSRC2:TGID_Y_EN: 0
; COMPUTE_PGM_RSRC2:TGID_Z_EN: 0
; COMPUTE_PGM_RSRC2:TIDIG_COMP_CNT: 0
	.section	.text._ZN4vllm31rms_norm_per_block_quant_kernelIfN3c1013Float8_e4m3fnELb0ELb1ELi64EEEvPT0_PfPKT_S8_PKffiiPS6_l,"axG",@progbits,_ZN4vllm31rms_norm_per_block_quant_kernelIfN3c1013Float8_e4m3fnELb0ELb1ELi64EEEvPT0_PfPKT_S8_PKffiiPS6_l,comdat
	.protected	_ZN4vllm31rms_norm_per_block_quant_kernelIfN3c1013Float8_e4m3fnELb0ELb1ELi64EEEvPT0_PfPKT_S8_PKffiiPS6_l ; -- Begin function _ZN4vllm31rms_norm_per_block_quant_kernelIfN3c1013Float8_e4m3fnELb0ELb1ELi64EEEvPT0_PfPKT_S8_PKffiiPS6_l
	.globl	_ZN4vllm31rms_norm_per_block_quant_kernelIfN3c1013Float8_e4m3fnELb0ELb1ELi64EEEvPT0_PfPKT_S8_PKffiiPS6_l
	.p2align	8
	.type	_ZN4vllm31rms_norm_per_block_quant_kernelIfN3c1013Float8_e4m3fnELb0ELb1ELi64EEEvPT0_PfPKT_S8_PKffiiPS6_l,@function
_ZN4vllm31rms_norm_per_block_quant_kernelIfN3c1013Float8_e4m3fnELb0ELb1ELi64EEEvPT0_PfPKT_S8_PKffiiPS6_l: ; @_ZN4vllm31rms_norm_per_block_quant_kernelIfN3c1013Float8_e4m3fnELb0ELb1ELi64EEEvPT0_PfPKT_S8_PKffiiPS6_l
; %bb.0:
	s_mov_b32 s16, s15
	s_clause 0x2
	s_load_b128 s[12:15], s[0:1], 0x28
	s_load_b256 s[4:11], s[0:1], 0x0
	s_load_b32 s29, s[0:1], 0x48
	v_mov_b32_e32 v6, 0
	s_mov_b32 s17, 0
	s_waitcnt lgkmcnt(0)
	s_ashr_i32 s2, s14, 31
	s_mul_hi_u32 s3, s14, s16
	s_mul_i32 s15, s2, s16
	s_mul_i32 s2, s14, s16
	s_add_i32 s3, s3, s15
	s_mov_b32 s14, s13
	s_lshl_b64 s[2:3], s[2:3], 2
	s_delay_alu instid0(SALU_CYCLE_1)
	s_add_u32 s26, s8, s2
	s_addc_u32 s27, s9, s3
	s_ashr_i32 s8, s13, 2
	s_add_u32 s18, s0, 0x48
	v_cmp_gt_u32_e64 s2, s8, v0
	s_addc_u32 s19, s1, 0
	s_delay_alu instid0(VALU_DEP_1)
	s_and_saveexec_b32 s3, s2
	s_cbranch_execz .LBB36_10
; %bb.1:
	s_cmp_lt_u32 s16, s29
	v_mov_b32_e32 v2, 0
	s_cselect_b32 s9, 12, 18
                                        ; implicit-def: $sgpr15
	v_mov_b32_e32 v1, v0
	s_add_u32 s20, s18, s9
	s_addc_u32 s21, s19, 0
	s_mov_b32 s9, s17
	global_load_u16 v7, v2, s[20:21]
	s_waitcnt vmcnt(0)
	v_lshlrev_b32_e32 v9, 1, v7
	v_mul_lo_u32 v8, v7, 3
	v_add_nc_u32_e32 v10, v7, v7
	v_mov_b32_e32 v6, v2
	s_branch .LBB36_5
.LBB36_2:                               ;   in Loop: Header=BB36_5 Depth=1
	s_or_b32 exec_lo, exec_lo, s22
	s_delay_alu instid0(SALU_CYCLE_1)
	s_or_not1_b32 s22, s23, exec_lo
.LBB36_3:                               ;   in Loop: Header=BB36_5 Depth=1
	s_or_b32 exec_lo, exec_lo, s21
	s_delay_alu instid0(SALU_CYCLE_1) | instskip(SKIP_1) | instid1(SALU_CYCLE_1)
	s_and_not1_b32 s15, s15, exec_lo
	s_and_b32 s21, s22, exec_lo
	s_or_b32 s15, s15, s21
.LBB36_4:                               ;   in Loop: Header=BB36_5 Depth=1
	s_or_b32 exec_lo, exec_lo, s20
	s_delay_alu instid0(SALU_CYCLE_1) | instskip(NEXT) | instid1(SALU_CYCLE_1)
	s_and_b32 s20, exec_lo, s15
	s_or_b32 s9, s20, s9
	s_delay_alu instid0(SALU_CYCLE_1)
	s_and_not1_b32 exec_lo, exec_lo, s9
	s_cbranch_execz .LBB36_9
.LBB36_5:                               ; =>This Inner Loop Header: Depth=1
	v_lshlrev_b64 v[3:4], 4, v[1:2]
	s_or_b32 s15, s15, exec_lo
	s_mov_b32 s20, exec_lo
	s_delay_alu instid0(VALU_DEP_1) | instskip(NEXT) | instid1(VALU_DEP_2)
	v_add_co_u32 v3, vcc_lo, s26, v3
	v_add_co_ci_u32_e32 v4, vcc_lo, s27, v4, vcc_lo
	global_load_b128 v[11:14], v[3:4], off
	v_add_nc_u32_e32 v3, v1, v7
	s_waitcnt vmcnt(0)
	v_fmac_f32_e32 v6, v11, v11
	s_delay_alu instid0(VALU_DEP_1) | instskip(NEXT) | instid1(VALU_DEP_1)
	v_fmac_f32_e32 v6, v12, v12
	v_fmac_f32_e32 v6, v13, v13
	s_delay_alu instid0(VALU_DEP_1)
	v_fmac_f32_e32 v6, v14, v14
	v_cmpx_gt_u32_e64 s8, v3
	s_cbranch_execz .LBB36_4
; %bb.6:                                ;   in Loop: Header=BB36_5 Depth=1
	v_mov_b32_e32 v4, v2
	s_mov_b32 s22, -1
	s_mov_b32 s21, exec_lo
	s_delay_alu instid0(VALU_DEP_1) | instskip(NEXT) | instid1(VALU_DEP_1)
	v_lshlrev_b64 v[4:5], 4, v[3:4]
	v_add_co_u32 v4, vcc_lo, s26, v4
	s_delay_alu instid0(VALU_DEP_2) | instskip(SKIP_4) | instid1(VALU_DEP_1)
	v_add_co_ci_u32_e32 v5, vcc_lo, s27, v5, vcc_lo
	global_load_b128 v[11:14], v[4:5], off
	v_add_nc_u32_e32 v4, v9, v1
	s_waitcnt vmcnt(0)
	v_fmac_f32_e32 v6, v11, v11
	v_fmac_f32_e32 v6, v12, v12
	s_delay_alu instid0(VALU_DEP_1) | instskip(NEXT) | instid1(VALU_DEP_1)
	v_fmac_f32_e32 v6, v13, v13
	v_fmac_f32_e32 v6, v14, v14
	v_cmpx_gt_u32_e64 s8, v4
	s_cbranch_execz .LBB36_3
; %bb.7:                                ;   in Loop: Header=BB36_5 Depth=1
	v_mov_b32_e32 v5, v2
	s_mov_b32 s23, -1
	s_mov_b32 s22, exec_lo
	s_delay_alu instid0(VALU_DEP_1) | instskip(NEXT) | instid1(VALU_DEP_1)
	v_lshlrev_b64 v[4:5], 4, v[4:5]
	v_add_co_u32 v4, vcc_lo, s26, v4
	s_delay_alu instid0(VALU_DEP_2) | instskip(SKIP_3) | instid1(VALU_DEP_1)
	v_add_co_ci_u32_e32 v5, vcc_lo, s27, v5, vcc_lo
	global_load_b128 v[11:14], v[4:5], off
	s_waitcnt vmcnt(0)
	v_fmac_f32_e32 v6, v11, v11
	v_fmac_f32_e32 v6, v12, v12
	s_delay_alu instid0(VALU_DEP_1) | instskip(NEXT) | instid1(VALU_DEP_1)
	v_fmac_f32_e32 v6, v13, v13
	v_dual_fmac_f32 v6, v14, v14 :: v_dual_add_nc_u32 v1, v8, v1
	s_delay_alu instid0(VALU_DEP_1)
	v_cmpx_gt_u32_e64 s8, v1
	s_xor_b32 s22, exec_lo, s22
	s_cbranch_execz .LBB36_2
; %bb.8:                                ;   in Loop: Header=BB36_5 Depth=1
	v_lshlrev_b64 v[4:5], 4, v[1:2]
	v_add3_u32 v1, v10, v7, v3
	s_delay_alu instid0(VALU_DEP_2) | instskip(NEXT) | instid1(VALU_DEP_3)
	v_add_co_u32 v4, vcc_lo, s26, v4
	v_add_co_ci_u32_e32 v5, vcc_lo, s27, v5, vcc_lo
	s_delay_alu instid0(VALU_DEP_3) | instskip(SKIP_4) | instid1(VALU_DEP_1)
	v_cmp_le_u32_e32 vcc_lo, s8, v1
	global_load_b128 v[11:14], v[4:5], off
	s_or_not1_b32 s23, vcc_lo, exec_lo
	s_waitcnt vmcnt(0)
	v_fmac_f32_e32 v6, v11, v11
	v_fmac_f32_e32 v6, v12, v12
	s_delay_alu instid0(VALU_DEP_1) | instskip(NEXT) | instid1(VALU_DEP_1)
	v_fmac_f32_e32 v6, v13, v13
	v_fmac_f32_e32 v6, v14, v14
	s_branch .LBB36_2
.LBB36_9:
	s_or_b32 exec_lo, exec_lo, s9
.LBB36_10:
	s_delay_alu instid0(SALU_CYCLE_1) | instskip(SKIP_4) | instid1(VALU_DEP_2)
	s_or_b32 exec_lo, exec_lo, s3
	v_mbcnt_lo_u32_b32 v1, -1, 0
	s_load_b32 s3, s[18:19], 0xc
	v_and_b32_e32 v7, 0x3e0, v0
	s_mov_b32 s9, exec_lo
	v_cmp_ne_u32_e32 vcc_lo, 31, v1
	v_add_nc_u32_e32 v3, 1, v1
	v_add_co_ci_u32_e32 v2, vcc_lo, 0, v1, vcc_lo
	v_cmp_gt_u32_e32 vcc_lo, 30, v1
	s_delay_alu instid0(VALU_DEP_2)
	v_lshlrev_b32_e32 v2, 2, v2
	v_cndmask_b32_e64 v5, 0, 1, vcc_lo
	ds_bpermute_b32 v4, v2, v6
	s_waitcnt lgkmcnt(0)
	s_and_b32 s3, s3, 0xffff
	v_lshlrev_b32_e32 v5, 1, v5
	v_sub_nc_u32_e64 v12, s3, v7 clamp
	s_delay_alu instid0(VALU_DEP_1) | instskip(SKIP_1) | instid1(VALU_DEP_4)
	v_cmp_lt_u32_e32 vcc_lo, v3, v12
	v_add_f32_e32 v7, v6, v4
	v_add_lshl_u32 v4, v5, v1, 2
	s_delay_alu instid0(VALU_DEP_2) | instskip(SKIP_2) | instid1(VALU_DEP_1)
	v_cndmask_b32_e32 v7, v6, v7, vcc_lo
	v_cmp_gt_u32_e32 vcc_lo, 28, v1
	v_cndmask_b32_e64 v5, 0, 1, vcc_lo
	v_lshlrev_b32_e32 v8, 2, v5
	ds_bpermute_b32 v6, v4, v7
	v_add_nc_u32_e32 v5, 2, v1
	s_delay_alu instid0(VALU_DEP_1) | instskip(SKIP_3) | instid1(VALU_DEP_2)
	v_cmp_lt_u32_e32 vcc_lo, v5, v12
	s_waitcnt lgkmcnt(0)
	v_add_f32_e32 v9, v7, v6
	v_add_lshl_u32 v6, v8, v1, 2
	v_cndmask_b32_e32 v9, v7, v9, vcc_lo
	v_cmp_gt_u32_e32 vcc_lo, 24, v1
	ds_bpermute_b32 v8, v6, v9
	v_cndmask_b32_e64 v7, 0, 1, vcc_lo
	s_delay_alu instid0(VALU_DEP_1) | instskip(SKIP_1) | instid1(VALU_DEP_1)
	v_lshlrev_b32_e32 v10, 3, v7
	v_add_nc_u32_e32 v7, 4, v1
	v_cmp_lt_u32_e32 vcc_lo, v7, v12
	s_waitcnt lgkmcnt(0)
	v_add_f32_e32 v11, v9, v8
	v_add_lshl_u32 v8, v10, v1, 2
	s_delay_alu instid0(VALU_DEP_2) | instskip(SKIP_3) | instid1(VALU_DEP_1)
	v_cndmask_b32_e32 v11, v9, v11, vcc_lo
	v_cmp_gt_u32_e32 vcc_lo, 16, v1
	ds_bpermute_b32 v10, v8, v11
	v_cndmask_b32_e64 v9, 0, 1, vcc_lo
	v_lshlrev_b32_e32 v13, 4, v9
	v_add_nc_u32_e32 v9, 8, v1
	s_delay_alu instid0(VALU_DEP_1) | instskip(SKIP_3) | instid1(VALU_DEP_2)
	v_cmp_lt_u32_e32 vcc_lo, v9, v12
	s_waitcnt lgkmcnt(0)
	v_add_f32_e32 v14, v11, v10
	v_add_lshl_u32 v10, v13, v1, 2
	v_cndmask_b32_e32 v13, v11, v14, vcc_lo
	v_add_nc_u32_e32 v11, 16, v1
	ds_bpermute_b32 v14, v10, v13
	v_cmp_lt_u32_e32 vcc_lo, v11, v12
	s_waitcnt lgkmcnt(0)
	v_add_f32_e32 v14, v13, v14
	s_delay_alu instid0(VALU_DEP_1)
	v_cndmask_b32_e32 v12, v13, v14, vcc_lo
	v_cmpx_eq_u32_e32 0, v1
	s_cbranch_execz .LBB36_12
; %bb.11:
	v_lshrrev_b32_e32 v13, 3, v0
	s_delay_alu instid0(VALU_DEP_1)
	v_and_b32_e32 v13, 0x7c, v13
	ds_store_b32 v13, v12 offset:4096
.LBB36_12:
	s_or_b32 exec_lo, exec_lo, s9
	s_delay_alu instid0(SALU_CYCLE_1)
	s_mov_b32 s9, exec_lo
	s_waitcnt lgkmcnt(0)
	s_barrier
	buffer_gl0_inv
	v_cmpx_gt_u32_e32 32, v0
	s_cbranch_execz .LBB36_14
; %bb.13:
	v_lshlrev_b32_e32 v1, 2, v1
	s_add_i32 s3, s3, 31
	s_delay_alu instid0(SALU_CYCLE_1) | instskip(NEXT) | instid1(SALU_CYCLE_1)
	s_lshr_b32 s3, s3, 5
	v_cmp_gt_u32_e32 vcc_lo, s3, v3
	ds_load_b32 v1, v1 offset:4096
	s_waitcnt lgkmcnt(0)
	ds_bpermute_b32 v2, v2, v1
	s_waitcnt lgkmcnt(0)
	v_add_f32_e32 v2, v1, v2
	s_delay_alu instid0(VALU_DEP_1) | instskip(SKIP_4) | instid1(VALU_DEP_1)
	v_cndmask_b32_e32 v1, v1, v2, vcc_lo
	v_cmp_gt_u32_e32 vcc_lo, s3, v5
	ds_bpermute_b32 v2, v4, v1
	s_waitcnt lgkmcnt(0)
	v_add_f32_e32 v2, v1, v2
	v_cndmask_b32_e32 v1, v1, v2, vcc_lo
	v_cmp_gt_u32_e32 vcc_lo, s3, v7
	ds_bpermute_b32 v2, v6, v1
	s_waitcnt lgkmcnt(0)
	v_add_f32_e32 v2, v1, v2
	s_delay_alu instid0(VALU_DEP_1) | instskip(SKIP_4) | instid1(VALU_DEP_1)
	v_cndmask_b32_e32 v1, v1, v2, vcc_lo
	v_cmp_gt_u32_e32 vcc_lo, s3, v9
	ds_bpermute_b32 v2, v8, v1
	s_waitcnt lgkmcnt(0)
	v_add_f32_e32 v2, v1, v2
	v_cndmask_b32_e32 v1, v1, v2, vcc_lo
	v_cmp_gt_u32_e32 vcc_lo, s3, v11
	ds_bpermute_b32 v2, v10, v1
	s_waitcnt lgkmcnt(0)
	v_add_f32_e32 v2, v1, v2
	s_delay_alu instid0(VALU_DEP_1)
	v_cndmask_b32_e32 v12, v1, v2, vcc_lo
.LBB36_14:
	s_or_b32 exec_lo, exec_lo, s9
	s_delay_alu instid0(SALU_CYCLE_1)
	s_mov_b32 s3, exec_lo
	v_cmpx_eq_u32_e32 0, v0
	s_cbranch_execz .LBB36_16
; %bb.15:
	v_cvt_f32_i32_e32 v1, s13
	s_delay_alu instid0(VALU_DEP_1) | instskip(SKIP_1) | instid1(VALU_DEP_2)
	v_div_scale_f32 v2, null, v1, v1, v12
	v_div_scale_f32 v5, vcc_lo, v12, v1, v12
	v_rcp_f32_e32 v3, v2
	s_waitcnt_depctr 0xfff
	v_fma_f32 v4, -v2, v3, 1.0
	s_delay_alu instid0(VALU_DEP_1) | instskip(NEXT) | instid1(VALU_DEP_1)
	v_fmac_f32_e32 v3, v4, v3
	v_mul_f32_e32 v4, v5, v3
	s_delay_alu instid0(VALU_DEP_1) | instskip(NEXT) | instid1(VALU_DEP_1)
	v_fma_f32 v6, -v2, v4, v5
	v_fmac_f32_e32 v4, v6, v3
	s_delay_alu instid0(VALU_DEP_1) | instskip(NEXT) | instid1(VALU_DEP_1)
	v_fma_f32 v2, -v2, v4, v5
	v_div_fmas_f32 v2, v2, v3, v4
	s_delay_alu instid0(VALU_DEP_1) | instskip(NEXT) | instid1(VALU_DEP_1)
	v_div_fixup_f32 v1, v2, v1, v12
	v_add_f32_e32 v1, s12, v1
	s_delay_alu instid0(VALU_DEP_1) | instskip(SKIP_1) | instid1(VALU_DEP_2)
	v_mul_f32_e32 v2, 0x4b800000, v1
	v_cmp_gt_f32_e32 vcc_lo, 0x800000, v1
	v_cndmask_b32_e32 v1, v1, v2, vcc_lo
	s_delay_alu instid0(VALU_DEP_1) | instskip(SKIP_2) | instid1(VALU_DEP_1)
	v_rsq_f32_e32 v1, v1
	s_waitcnt_depctr 0xfff
	v_mul_f32_e32 v2, 0x45800000, v1
	v_dual_cndmask_b32 v1, v1, v2 :: v_dual_mov_b32 v2, 0
	ds_store_b32 v2, v1 offset:4224
.LBB36_16:
	s_or_b32 exec_lo, exec_lo, s3
	s_ashr_i32 s15, s13, 31
	v_mov_b32_e32 v4, 0
	s_lshr_b32 s3, s15, 26
	s_waitcnt lgkmcnt(0)
	s_add_i32 s3, s13, s3
	s_barrier
	s_ashr_i32 s12, s3, 6
	s_cmp_lt_u32 s16, s29
	buffer_gl0_inv
	s_cselect_b32 s9, 12, 18
	ds_load_b32 v28, v4 offset:4224
	s_add_u32 s18, s18, s9
	s_addc_u32 s19, s19, 0
	s_abs_i32 s9, s12
	global_load_u16 v1, v4, s[18:19]
	v_cvt_f32_u32_e32 v2, s9
	s_sub_i32 s18, 0, s9
	s_ashr_i32 s3, s3, 31
	s_delay_alu instid0(VALU_DEP_1) | instskip(SKIP_2) | instid1(VALU_DEP_1)
	v_rcp_iflag_f32_e32 v2, v2
	s_waitcnt_depctr 0xfff
	v_mul_f32_e32 v2, 0x4f7ffffe, v2
	v_cvt_u32_f32_e32 v2, v2
	s_delay_alu instid0(VALU_DEP_1) | instskip(NEXT) | instid1(VALU_DEP_1)
	v_readfirstlane_b32 s13, v2
	s_mul_i32 s18, s18, s13
	s_delay_alu instid0(SALU_CYCLE_1) | instskip(NEXT) | instid1(SALU_CYCLE_1)
	s_mul_hi_u32 s18, s13, s18
	s_add_i32 s13, s13, s18
	s_waitcnt vmcnt(0)
	v_readfirstlane_b32 s28, v1
	s_delay_alu instid0(VALU_DEP_1) | instskip(NEXT) | instid1(SALU_CYCLE_1)
	s_mul_hi_u32 s13, s28, s13
	s_mul_i32 s18, s13, s9
	s_add_i32 s19, s13, 1
	s_sub_i32 s18, s28, s18
	s_delay_alu instid0(SALU_CYCLE_1)
	s_sub_i32 s20, s18, s9
	s_cmp_ge_u32 s18, s9
	s_cselect_b32 s13, s19, s13
	s_cselect_b32 s18, s20, s18
	s_add_i32 s19, s13, 1
	s_cmp_ge_u32 s18, s9
	s_cselect_b32 s9, s19, s13
	s_delay_alu instid0(SALU_CYCLE_1) | instskip(NEXT) | instid1(SALU_CYCLE_1)
	s_xor_b32 s9, s9, s3
	s_sub_i32 s18, s9, s3
	s_delay_alu instid0(SALU_CYCLE_1) | instskip(SKIP_3) | instid1(VALU_DEP_1)
	s_abs_i32 s3, s18
	s_ashr_i32 s19, s18, 31
	v_cvt_f32_u32_e32 v1, s3
	s_sub_i32 s9, 0, s3
	v_rcp_iflag_f32_e32 v1, v1
	s_waitcnt_depctr 0xfff
	v_mul_f32_e32 v1, 0x4f7ffffe, v1
	s_delay_alu instid0(VALU_DEP_1) | instskip(NEXT) | instid1(VALU_DEP_1)
	v_cvt_u32_f32_e32 v1, v1
	v_mul_lo_u32 v2, s9, v1
	s_ashr_i32 s9, s8, 31
	s_delay_alu instid0(VALU_DEP_1) | instskip(NEXT) | instid1(VALU_DEP_1)
	v_mul_hi_u32 v2, v1, v2
	v_add_nc_u32_e32 v1, v1, v2
	s_delay_alu instid0(VALU_DEP_1) | instskip(NEXT) | instid1(VALU_DEP_1)
	v_mul_hi_u32 v1, v0, v1
	v_mul_lo_u32 v2, v1, s3
	v_add_nc_u32_e32 v3, 1, v1
	s_delay_alu instid0(VALU_DEP_2) | instskip(NEXT) | instid1(VALU_DEP_1)
	v_sub_nc_u32_e32 v2, v0, v2
	v_subrev_nc_u32_e32 v5, s3, v2
	v_cmp_le_u32_e32 vcc_lo, s3, v2
	s_delay_alu instid0(VALU_DEP_2) | instskip(NEXT) | instid1(VALU_DEP_1)
	v_dual_cndmask_b32 v2, v2, v5 :: v_dual_cndmask_b32 v1, v1, v3
	v_cmp_le_u32_e32 vcc_lo, s3, v2
	s_delay_alu instid0(VALU_DEP_2) | instskip(NEXT) | instid1(VALU_DEP_1)
	v_add_nc_u32_e32 v3, 1, v1
	v_cndmask_b32_e32 v1, v1, v3, vcc_lo
	s_delay_alu instid0(VALU_DEP_1) | instskip(NEXT) | instid1(VALU_DEP_1)
	v_xor_b32_e32 v1, s19, v1
	v_subrev_nc_u32_e32 v1, s19, v1
	s_delay_alu instid0(VALU_DEP_1) | instskip(SKIP_1) | instid1(VALU_DEP_2)
	v_ashrrev_i32_e32 v2, 31, v1
	v_mul_lo_u32 v3, v1, s18
	v_lshlrev_b64 v[7:8], 4, v[1:2]
	s_delay_alu instid0(VALU_DEP_2) | instskip(NEXT) | instid1(VALU_DEP_2)
	v_sub_nc_u32_e32 v3, v0, v3
	v_add_co_u32 v5, vcc_lo, v7, 16
	s_delay_alu instid0(VALU_DEP_3) | instskip(NEXT) | instid1(VALU_DEP_1)
	v_add_co_ci_u32_e32 v6, vcc_lo, 0, v8, vcc_lo
	v_cmp_gt_i64_e32 vcc_lo, s[8:9], v[5:6]
	v_cndmask_b32_e32 v6, s9, v6, vcc_lo
	v_cndmask_b32_e32 v5, s8, v5, vcc_lo
	v_add_co_u32 v7, vcc_lo, v7, v3
	v_add_co_ci_u32_e32 v8, vcc_lo, 0, v8, vcc_lo
	s_delay_alu instid0(VALU_DEP_3) | instskip(SKIP_2) | instid1(VALU_DEP_1)
	v_ashrrev_i32_e32 v10, 31, v5
	v_mov_b32_e32 v9, v5
	s_mov_b32 s9, exec_lo
	v_cmpx_lt_i64_e64 v[7:8], v[9:10]
	s_cbranch_execz .LBB36_26
; %bb.17:
	v_lshlrev_b64 v[11:12], 8, v[1:2]
	v_lshlrev_b64 v[13:14], 4, v[3:4]
	v_mov_b32_e32 v4, 0
	s_lshl_b64 s[20:21], s[18:19], 6
	s_mul_hi_i32 s13, s18, 3
	s_mul_i32 s30, s18, 3
	s_lshl_b64 s[22:23], s[18:19], 1
	v_add_co_u32 v19, vcc_lo, v11, v13
	v_add_co_ci_u32_e32 v20, vcc_lo, v12, v14, vcc_lo
	v_dual_mov_b32 v12, v8 :: v_dual_mov_b32 v11, v7
	s_lshl_b64 s[24:25], s[18:19], 4
	s_mov_b32 s31, 0
                                        ; implicit-def: $sgpr33
	s_branch .LBB36_21
.LBB36_18:                              ;   in Loop: Header=BB36_21 Depth=1
	s_or_b32 exec_lo, exec_lo, s36
	s_delay_alu instid0(SALU_CYCLE_1)
	s_or_not1_b32 s3, s3, exec_lo
.LBB36_19:                              ;   in Loop: Header=BB36_21 Depth=1
	s_or_b32 exec_lo, exec_lo, s35
	s_delay_alu instid0(SALU_CYCLE_1) | instskip(SKIP_1) | instid1(SALU_CYCLE_1)
	s_and_not1_b32 s33, s33, exec_lo
	s_and_b32 s3, s3, exec_lo
	s_or_b32 s33, s33, s3
.LBB36_20:                              ;   in Loop: Header=BB36_21 Depth=1
	s_or_b32 exec_lo, exec_lo, s34
	s_delay_alu instid0(SALU_CYCLE_1) | instskip(NEXT) | instid1(SALU_CYCLE_1)
	s_and_b32 s3, exec_lo, s33
	s_or_b32 s31, s3, s31
	s_delay_alu instid0(SALU_CYCLE_1)
	s_and_not1_b32 exec_lo, exec_lo, s31
	s_cbranch_execz .LBB36_25
.LBB36_21:                              ; =>This Inner Loop Header: Depth=1
	v_add_co_u32 v15, vcc_lo, s26, v19
	v_add_co_ci_u32_e32 v16, vcc_lo, s27, v20, vcc_lo
	v_add_co_u32 v17, vcc_lo, s10, v19
	v_add_co_ci_u32_e32 v18, vcc_lo, s11, v20, vcc_lo
	s_or_b32 s33, s33, exec_lo
	global_load_b128 v[21:24], v[15:16], off
	global_load_b128 v[29:32], v[17:18], off
	s_mov_b32 s34, exec_lo
	s_waitcnt vmcnt(1) lgkmcnt(0)
	v_mul_f32_e32 v14, v28, v22
	v_mul_f32_e32 v13, v28, v21
	;; [unrolled: 1-line block ×3, first 2 shown]
	s_waitcnt vmcnt(0)
	s_delay_alu instid0(VALU_DEP_3) | instskip(NEXT) | instid1(VALU_DEP_2)
	v_dual_mul_f32 v21, v28, v23 :: v_dual_mul_f32 v24, v14, v30
	v_dual_mul_f32 v23, v13, v29 :: v_dual_mul_f32 v22, v22, v32
	s_delay_alu instid0(VALU_DEP_2) | instskip(SKIP_1) | instid1(VALU_DEP_3)
	v_mul_f32_e32 v21, v21, v31
	v_add_co_u32 v13, vcc_lo, v11, s18
	v_max3_f32 v4, v4, |v23|, |v24|
	v_add_co_ci_u32_e32 v14, vcc_lo, s19, v12, vcc_lo
	s_delay_alu instid0(VALU_DEP_2) | instskip(NEXT) | instid1(VALU_DEP_2)
	v_max3_f32 v4, v4, |v21|, |v22|
	v_cmpx_lt_i64_e64 v[13:14], v[9:10]
	s_cbranch_execz .LBB36_20
; %bb.22:                               ;   in Loop: Header=BB36_21 Depth=1
	v_add_co_u32 v15, vcc_lo, v15, s24
	v_add_co_ci_u32_e32 v16, vcc_lo, s25, v16, vcc_lo
	v_add_co_u32 v17, vcc_lo, v17, s24
	v_add_co_ci_u32_e32 v18, vcc_lo, s25, v18, vcc_lo
	s_mov_b32 s3, -1
	global_load_b128 v[21:24], v[15:16], off
	global_load_b128 v[29:32], v[17:18], off
	s_mov_b32 s35, exec_lo
	s_waitcnt vmcnt(1)
	v_mul_f32_e32 v22, v28, v22
	v_mul_f32_e32 v21, v28, v21
	;; [unrolled: 1-line block ×4, first 2 shown]
	s_waitcnt vmcnt(0)
	s_delay_alu instid0(VALU_DEP_3) | instskip(NEXT) | instid1(VALU_DEP_2)
	v_dual_mul_f32 v26, v22, v30 :: v_dual_mul_f32 v25, v21, v29
	v_dual_mul_f32 v23, v23, v31 :: v_dual_mul_f32 v24, v24, v32
	v_add_co_u32 v21, vcc_lo, s22, v11
	s_delay_alu instid0(VALU_DEP_3) | instskip(SKIP_1) | instid1(VALU_DEP_2)
	v_max3_f32 v4, v4, |v25|, |v26|
	v_add_co_ci_u32_e32 v22, vcc_lo, s23, v12, vcc_lo
	v_max3_f32 v4, v4, |v23|, |v24|
	s_delay_alu instid0(VALU_DEP_2)
	v_cmpx_lt_i64_e64 v[21:22], v[9:10]
	s_cbranch_execz .LBB36_19
; %bb.23:                               ;   in Loop: Header=BB36_21 Depth=1
	v_add_co_u32 v15, vcc_lo, v15, s24
	v_add_co_ci_u32_e32 v16, vcc_lo, s25, v16, vcc_lo
	v_add_co_u32 v17, vcc_lo, v17, s24
	v_add_co_ci_u32_e32 v18, vcc_lo, s25, v18, vcc_lo
	v_add_co_u32 v11, vcc_lo, s30, v11
	global_load_b128 v[21:24], v[15:16], off
	global_load_b128 v[29:32], v[17:18], off
	v_add_co_ci_u32_e32 v12, vcc_lo, s13, v12, vcc_lo
	s_delay_alu instid0(VALU_DEP_1)
	v_cmp_lt_i64_e32 vcc_lo, v[11:12], v[9:10]
                                        ; implicit-def: $vgpr11_vgpr12
	s_waitcnt vmcnt(1)
	v_mul_f32_e32 v22, v28, v22
	v_mul_f32_e32 v21, v28, v21
	;; [unrolled: 1-line block ×4, first 2 shown]
	s_waitcnt vmcnt(0)
	s_delay_alu instid0(VALU_DEP_3) | instskip(NEXT) | instid1(VALU_DEP_3)
	v_dual_mul_f32 v22, v22, v30 :: v_dual_mul_f32 v21, v21, v29
	v_mul_f32_e32 v23, v23, v31
	s_delay_alu instid0(VALU_DEP_2) | instskip(SKIP_1) | instid1(VALU_DEP_1)
	v_max3_f32 v4, v4, |v21|, |v22|
	v_mul_f32_e32 v21, v24, v32
	v_max3_f32 v4, v4, |v23|, |v21|
	s_and_saveexec_b32 s36, vcc_lo
	s_delay_alu instid0(SALU_CYCLE_1)
	s_xor_b32 s36, exec_lo, s36
	s_cbranch_execz .LBB36_18
; %bb.24:                               ;   in Loop: Header=BB36_21 Depth=1
	v_add_co_u32 v11, vcc_lo, v15, s24
	v_add_co_ci_u32_e32 v12, vcc_lo, s25, v16, vcc_lo
	v_add_co_u32 v21, vcc_lo, v17, s24
	v_add_co_ci_u32_e32 v22, vcc_lo, s25, v18, vcc_lo
	s_add_u32 s3, s18, s18
	global_load_b128 v[15:18], v[11:12], off
	global_load_b128 v[21:24], v[21:22], off
	s_addc_u32 s37, s19, s19
	s_add_u32 s3, s3, s18
	s_addc_u32 s37, s37, s19
	s_waitcnt vmcnt(1)
	v_mul_f32_e32 v11, v28, v15
	v_mul_f32_e32 v12, v28, v16
	;; [unrolled: 1-line block ×3, first 2 shown]
	s_waitcnt vmcnt(0)
	s_delay_alu instid0(VALU_DEP_3) | instskip(NEXT) | instid1(VALU_DEP_3)
	v_dual_mul_f32 v16, v28, v18 :: v_dual_mul_f32 v17, v11, v21
	v_mul_f32_e32 v18, v12, v22
	v_add_co_u32 v11, vcc_lo, s3, v13
	v_mul_f32_e32 v13, v15, v23
	v_add_co_ci_u32_e32 v12, vcc_lo, s37, v14, vcc_lo
	v_mul_f32_e32 v14, v16, v24
	v_max3_f32 v4, v4, |v17|, |v18|
	v_add_co_u32 v19, s3, v19, s20
	s_delay_alu instid0(VALU_DEP_4) | instskip(SKIP_1) | instid1(VALU_DEP_4)
	v_cmp_ge_i64_e32 vcc_lo, v[11:12], v[9:10]
	v_add_co_ci_u32_e64 v20, s3, s21, v20, s3
	v_max3_f32 v4, v4, |v13|, |v14|
	s_or_not1_b32 s3, vcc_lo, exec_lo
	s_branch .LBB36_18
.LBB36_25:
	s_or_b32 exec_lo, exec_lo, s31
.LBB36_26:
	s_delay_alu instid0(SALU_CYCLE_1)
	s_or_b32 exec_lo, exec_lo, s9
	s_lshr_b32 s9, s28, 5
	v_lshlrev_b32_e32 v29, 2, v0
	v_cvt_f32_u32_e32 v9, s9
	s_sub_i32 s13, 0, s9
	s_add_i32 s20, s12, s9
	s_delay_alu instid0(SALU_CYCLE_1) | instskip(NEXT) | instid1(VALU_DEP_1)
	s_add_i32 s20, s20, -1
	v_rcp_iflag_f32_e32 v9, v9
	s_abs_i32 s21, s20
	s_ashr_i32 s20, s20, 31
	ds_store_b32 v29, v4
	s_waitcnt lgkmcnt(0)
	s_barrier
	buffer_gl0_inv
	v_mul_f32_e32 v9, 0x4f7ffffe, v9
	s_delay_alu instid0(VALU_DEP_1) | instskip(NEXT) | instid1(VALU_DEP_1)
	v_cvt_u32_f32_e32 v9, v9
	v_readfirstlane_b32 s3, v9
	s_delay_alu instid0(VALU_DEP_1) | instskip(NEXT) | instid1(SALU_CYCLE_1)
	s_mul_i32 s13, s13, s3
	s_mul_hi_u32 s13, s3, s13
	s_delay_alu instid0(SALU_CYCLE_1) | instskip(NEXT) | instid1(SALU_CYCLE_1)
	s_add_i32 s3, s3, s13
	s_mul_hi_u32 s3, s21, s3
	s_delay_alu instid0(SALU_CYCLE_1) | instskip(NEXT) | instid1(SALU_CYCLE_1)
	s_mul_i32 s13, s3, s9
	s_sub_i32 s13, s21, s13
	s_add_i32 s21, s3, 1
	s_sub_i32 s22, s13, s9
	s_cmp_ge_u32 s13, s9
	s_cselect_b32 s3, s21, s3
	s_cselect_b32 s13, s22, s13
	s_add_i32 s21, s3, 1
	s_cmp_ge_u32 s13, s9
	s_cselect_b32 s3, s21, s3
	s_delay_alu instid0(SALU_CYCLE_1) | instskip(NEXT) | instid1(SALU_CYCLE_1)
	s_xor_b32 s3, s3, s20
	s_sub_i32 s20, s3, s20
	s_delay_alu instid0(SALU_CYCLE_1) | instskip(NEXT) | instid1(SALU_CYCLE_1)
	s_ashr_i32 s21, s20, 31
	v_cmp_lt_i64_e64 s3, s[20:21], 1
	s_delay_alu instid0(VALU_DEP_1)
	s_and_b32 vcc_lo, exec_lo, s3
	s_cbranch_vccnz .LBB36_46
; %bb.27:
	v_lshrrev_b32_e32 v9, 5, v0
	v_and_b32_e32 v4, 31, v0
	s_ashr_i32 s13, s12, 31
	s_mov_b64 s[22:23], 0
	s_mov_b64 s[24:25], src_shared_base
	v_mul_lo_u32 v19, s18, v9
	v_add_co_u32 v11, s3, v4, 16
	s_delay_alu instid0(VALU_DEP_1) | instskip(SKIP_1) | instid1(VALU_DEP_1)
	v_add_co_ci_u32_e64 v12, null, 0, 0, s3
	v_add_co_u32 v13, s3, v4, 8
	v_add_co_ci_u32_e64 v14, null, 0, 0, s3
	v_add_co_u32 v15, s3, v4, 4
	v_dual_mov_b32 v10, 0 :: v_dual_lshlrev_b32 v21, 2, v19
	v_lshlrev_b32_e32 v22, 2, v4
	v_add_co_ci_u32_e64 v16, null, 0, 0, s3
	v_add_co_u32 v17, s3, v4, 2
	s_delay_alu instid0(VALU_DEP_1) | instskip(SKIP_1) | instid1(VALU_DEP_1)
	v_add_co_ci_u32_e64 v18, null, 0, 0, s3
	v_add_co_u32 v19, s3, v4, 1
	v_add_co_ci_u32_e64 v20, null, 0, 0, s3
	v_add3_u32 v30, v21, v22, 0x80
	s_mul_i32 s3, s18, s9
	s_delay_alu instid0(SALU_CYCLE_1)
	s_lshl_b32 s30, s3, 2
	s_branch .LBB36_30
.LBB36_28:                              ;   in Loop: Header=BB36_30 Depth=1
	s_or_b32 exec_lo, exec_lo, s3
	v_mov_b32_e32 v22, s25
	flat_load_b32 v21, v[21:22] glc dlc
	s_waitcnt vmcnt(0)
.LBB36_29:                              ;   in Loop: Header=BB36_30 Depth=1
	s_or_b32 exec_lo, exec_lo, s24
	s_add_u32 s22, s22, 1
	v_add_nc_u32_e32 v30, s30, v30
	s_addc_u32 s23, s23, 0
	s_delay_alu instid0(SALU_CYCLE_1)
	s_cmp_eq_u64 s[22:23], s[20:21]
	s_cbranch_scc1 .LBB36_46
.LBB36_30:                              ; =>This Loop Header: Depth=1
                                        ;     Child Loop BB36_33 Depth 2
	s_waitcnt lgkmcnt(0)
	v_mad_u64_u32 v[21:22], null, s22, s9, v[9:10]
	s_mov_b32 s24, exec_lo
	s_delay_alu instid0(VALU_DEP_1) | instskip(NEXT) | instid1(VALU_DEP_1)
	v_mad_u64_u32 v[23:24], null, s23, s9, v[22:23]
	v_mov_b32_e32 v22, v23
	s_delay_alu instid0(VALU_DEP_1)
	v_cmpx_gt_i64_e64 s[12:13], v[21:22]
	s_cbranch_execz .LBB36_29
; %bb.31:                               ;   in Loop: Header=BB36_30 Depth=1
	v_mul_lo_u32 v24, v22, s18
	v_mul_lo_u32 v25, v21, s19
	v_mad_u64_u32 v[22:23], null, v21, s18, 0
	s_delay_alu instid0(VALU_DEP_1) | instskip(NEXT) | instid1(VALU_DEP_2)
	v_add3_u32 v23, v23, v25, v24
	v_add_co_u32 v24, vcc_lo, v22, s18
	v_add_co_u32 v31, s3, v22, v4
	s_delay_alu instid0(VALU_DEP_3) | instskip(SKIP_2) | instid1(VALU_DEP_2)
	v_add_co_ci_u32_e32 v25, vcc_lo, s19, v23, vcc_lo
	v_add_co_ci_u32_e64 v21, s3, 0, v23, s3
	s_mov_b32 s3, exec_lo
	v_cmp_gt_i64_e32 vcc_lo, s[14:15], v[24:25]
	v_cndmask_b32_e32 v25, s15, v25, vcc_lo
	v_cndmask_b32_e32 v24, s14, v24, vcc_lo
	v_add_co_u32 v26, vcc_lo, v31, 32
	v_add_co_ci_u32_e32 v27, vcc_lo, 0, v21, vcc_lo
	v_lshlrev_b32_e32 v21, 2, v31
	s_delay_alu instid0(VALU_DEP_2)
	v_cmpx_lt_i64_e64 v[26:27], v[24:25]
	s_cbranch_execz .LBB36_34
; %bb.32:                               ;   in Loop: Header=BB36_30 Depth=1
	ds_load_b32 v33, v21
	v_mov_b32_e32 v32, v30
	s_mov_b32 s31, 0
.LBB36_33:                              ;   Parent Loop BB36_30 Depth=1
                                        ; =>  This Inner Loop Header: Depth=2
	ds_load_b32 v34, v32
	v_add_co_u32 v26, vcc_lo, v26, 32
	v_add_co_ci_u32_e32 v27, vcc_lo, 0, v27, vcc_lo
	s_waitcnt lgkmcnt(1)
	v_dual_max_f32 v33, v33, v33 :: v_dual_add_nc_u32 v32, 0x80, v32
	s_delay_alu instid0(VALU_DEP_2) | instskip(SKIP_3) | instid1(VALU_DEP_1)
	v_cmp_ge_i64_e32 vcc_lo, v[26:27], v[24:25]
	s_or_b32 s31, vcc_lo, s31
	s_waitcnt lgkmcnt(0)
	v_max_f32_e32 v34, v34, v34
	v_max_f32_e32 v33, v33, v34
	ds_store_b32 v21, v33
	s_and_not1_b32 exec_lo, exec_lo, s31
	s_cbranch_execnz .LBB36_33
.LBB36_34:                              ;   in Loop: Header=BB36_30 Depth=1
	s_or_b32 exec_lo, exec_lo, s3
	v_sub_co_u32 v22, vcc_lo, v24, v22
	v_sub_co_ci_u32_e32 v23, vcc_lo, v25, v23, vcc_lo
	s_mov_b32 s3, exec_lo
	s_delay_alu instid0(VALU_DEP_1) | instskip(SKIP_1) | instid1(VALU_DEP_1)
	v_cmp_gt_i64_e32 vcc_lo, 32, v[22:23]
	v_dual_cndmask_b32 v24, 0, v23 :: v_dual_cndmask_b32 v23, 32, v22
	v_cmpx_lt_i64_e64 v[11:12], v[23:24]
	s_cbranch_execz .LBB36_36
; %bb.35:                               ;   in Loop: Header=BB36_30 Depth=1
	v_dual_mov_b32 v22, s25 :: v_dual_add_nc_u32 v25, 64, v21
	v_mov_b32_e32 v26, s25
	flat_load_b32 v27, v[21:22] glc dlc
	s_waitcnt vmcnt(0)
	flat_load_b32 v25, v[25:26] glc dlc
	s_waitcnt vmcnt(0) lgkmcnt(0)
	v_dual_max_f32 v26, v27, v27 :: v_dual_max_f32 v25, v25, v25
	s_delay_alu instid0(VALU_DEP_1)
	v_max_f32_e32 v25, v26, v25
	flat_store_b32 v[21:22], v25 dlc
	s_waitcnt_vscnt null, 0x0
.LBB36_36:                              ;   in Loop: Header=BB36_30 Depth=1
	s_or_b32 exec_lo, exec_lo, s3
	s_delay_alu instid0(SALU_CYCLE_1)
	s_mov_b32 s3, exec_lo
	v_cmpx_lt_i64_e64 v[13:14], v[23:24]
	s_cbranch_execz .LBB36_38
; %bb.37:                               ;   in Loop: Header=BB36_30 Depth=1
	v_dual_mov_b32 v22, s25 :: v_dual_add_nc_u32 v25, 32, v21
	v_mov_b32_e32 v26, s25
	flat_load_b32 v27, v[21:22] glc dlc
	s_waitcnt vmcnt(0)
	flat_load_b32 v25, v[25:26] glc dlc
	s_waitcnt vmcnt(0) lgkmcnt(0)
	v_dual_max_f32 v26, v27, v27 :: v_dual_max_f32 v25, v25, v25
	s_delay_alu instid0(VALU_DEP_1)
	v_max_f32_e32 v25, v26, v25
	flat_store_b32 v[21:22], v25 dlc
	s_waitcnt_vscnt null, 0x0
.LBB36_38:                              ;   in Loop: Header=BB36_30 Depth=1
	s_or_b32 exec_lo, exec_lo, s3
	s_delay_alu instid0(SALU_CYCLE_1)
	s_mov_b32 s3, exec_lo
	v_cmpx_ge_i64_e64 v[15:16], v[23:24]
	s_xor_b32 s3, exec_lo, s3
; %bb.39:                               ;   in Loop: Header=BB36_30 Depth=1
                                        ; implicit-def: $vgpr21
; %bb.40:                               ;   in Loop: Header=BB36_30 Depth=1
	s_delay_alu instid0(SALU_CYCLE_1)
	s_and_not1_saveexec_b32 s3, s3
	s_cbranch_execz .LBB36_42
; %bb.41:                               ;   in Loop: Header=BB36_30 Depth=1
	v_dual_mov_b32 v22, s25 :: v_dual_add_nc_u32 v25, 16, v21
	v_mov_b32_e32 v26, s25
	flat_load_b32 v27, v[21:22] glc dlc
	s_waitcnt vmcnt(0)
	flat_load_b32 v25, v[25:26] glc dlc
	s_waitcnt vmcnt(0) lgkmcnt(0)
	v_dual_max_f32 v26, v27, v27 :: v_dual_max_f32 v25, v25, v25
	s_delay_alu instid0(VALU_DEP_1)
	v_max_f32_e32 v25, v26, v25
	flat_store_b32 v[21:22], v25 dlc
	s_waitcnt_vscnt null, 0x0
.LBB36_42:                              ;   in Loop: Header=BB36_30 Depth=1
	s_or_b32 exec_lo, exec_lo, s3
	v_lshlrev_b32_e32 v21, 2, v31
	s_mov_b32 s3, exec_lo
	v_cmpx_lt_i64_e64 v[17:18], v[23:24]
	s_cbranch_execz .LBB36_44
; %bb.43:                               ;   in Loop: Header=BB36_30 Depth=1
	s_delay_alu instid0(VALU_DEP_2)
	v_dual_mov_b32 v22, s25 :: v_dual_add_nc_u32 v25, 8, v21
	v_mov_b32_e32 v26, s25
	flat_load_b32 v27, v[21:22] glc dlc
	s_waitcnt vmcnt(0)
	flat_load_b32 v25, v[25:26] glc dlc
	s_waitcnt vmcnt(0) lgkmcnt(0)
	v_dual_max_f32 v26, v27, v27 :: v_dual_max_f32 v25, v25, v25
	s_delay_alu instid0(VALU_DEP_1)
	v_max_f32_e32 v25, v26, v25
	flat_store_b32 v[21:22], v25 dlc
	s_waitcnt_vscnt null, 0x0
.LBB36_44:                              ;   in Loop: Header=BB36_30 Depth=1
	s_or_b32 exec_lo, exec_lo, s3
	s_delay_alu instid0(SALU_CYCLE_1)
	s_mov_b32 s3, exec_lo
	v_cmpx_lt_i64_e64 v[19:20], v[23:24]
	s_cbranch_execz .LBB36_28
; %bb.45:                               ;   in Loop: Header=BB36_30 Depth=1
	v_dual_mov_b32 v22, s25 :: v_dual_add_nc_u32 v23, 4, v21
	v_mov_b32_e32 v24, s25
	flat_load_b32 v25, v[21:22] glc dlc
	s_waitcnt vmcnt(0)
	flat_load_b32 v23, v[23:24] glc dlc
	s_waitcnt vmcnt(0) lgkmcnt(0)
	v_dual_max_f32 v24, v25, v25 :: v_dual_max_f32 v23, v23, v23
	s_delay_alu instid0(VALU_DEP_1)
	v_max_f32_e32 v23, v24, v23
	flat_store_b32 v[21:22], v23 dlc
	s_waitcnt_vscnt null, 0x0
	s_branch .LBB36_28
.LBB36_46:
	s_load_b64 s[12:13], s[0:1], 0x40
	v_cmp_lt_i64_e32 vcc_lo, v[7:8], v[5:6]
	v_cmp_eq_u32_e64 s3, 0, v3
	s_waitcnt lgkmcnt(0)
	s_barrier
	buffer_gl0_inv
	s_and_b32 s9, s3, vcc_lo
	s_delay_alu instid0(SALU_CYCLE_1)
	s_and_saveexec_b32 s3, s9
	s_cbranch_execz .LBB36_53
; %bb.47:
	s_load_b64 s[0:1], s[0:1], 0x20
	ds_load_b32 v5, v29
	s_waitcnt lgkmcnt(0)
	s_cmp_eq_u64 s[0:1], 0
	s_cbranch_scc1 .LBB36_49
; %bb.48:
	s_load_b32 s0, s[0:1], 0x0
	v_max_f32_e32 v3, v5, v5
	s_waitcnt lgkmcnt(0)
	v_max_f32_e64 v4, s0, s0
	s_delay_alu instid0(VALU_DEP_1)
	v_min_f32_e32 v5, v3, v4
.LBB36_49:
	s_add_u32 s0, s12, s29
	s_addc_u32 s1, s13, 0
	s_add_u32 s18, s0, -1
	s_addc_u32 s19, s1, -1
	s_delay_alu instid0(SALU_CYCLE_1) | instskip(SKIP_1) | instid1(SALU_CYCLE_1)
	s_or_b64 s[20:21], s[18:19], s[12:13]
	s_mov_b32 s20, 0
	s_cmp_lg_u64 s[20:21], 0
	s_cbranch_scc0 .LBB36_162
; %bb.50:
	s_ashr_i32 s0, s13, 31
	s_delay_alu instid0(SALU_CYCLE_1) | instskip(SKIP_2) | instid1(SALU_CYCLE_1)
	s_add_u32 s22, s12, s0
	s_mov_b32 s1, s0
	s_addc_u32 s23, s13, s0
	s_xor_b64 s[0:1], s[22:23], s[0:1]
	s_delay_alu instid0(SALU_CYCLE_1) | instskip(SKIP_3) | instid1(VALU_DEP_1)
	v_cvt_f32_u32_e32 v3, s0
	v_cvt_f32_u32_e32 v4, s1
	s_sub_u32 s22, 0, s0
	s_subb_u32 s23, 0, s1
	v_fmamk_f32 v3, v4, 0x4f800000, v3
	s_delay_alu instid0(VALU_DEP_1) | instskip(SKIP_2) | instid1(VALU_DEP_1)
	v_rcp_f32_e32 v3, v3
	s_waitcnt_depctr 0xfff
	v_mul_f32_e32 v3, 0x5f7ffffc, v3
	v_mul_f32_e32 v4, 0x2f800000, v3
	s_delay_alu instid0(VALU_DEP_1) | instskip(NEXT) | instid1(VALU_DEP_1)
	v_trunc_f32_e32 v4, v4
	v_fmamk_f32 v3, v4, 0xcf800000, v3
	v_cvt_u32_f32_e32 v4, v4
	s_delay_alu instid0(VALU_DEP_2) | instskip(NEXT) | instid1(VALU_DEP_2)
	v_cvt_u32_f32_e32 v3, v3
	v_readfirstlane_b32 s9, v4
	s_delay_alu instid0(VALU_DEP_2) | instskip(NEXT) | instid1(VALU_DEP_2)
	v_readfirstlane_b32 s21, v3
	s_mul_i32 s24, s22, s9
	s_delay_alu instid0(VALU_DEP_1)
	s_mul_hi_u32 s30, s22, s21
	s_mul_i32 s25, s23, s21
	s_add_i32 s24, s30, s24
	s_mul_i32 s31, s22, s21
	s_add_i32 s24, s24, s25
	s_mul_hi_u32 s30, s21, s31
	s_mul_hi_u32 s33, s9, s31
	s_mul_i32 s25, s9, s31
	s_mul_hi_u32 s31, s21, s24
	s_mul_i32 s21, s21, s24
	s_mul_hi_u32 s34, s9, s24
	s_add_u32 s21, s30, s21
	s_addc_u32 s30, 0, s31
	s_add_u32 s21, s21, s25
	s_mul_i32 s24, s9, s24
	s_addc_u32 s21, s30, s33
	s_addc_u32 s25, s34, 0
	s_add_u32 s21, s21, s24
	s_addc_u32 s24, 0, s25
	v_add_co_u32 v3, s21, v3, s21
	s_delay_alu instid0(VALU_DEP_1) | instskip(SKIP_1) | instid1(VALU_DEP_1)
	s_cmp_lg_u32 s21, 0
	s_addc_u32 s9, s9, s24
	v_readfirstlane_b32 s21, v3
	s_mul_i32 s24, s22, s9
	s_delay_alu instid0(VALU_DEP_1)
	s_mul_hi_u32 s25, s22, s21
	s_mul_i32 s23, s23, s21
	s_add_i32 s24, s25, s24
	s_mul_i32 s22, s22, s21
	s_add_i32 s24, s24, s23
	s_mul_hi_u32 s25, s9, s22
	s_mul_i32 s30, s9, s22
	s_mul_hi_u32 s22, s21, s22
	s_mul_hi_u32 s31, s21, s24
	s_mul_i32 s21, s21, s24
	s_mul_hi_u32 s23, s9, s24
	s_add_u32 s21, s22, s21
	s_addc_u32 s22, 0, s31
	s_add_u32 s21, s21, s30
	s_mul_i32 s24, s9, s24
	s_addc_u32 s21, s22, s25
	s_addc_u32 s22, s23, 0
	s_add_u32 s21, s21, s24
	s_addc_u32 s22, 0, s22
	v_add_co_u32 v3, s21, v3, s21
	s_delay_alu instid0(VALU_DEP_1) | instskip(SKIP_2) | instid1(VALU_DEP_1)
	s_cmp_lg_u32 s21, 0
	s_addc_u32 s9, s9, s22
	s_ashr_i32 s22, s19, 31
	v_readfirstlane_b32 s21, v3
	s_add_u32 s24, s18, s22
	s_mov_b32 s23, s22
	s_addc_u32 s25, s19, s22
	s_delay_alu instid0(SALU_CYCLE_1) | instskip(NEXT) | instid1(SALU_CYCLE_1)
	s_xor_b64 s[24:25], s[24:25], s[22:23]
	s_mul_i32 s30, s24, s9
	s_mul_hi_u32 s31, s24, s21
	s_mul_hi_u32 s23, s24, s9
	;; [unrolled: 1-line block ×3, first 2 shown]
	s_mul_i32 s21, s25, s21
	s_add_u32 s30, s31, s30
	s_addc_u32 s23, 0, s23
	s_mul_hi_u32 s33, s25, s9
	s_add_u32 s21, s30, s21
	s_mul_i32 s9, s25, s9
	s_addc_u32 s21, s23, s34
	s_addc_u32 s23, s33, 0
	s_add_u32 s9, s21, s9
	s_addc_u32 s21, 0, s23
	s_mul_hi_u32 s23, s0, s9
	s_mul_i32 s21, s0, s21
	s_mul_i32 s30, s1, s9
	;; [unrolled: 1-line block ×3, first 2 shown]
	s_add_i32 s21, s23, s21
	v_sub_co_u32 v3, s9, s24, s9
	s_add_i32 s21, s21, s30
	s_delay_alu instid0(SALU_CYCLE_1) | instskip(SKIP_1) | instid1(VALU_DEP_1)
	s_sub_i32 s23, s25, s21
	s_cmp_lg_u32 s9, 0
	v_sub_co_u32 v4, s24, v3, s0
	s_subb_u32 s23, s23, s1
	s_cmp_lg_u32 s24, 0
	s_subb_u32 s30, s23, 0
	s_delay_alu instid0(VALU_DEP_1)
	v_cmp_le_u32_e32 vcc_lo, s0, v4
	s_cmp_ge_u32 s30, s1
	s_cselect_b32 s31, -1, 0
	s_cmp_eq_u32 s30, s1
	v_cndmask_b32_e64 v6, 0, -1, vcc_lo
	s_cselect_b32 vcc_lo, -1, 0
	s_cmp_lg_u32 s24, 0
	v_sub_co_u32 v7, s24, v4, s0
	s_subb_u32 s23, s23, s1
	s_cmp_lg_u32 s24, 0
	v_cndmask_b32_e32 v6, s31, v6, vcc_lo
	s_subb_u32 s23, s23, 0
	s_cmp_lg_u32 s9, 0
	v_cmp_le_u32_e32 vcc_lo, s0, v3
	s_subb_u32 s9, s25, s21
	s_delay_alu instid0(SALU_CYCLE_1)
	s_cmp_ge_u32 s9, s1
	v_cndmask_b32_e64 v8, 0, -1, vcc_lo
	s_cselect_b32 s21, -1, 0
	s_cmp_eq_u32 s9, s1
	v_cmp_ne_u32_e32 vcc_lo, 0, v6
	v_mov_b32_e32 v6, s23
	s_cselect_b32 s0, -1, 0
	s_delay_alu instid0(SALU_CYCLE_1) | instskip(SKIP_1) | instid1(VALU_DEP_3)
	v_cndmask_b32_e64 v8, s21, v8, s0
	v_cndmask_b32_e32 v4, v4, v7, vcc_lo
	v_cndmask_b32_e32 v6, s30, v6, vcc_lo
	s_delay_alu instid0(VALU_DEP_3) | instskip(NEXT) | instid1(VALU_DEP_3)
	v_cmp_ne_u32_e32 vcc_lo, 0, v8
	v_cndmask_b32_e32 v3, v3, v4, vcc_lo
	s_delay_alu instid0(VALU_DEP_3) | instskip(NEXT) | instid1(VALU_DEP_2)
	v_cndmask_b32_e32 v6, s9, v6, vcc_lo
	v_xor_b32_e32 v3, s22, v3
	s_delay_alu instid0(VALU_DEP_2) | instskip(NEXT) | instid1(VALU_DEP_2)
	v_xor_b32_e32 v4, s22, v6
	v_sub_co_u32 v3, vcc_lo, v3, s22
	s_delay_alu instid0(VALU_DEP_2)
	v_subrev_co_ci_u32_e32 v4, vcc_lo, s22, v4, vcc_lo
	s_and_not1_b32 vcc_lo, exec_lo, s20
	s_cbranch_vccnz .LBB36_52
.LBB36_51:
	v_cvt_f32_u32_e32 v3, s12
	s_sub_i32 s0, 0, s12
	s_delay_alu instid0(VALU_DEP_1) | instskip(SKIP_2) | instid1(VALU_DEP_1)
	v_rcp_iflag_f32_e32 v3, v3
	s_waitcnt_depctr 0xfff
	v_mul_f32_e32 v3, 0x4f7ffffe, v3
	v_cvt_u32_f32_e32 v3, v3
	s_delay_alu instid0(VALU_DEP_1) | instskip(NEXT) | instid1(VALU_DEP_1)
	v_mul_lo_u32 v4, s0, v3
	v_mul_hi_u32 v4, v3, v4
	s_delay_alu instid0(VALU_DEP_1) | instskip(NEXT) | instid1(VALU_DEP_1)
	v_add_nc_u32_e32 v3, v3, v4
	v_mul_hi_u32 v3, s18, v3
	s_delay_alu instid0(VALU_DEP_1) | instskip(NEXT) | instid1(VALU_DEP_1)
	v_mul_lo_u32 v3, v3, s12
	v_sub_nc_u32_e32 v3, s18, v3
	s_delay_alu instid0(VALU_DEP_1) | instskip(SKIP_1) | instid1(VALU_DEP_2)
	v_subrev_nc_u32_e32 v4, s12, v3
	v_cmp_le_u32_e32 vcc_lo, s12, v3
	v_cndmask_b32_e32 v3, v3, v4, vcc_lo
	s_delay_alu instid0(VALU_DEP_1) | instskip(SKIP_1) | instid1(VALU_DEP_2)
	v_subrev_nc_u32_e32 v4, s12, v3
	v_cmp_le_u32_e32 vcc_lo, s12, v3
	v_dual_cndmask_b32 v3, v3, v4 :: v_dual_mov_b32 v4, 0
.LBB36_52:
	v_div_scale_f32 v6, null, 0x43e00000, 0x43e00000, v5
	v_div_scale_f32 v9, vcc_lo, v5, 0x43e00000, v5
	s_delay_alu instid0(VALU_DEP_3) | instskip(NEXT) | instid1(VALU_DEP_3)
	v_sub_co_u32 v10, s0, s18, v3
	v_rcp_f32_e32 v7, v6
	v_sub_co_ci_u32_e64 v3, s0, s19, v4, s0
	s_lshl_b64 s[0:1], s[16:17], 2
	s_delay_alu instid0(SALU_CYCLE_1) | instskip(NEXT) | instid1(VALU_DEP_1)
	s_add_u32 s0, s0, s6
	v_mul_lo_u32 v11, v3, v1
	s_addc_u32 s1, s1, s7
	s_waitcnt_depctr 0xfff
	v_fma_f32 v8, -v6, v7, 1.0
	s_delay_alu instid0(VALU_DEP_1) | instskip(NEXT) | instid1(VALU_DEP_1)
	v_fmac_f32_e32 v7, v8, v7
	v_mul_f32_e32 v8, v9, v7
	s_delay_alu instid0(VALU_DEP_1) | instskip(NEXT) | instid1(VALU_DEP_1)
	v_fma_f32 v4, -v6, v8, v9
	v_fmac_f32_e32 v8, v4, v7
	v_mul_lo_u32 v4, v10, v2
	v_mad_u64_u32 v[2:3], null, v10, v1, 0
	s_delay_alu instid0(VALU_DEP_3) | instskip(NEXT) | instid1(VALU_DEP_2)
	v_fma_f32 v1, -v6, v8, v9
	v_add3_u32 v3, v3, v4, v11
	s_delay_alu instid0(VALU_DEP_2) | instskip(NEXT) | instid1(VALU_DEP_1)
	v_div_fmas_f32 v1, v1, v7, v8
	v_div_fixup_f32 v4, v1, 0x43e00000, v5
	s_delay_alu instid0(VALU_DEP_3) | instskip(NEXT) | instid1(VALU_DEP_2)
	v_lshlrev_b64 v[1:2], 2, v[2:3]
	v_max_f32_e32 v3, 0x36924925, v4
	s_delay_alu instid0(VALU_DEP_2) | instskip(NEXT) | instid1(VALU_DEP_3)
	v_add_co_u32 v1, vcc_lo, s0, v1
	v_add_co_ci_u32_e32 v2, vcc_lo, s1, v2, vcc_lo
	global_store_b32 v[1:2], v3, off
.LBB36_53:
	s_or_b32 exec_lo, exec_lo, s3
	s_waitcnt_vscnt null, 0x0
	s_barrier
	buffer_gl0_inv
	s_and_saveexec_b32 s0, s2
	s_cbranch_execz .LBB36_161
; %bb.54:
	s_add_u32 s0, s12, s29
	s_addc_u32 s1, s13, 0
	s_add_u32 s2, s0, -1
	s_addc_u32 s3, s1, -1
	s_delay_alu instid0(SALU_CYCLE_1) | instskip(SKIP_1) | instid1(SALU_CYCLE_1)
	s_or_b64 s[18:19], s[2:3], s[12:13]
	s_mov_b32 s18, 0
	s_cmp_lg_u64 s[18:19], 0
	s_cbranch_scc0 .LBB36_163
; %bb.55:
	s_ashr_i32 s0, s13, 31
	s_delay_alu instid0(SALU_CYCLE_1) | instskip(SKIP_2) | instid1(SALU_CYCLE_1)
	s_add_u32 s20, s12, s0
	s_mov_b32 s1, s0
	s_addc_u32 s21, s13, s0
	s_xor_b64 s[0:1], s[20:21], s[0:1]
	s_delay_alu instid0(SALU_CYCLE_1) | instskip(SKIP_3) | instid1(VALU_DEP_1)
	v_cvt_f32_u32_e32 v1, s0
	v_cvt_f32_u32_e32 v2, s1
	s_sub_u32 s19, 0, s0
	s_subb_u32 s20, 0, s1
	v_fmamk_f32 v1, v2, 0x4f800000, v1
	s_delay_alu instid0(VALU_DEP_1) | instskip(SKIP_2) | instid1(VALU_DEP_1)
	v_rcp_f32_e32 v1, v1
	s_waitcnt_depctr 0xfff
	v_mul_f32_e32 v1, 0x5f7ffffc, v1
	v_mul_f32_e32 v2, 0x2f800000, v1
	s_delay_alu instid0(VALU_DEP_1) | instskip(NEXT) | instid1(VALU_DEP_1)
	v_trunc_f32_e32 v2, v2
	v_fmamk_f32 v1, v2, 0xcf800000, v1
	v_cvt_u32_f32_e32 v2, v2
	s_delay_alu instid0(VALU_DEP_2) | instskip(NEXT) | instid1(VALU_DEP_2)
	v_cvt_u32_f32_e32 v1, v1
	v_readfirstlane_b32 s9, v2
	s_delay_alu instid0(VALU_DEP_2) | instskip(NEXT) | instid1(VALU_DEP_2)
	v_readfirstlane_b32 s13, v1
	s_mul_i32 s21, s19, s9
	s_delay_alu instid0(VALU_DEP_1)
	s_mul_hi_u32 s23, s19, s13
	s_mul_i32 s22, s20, s13
	s_add_i32 s21, s23, s21
	s_mul_i32 s24, s19, s13
	s_add_i32 s21, s21, s22
	s_mul_hi_u32 s23, s13, s24
	s_mul_hi_u32 s25, s9, s24
	s_mul_i32 s22, s9, s24
	s_mul_hi_u32 s24, s13, s21
	s_mul_i32 s13, s13, s21
	s_mul_hi_u32 s29, s9, s21
	s_add_u32 s13, s23, s13
	s_addc_u32 s23, 0, s24
	s_add_u32 s13, s13, s22
	s_mul_i32 s21, s9, s21
	s_addc_u32 s13, s23, s25
	s_addc_u32 s22, s29, 0
	s_add_u32 s13, s13, s21
	s_addc_u32 s21, 0, s22
	v_add_co_u32 v1, s13, v1, s13
	s_delay_alu instid0(VALU_DEP_1) | instskip(SKIP_1) | instid1(VALU_DEP_1)
	s_cmp_lg_u32 s13, 0
	s_addc_u32 s9, s9, s21
	v_readfirstlane_b32 s13, v1
	s_mul_i32 s21, s19, s9
	s_delay_alu instid0(VALU_DEP_1)
	s_mul_hi_u32 s22, s19, s13
	s_mul_i32 s20, s20, s13
	s_add_i32 s21, s22, s21
	s_mul_i32 s19, s19, s13
	s_add_i32 s21, s21, s20
	s_mul_hi_u32 s22, s9, s19
	s_mul_i32 s23, s9, s19
	s_mul_hi_u32 s19, s13, s19
	s_mul_hi_u32 s24, s13, s21
	s_mul_i32 s13, s13, s21
	s_mul_hi_u32 s20, s9, s21
	s_add_u32 s13, s19, s13
	s_addc_u32 s19, 0, s24
	s_add_u32 s13, s13, s23
	s_mul_i32 s21, s9, s21
	s_addc_u32 s13, s19, s22
	s_addc_u32 s19, s20, 0
	s_add_u32 s13, s13, s21
	s_addc_u32 s19, 0, s19
	v_add_co_u32 v1, s13, v1, s13
	s_delay_alu instid0(VALU_DEP_1) | instskip(SKIP_2) | instid1(VALU_DEP_1)
	s_cmp_lg_u32 s13, 0
	s_addc_u32 s9, s9, s19
	s_ashr_i32 s20, s3, 31
	v_readfirstlane_b32 s13, v1
	s_add_u32 s22, s2, s20
	s_mov_b32 s21, s20
	s_addc_u32 s23, s3, s20
	s_delay_alu instid0(SALU_CYCLE_1) | instskip(NEXT) | instid1(SALU_CYCLE_1)
	s_xor_b64 s[22:23], s[22:23], s[20:21]
	s_mul_i32 s21, s22, s9
	s_mul_hi_u32 s24, s22, s13
	s_mul_hi_u32 s19, s22, s9
	;; [unrolled: 1-line block ×3, first 2 shown]
	s_mul_i32 s13, s23, s13
	s_add_u32 s21, s24, s21
	s_addc_u32 s19, 0, s19
	s_mul_hi_u32 s25, s23, s9
	s_add_u32 s13, s21, s13
	s_mul_i32 s9, s23, s9
	s_addc_u32 s13, s19, s29
	s_addc_u32 s19, s25, 0
	s_add_u32 s9, s13, s9
	s_addc_u32 s13, 0, s19
	s_mul_hi_u32 s19, s0, s9
	s_mul_i32 s13, s0, s13
	s_mul_i32 s21, s1, s9
	;; [unrolled: 1-line block ×3, first 2 shown]
	s_add_i32 s13, s19, s13
	v_sub_co_u32 v1, s9, s22, s9
	s_add_i32 s13, s13, s21
	s_delay_alu instid0(SALU_CYCLE_1) | instskip(SKIP_1) | instid1(VALU_DEP_1)
	s_sub_i32 s19, s23, s13
	s_cmp_lg_u32 s9, 0
	v_sub_co_u32 v2, s21, v1, s0
	s_subb_u32 s19, s19, s1
	s_cmp_lg_u32 s21, 0
	s_subb_u32 s22, s19, 0
	s_delay_alu instid0(VALU_DEP_1)
	v_cmp_le_u32_e32 vcc_lo, s0, v2
	s_cmp_ge_u32 s22, s1
	s_cselect_b32 s24, -1, 0
	s_cmp_eq_u32 s22, s1
	v_cndmask_b32_e64 v3, 0, -1, vcc_lo
	s_cselect_b32 vcc_lo, -1, 0
	s_cmp_lg_u32 s21, 0
	v_sub_co_u32 v4, s21, v2, s0
	s_subb_u32 s19, s19, s1
	s_cmp_lg_u32 s21, 0
	v_cndmask_b32_e32 v3, s24, v3, vcc_lo
	s_subb_u32 s19, s19, 0
	s_cmp_lg_u32 s9, 0
	v_cmp_le_u32_e32 vcc_lo, s0, v1
	s_subb_u32 s9, s23, s13
	s_delay_alu instid0(SALU_CYCLE_1)
	s_cmp_ge_u32 s9, s1
	v_cndmask_b32_e64 v5, 0, -1, vcc_lo
	s_cselect_b32 s13, -1, 0
	s_cmp_eq_u32 s9, s1
	v_cmp_ne_u32_e32 vcc_lo, 0, v3
	v_mov_b32_e32 v3, s19
	s_cselect_b32 s0, -1, 0
	s_delay_alu instid0(SALU_CYCLE_1) | instskip(SKIP_1) | instid1(VALU_DEP_3)
	v_cndmask_b32_e64 v5, s13, v5, s0
	v_cndmask_b32_e32 v2, v2, v4, vcc_lo
	v_cndmask_b32_e32 v3, s22, v3, vcc_lo
	s_delay_alu instid0(VALU_DEP_3) | instskip(NEXT) | instid1(VALU_DEP_3)
	v_cmp_ne_u32_e32 vcc_lo, 0, v5
	v_cndmask_b32_e32 v1, v1, v2, vcc_lo
	s_delay_alu instid0(VALU_DEP_3) | instskip(NEXT) | instid1(VALU_DEP_2)
	v_cndmask_b32_e32 v3, s9, v3, vcc_lo
	v_xor_b32_e32 v1, s20, v1
	s_delay_alu instid0(VALU_DEP_2) | instskip(NEXT) | instid1(VALU_DEP_2)
	v_xor_b32_e32 v2, s20, v3
	v_sub_co_u32 v1, vcc_lo, v1, s20
	s_delay_alu instid0(VALU_DEP_2)
	v_subrev_co_ci_u32_e32 v2, vcc_lo, s20, v2, vcc_lo
	s_and_not1_b32 vcc_lo, exec_lo, s18
	s_cbranch_vccnz .LBB36_57
.LBB36_56:
	v_cvt_f32_u32_e32 v1, s12
	s_sub_i32 s0, 0, s12
	s_delay_alu instid0(VALU_DEP_1) | instskip(SKIP_2) | instid1(VALU_DEP_1)
	v_rcp_iflag_f32_e32 v1, v1
	s_waitcnt_depctr 0xfff
	v_mul_f32_e32 v1, 0x4f7ffffe, v1
	v_cvt_u32_f32_e32 v1, v1
	s_delay_alu instid0(VALU_DEP_1) | instskip(NEXT) | instid1(VALU_DEP_1)
	v_mul_lo_u32 v2, s0, v1
	v_mul_hi_u32 v2, v1, v2
	s_delay_alu instid0(VALU_DEP_1) | instskip(NEXT) | instid1(VALU_DEP_1)
	v_add_nc_u32_e32 v1, v1, v2
	v_mul_hi_u32 v1, s2, v1
	s_delay_alu instid0(VALU_DEP_1) | instskip(NEXT) | instid1(VALU_DEP_1)
	v_mul_lo_u32 v1, v1, s12
	v_sub_nc_u32_e32 v1, s2, v1
	s_delay_alu instid0(VALU_DEP_1) | instskip(SKIP_1) | instid1(VALU_DEP_2)
	v_subrev_nc_u32_e32 v2, s12, v1
	v_cmp_le_u32_e32 vcc_lo, s12, v1
	v_cndmask_b32_e32 v1, v1, v2, vcc_lo
	s_delay_alu instid0(VALU_DEP_1) | instskip(SKIP_1) | instid1(VALU_DEP_2)
	v_subrev_nc_u32_e32 v2, s12, v1
	v_cmp_le_u32_e32 vcc_lo, s12, v1
	v_dual_cndmask_b32 v1, v1, v2 :: v_dual_mov_b32 v2, 0
.LBB36_57:
	s_mul_i32 s0, s15, s16
	s_mul_hi_u32 s1, s14, s16
	s_mul_i32 s9, s14, s16
	s_add_i32 s1, s1, s0
	v_sub_co_u32 v13, vcc_lo, s2, v1
	s_add_u32 s0, s4, s9
	s_addc_u32 s1, s5, s1
	s_lshl_b64 s[4:5], s[16:17], 2
	v_sub_co_ci_u32_e32 v14, vcc_lo, s3, v2, vcc_lo
	v_mov_b32_e32 v1, 0
	s_add_u32 s4, s6, s4
	s_addc_u32 s5, s7, s5
	s_mul_i32 s2, s28, 3
	s_lshl_b32 s3, s28, 1
	s_mov_b32 s6, 0
	s_mov_b32 s7, 0x43e00000
	s_add_i32 s9, s28, s28
	s_branch .LBB36_63
.LBB36_58:                              ;   in Loop: Header=BB36_63 Depth=1
	s_or_b32 exec_lo, exec_lo, s16
.LBB36_59:                              ;   in Loop: Header=BB36_63 Depth=1
	s_delay_alu instid0(SALU_CYCLE_1)
	s_or_b32 exec_lo, exec_lo, s15
	v_lshrrev_b32_e32 v8, 24, v8
	v_lshrrev_b32_e32 v3, 24, v3
	;; [unrolled: 1-line block ×3, first 2 shown]
	v_lshlrev_b32_e32 v4, 24, v4
	v_and_b32_e32 v5, 0x80000000, v5
	v_and_b32_e32 v8, 0x80, v8
	;; [unrolled: 1-line block ×4, first 2 shown]
	s_delay_alu instid0(VALU_DEP_3) | instskip(NEXT) | instid1(VALU_DEP_3)
	v_and_or_b32 v7, 0xff, v7, v8
	v_and_or_b32 v8, 0xff, v2, v3
	v_lshlrev_b64 v[2:3], 2, v[0:1]
	v_add3_u32 v0, s9, s28, v10
	v_and_or_b32 v6, 0x80, v9, v6
	v_lshlrev_b32_e32 v7, 16, v7
	v_lshlrev_b32_e32 v8, 8, v8
	v_add_co_u32 v2, vcc_lo, s0, v2
	s_delay_alu instid0(VALU_DEP_3) | instskip(SKIP_2) | instid1(VALU_DEP_3)
	v_or3_b32 v4, v5, v4, v7
	v_add_co_ci_u32_e32 v3, vcc_lo, s1, v3, vcc_lo
	v_cmp_le_u32_e32 vcc_lo, s8, v0
	v_or3_b32 v4, v4, v8, v6
	s_or_not1_b32 s15, vcc_lo, exec_lo
	global_store_b32 v[2:3], v4, off
.LBB36_60:                              ;   in Loop: Header=BB36_63 Depth=1
	s_or_b32 exec_lo, exec_lo, s14
	s_delay_alu instid0(SALU_CYCLE_1)
	s_or_not1_b32 s14, s15, exec_lo
.LBB36_61:                              ;   in Loop: Header=BB36_63 Depth=1
	s_or_b32 exec_lo, exec_lo, s13
	s_delay_alu instid0(SALU_CYCLE_1)
	s_or_not1_b32 s13, s14, exec_lo
.LBB36_62:                              ;   in Loop: Header=BB36_63 Depth=1
	s_or_b32 exec_lo, exec_lo, s12
	s_delay_alu instid0(SALU_CYCLE_1) | instskip(NEXT) | instid1(SALU_CYCLE_1)
	s_and_b32 s12, exec_lo, s13
	s_or_b32 s6, s12, s6
	s_delay_alu instid0(SALU_CYCLE_1)
	s_and_not1_b32 exec_lo, exec_lo, s6
	s_cbranch_execz .LBB36_161
.LBB36_63:                              ; =>This Inner Loop Header: Depth=1
	v_bfe_u32 v8, v0, 4, 26
	v_lshlrev_b64 v[4:5], 4, v[0:1]
	s_mov_b32 s12, exec_lo
	s_delay_alu instid0(VALU_DEP_2) | instskip(NEXT) | instid1(VALU_DEP_1)
	v_mad_u64_u32 v[2:3], null, v13, v8, 0
	v_mad_u64_u32 v[6:7], null, v14, v8, v[3:4]
	v_add_co_u32 v7, vcc_lo, s26, v4
	s_delay_alu instid0(VALU_DEP_4) | instskip(SKIP_1) | instid1(VALU_DEP_4)
	v_add_co_ci_u32_e32 v8, vcc_lo, s27, v5, vcc_lo
	v_add_co_u32 v9, vcc_lo, s10, v4
	v_mov_b32_e32 v3, v6
	v_add_co_ci_u32_e32 v10, vcc_lo, s11, v5, vcc_lo
	s_delay_alu instid0(VALU_DEP_2)
	v_lshlrev_b64 v[11:12], 2, v[2:3]
	global_load_b128 v[2:5], v[7:8], off
	global_load_b128 v[6:9], v[9:10], off
	v_add_co_u32 v10, vcc_lo, s4, v11
	v_add_co_ci_u32_e32 v11, vcc_lo, s5, v12, vcc_lo
	global_load_b32 v11, v[10:11], off
	s_waitcnt vmcnt(2)
	v_mul_f32_e32 v2, v28, v2
	s_waitcnt vmcnt(1)
	s_delay_alu instid0(VALU_DEP_1) | instskip(SKIP_1) | instid1(VALU_DEP_1)
	v_mul_f32_e32 v2, v2, v6
	s_waitcnt vmcnt(0)
	v_div_scale_f32 v6, null, v11, v11, v2
	v_div_scale_f32 v15, vcc_lo, v2, v11, v2
	s_delay_alu instid0(VALU_DEP_2) | instskip(SKIP_2) | instid1(VALU_DEP_1)
	v_rcp_f32_e32 v10, v6
	s_waitcnt_depctr 0xfff
	v_fma_f32 v12, -v6, v10, 1.0
	v_fmac_f32_e32 v10, v12, v10
	s_delay_alu instid0(VALU_DEP_1) | instskip(NEXT) | instid1(VALU_DEP_1)
	v_mul_f32_e32 v12, v15, v10
	v_fma_f32 v16, -v6, v12, v15
	s_delay_alu instid0(VALU_DEP_1) | instskip(NEXT) | instid1(VALU_DEP_1)
	v_fmac_f32_e32 v12, v16, v10
	v_fma_f32 v6, -v6, v12, v15
	s_delay_alu instid0(VALU_DEP_1) | instskip(NEXT) | instid1(VALU_DEP_1)
	v_div_fmas_f32 v6, v6, v10, v12
	v_div_fixup_f32 v2, v6, v11, v2
	v_mov_b32_e32 v6, 0x7f
	s_delay_alu instid0(VALU_DEP_2) | instskip(SKIP_1) | instid1(VALU_DEP_2)
	v_minmax_f32 v10, v2, s7, 0xc3e00000
	v_mov_b32_e32 v2, 0x7f
	v_and_b32_e32 v12, 0x7fffffff, v10
	s_delay_alu instid0(VALU_DEP_1)
	v_cmpx_gt_u32_e32 0x43f00000, v12
	s_cbranch_execz .LBB36_69
; %bb.64:                               ;   in Loop: Header=BB36_63 Depth=1
	s_mov_b32 s13, exec_lo
                                        ; implicit-def: $vgpr6
	v_cmpx_lt_u32_e32 0x3c7fffff, v12
	s_xor_b32 s13, exec_lo, s13
; %bb.65:                               ;   in Loop: Header=BB36_63 Depth=1
	v_bfe_u32 v6, v10, 20, 1
	s_delay_alu instid0(VALU_DEP_1) | instskip(NEXT) | instid1(VALU_DEP_1)
	v_add3_u32 v6, v10, v6, 0x407ffff
	v_lshrrev_b32_e32 v6, 20, v6
; %bb.66:                               ;   in Loop: Header=BB36_63 Depth=1
	s_and_not1_saveexec_b32 s13, s13
; %bb.67:                               ;   in Loop: Header=BB36_63 Depth=1
	v_add_f32_e64 v6, 0x46800000, |v10|
; %bb.68:                               ;   in Loop: Header=BB36_63 Depth=1
	s_or_b32 exec_lo, exec_lo, s13
.LBB36_69:                              ;   in Loop: Header=BB36_63 Depth=1
	s_delay_alu instid0(SALU_CYCLE_1) | instskip(SKIP_2) | instid1(VALU_DEP_1)
	s_or_b32 exec_lo, exec_lo, s12
	v_mul_f32_e32 v3, v28, v3
	s_mov_b32 s12, exec_lo
	v_mul_f32_e32 v3, v3, v7
	s_delay_alu instid0(VALU_DEP_1) | instskip(NEXT) | instid1(VALU_DEP_1)
	v_div_scale_f32 v7, null, v11, v11, v3
	v_rcp_f32_e32 v12, v7
	s_waitcnt_depctr 0xfff
	v_fma_f32 v15, -v7, v12, 1.0
	s_delay_alu instid0(VALU_DEP_1) | instskip(SKIP_1) | instid1(VALU_DEP_1)
	v_fmac_f32_e32 v12, v15, v12
	v_div_scale_f32 v15, vcc_lo, v3, v11, v3
	v_mul_f32_e32 v16, v15, v12
	s_delay_alu instid0(VALU_DEP_1) | instskip(NEXT) | instid1(VALU_DEP_1)
	v_fma_f32 v17, -v7, v16, v15
	v_fmac_f32_e32 v16, v17, v12
	s_delay_alu instid0(VALU_DEP_1) | instskip(NEXT) | instid1(VALU_DEP_1)
	v_fma_f32 v7, -v7, v16, v15
	v_div_fmas_f32 v7, v7, v12, v16
	s_delay_alu instid0(VALU_DEP_1) | instskip(NEXT) | instid1(VALU_DEP_1)
	v_div_fixup_f32 v3, v7, v11, v3
	v_minmax_f32 v3, v3, s7, 0xc3e00000
	s_delay_alu instid0(VALU_DEP_1) | instskip(NEXT) | instid1(VALU_DEP_1)
	v_and_b32_e32 v7, 0x7fffffff, v3
	v_cmpx_gt_u32_e32 0x43f00000, v7
	s_cbranch_execz .LBB36_75
; %bb.70:                               ;   in Loop: Header=BB36_63 Depth=1
	s_mov_b32 s13, exec_lo
                                        ; implicit-def: $vgpr2
	v_cmpx_lt_u32_e32 0x3c7fffff, v7
	s_xor_b32 s13, exec_lo, s13
; %bb.71:                               ;   in Loop: Header=BB36_63 Depth=1
	v_bfe_u32 v2, v3, 20, 1
	s_delay_alu instid0(VALU_DEP_1) | instskip(NEXT) | instid1(VALU_DEP_1)
	v_add3_u32 v2, v3, v2, 0x407ffff
	v_lshrrev_b32_e32 v2, 20, v2
; %bb.72:                               ;   in Loop: Header=BB36_63 Depth=1
	s_and_not1_saveexec_b32 s13, s13
; %bb.73:                               ;   in Loop: Header=BB36_63 Depth=1
	v_add_f32_e64 v2, 0x46800000, |v3|
; %bb.74:                               ;   in Loop: Header=BB36_63 Depth=1
	s_or_b32 exec_lo, exec_lo, s13
.LBB36_75:                              ;   in Loop: Header=BB36_63 Depth=1
	s_delay_alu instid0(SALU_CYCLE_1) | instskip(SKIP_2) | instid1(VALU_DEP_1)
	s_or_b32 exec_lo, exec_lo, s12
	v_mul_f32_e32 v4, v28, v4
	s_mov_b32 s12, exec_lo
	v_mul_f32_e32 v4, v4, v8
	s_delay_alu instid0(VALU_DEP_1) | instskip(SKIP_1) | instid1(VALU_DEP_2)
	v_div_scale_f32 v7, null, v11, v11, v4
	v_div_scale_f32 v15, vcc_lo, v4, v11, v4
	v_rcp_f32_e32 v8, v7
	s_waitcnt_depctr 0xfff
	v_fma_f32 v12, -v7, v8, 1.0
	s_delay_alu instid0(VALU_DEP_1) | instskip(NEXT) | instid1(VALU_DEP_1)
	v_fmac_f32_e32 v8, v12, v8
	v_mul_f32_e32 v12, v15, v8
	s_delay_alu instid0(VALU_DEP_1) | instskip(NEXT) | instid1(VALU_DEP_1)
	v_fma_f32 v16, -v7, v12, v15
	v_fmac_f32_e32 v12, v16, v8
	s_delay_alu instid0(VALU_DEP_1) | instskip(NEXT) | instid1(VALU_DEP_1)
	v_fma_f32 v7, -v7, v12, v15
	v_div_fmas_f32 v7, v7, v8, v12
	s_delay_alu instid0(VALU_DEP_1) | instskip(SKIP_1) | instid1(VALU_DEP_2)
	v_div_fixup_f32 v4, v7, v11, v4
	v_mov_b32_e32 v7, 0x7f
	v_minmax_f32 v8, v4, s7, 0xc3e00000
	v_mov_b32_e32 v4, 0x7f
	s_delay_alu instid0(VALU_DEP_2) | instskip(NEXT) | instid1(VALU_DEP_1)
	v_and_b32_e32 v12, 0x7fffffff, v8
	v_cmpx_gt_u32_e32 0x43f00000, v12
	s_cbranch_execz .LBB36_81
; %bb.76:                               ;   in Loop: Header=BB36_63 Depth=1
	s_mov_b32 s13, exec_lo
                                        ; implicit-def: $vgpr7
	v_cmpx_lt_u32_e32 0x3c7fffff, v12
	s_xor_b32 s13, exec_lo, s13
; %bb.77:                               ;   in Loop: Header=BB36_63 Depth=1
	v_bfe_u32 v7, v8, 20, 1
	s_delay_alu instid0(VALU_DEP_1) | instskip(NEXT) | instid1(VALU_DEP_1)
	v_add3_u32 v7, v8, v7, 0x407ffff
	v_lshrrev_b32_e32 v7, 20, v7
; %bb.78:                               ;   in Loop: Header=BB36_63 Depth=1
	s_and_not1_saveexec_b32 s13, s13
; %bb.79:                               ;   in Loop: Header=BB36_63 Depth=1
	v_add_f32_e64 v7, 0x46800000, |v8|
; %bb.80:                               ;   in Loop: Header=BB36_63 Depth=1
	s_or_b32 exec_lo, exec_lo, s13
.LBB36_81:                              ;   in Loop: Header=BB36_63 Depth=1
	s_delay_alu instid0(SALU_CYCLE_1) | instskip(SKIP_2) | instid1(VALU_DEP_1)
	s_or_b32 exec_lo, exec_lo, s12
	v_mul_f32_e32 v5, v28, v5
	s_mov_b32 s12, exec_lo
	v_mul_f32_e32 v5, v5, v9
	s_delay_alu instid0(VALU_DEP_1) | instskip(NEXT) | instid1(VALU_DEP_1)
	v_div_scale_f32 v9, null, v11, v11, v5
	v_rcp_f32_e32 v12, v9
	s_waitcnt_depctr 0xfff
	v_fma_f32 v15, -v9, v12, 1.0
	s_delay_alu instid0(VALU_DEP_1) | instskip(SKIP_1) | instid1(VALU_DEP_1)
	v_fmac_f32_e32 v12, v15, v12
	v_div_scale_f32 v15, vcc_lo, v5, v11, v5
	v_mul_f32_e32 v16, v15, v12
	s_delay_alu instid0(VALU_DEP_1) | instskip(NEXT) | instid1(VALU_DEP_1)
	v_fma_f32 v17, -v9, v16, v15
	v_fmac_f32_e32 v16, v17, v12
	s_delay_alu instid0(VALU_DEP_1) | instskip(NEXT) | instid1(VALU_DEP_1)
	v_fma_f32 v9, -v9, v16, v15
	v_div_fmas_f32 v9, v9, v12, v16
	s_delay_alu instid0(VALU_DEP_1) | instskip(NEXT) | instid1(VALU_DEP_1)
	v_div_fixup_f32 v5, v9, v11, v5
	v_minmax_f32 v5, v5, s7, 0xc3e00000
	s_delay_alu instid0(VALU_DEP_1) | instskip(NEXT) | instid1(VALU_DEP_1)
	v_and_b32_e32 v9, 0x7fffffff, v5
	v_cmpx_gt_u32_e32 0x43f00000, v9
	s_cbranch_execz .LBB36_87
; %bb.82:                               ;   in Loop: Header=BB36_63 Depth=1
	s_mov_b32 s13, exec_lo
                                        ; implicit-def: $vgpr4
	v_cmpx_lt_u32_e32 0x3c7fffff, v9
	s_xor_b32 s13, exec_lo, s13
; %bb.83:                               ;   in Loop: Header=BB36_63 Depth=1
	v_bfe_u32 v4, v5, 20, 1
	s_delay_alu instid0(VALU_DEP_1) | instskip(NEXT) | instid1(VALU_DEP_1)
	v_add3_u32 v4, v5, v4, 0x407ffff
	v_lshrrev_b32_e32 v4, 20, v4
; %bb.84:                               ;   in Loop: Header=BB36_63 Depth=1
	s_and_not1_saveexec_b32 s13, s13
; %bb.85:                               ;   in Loop: Header=BB36_63 Depth=1
	v_add_f32_e64 v4, 0x46800000, |v5|
; %bb.86:                               ;   in Loop: Header=BB36_63 Depth=1
	s_or_b32 exec_lo, exec_lo, s13
.LBB36_87:                              ;   in Loop: Header=BB36_63 Depth=1
	s_delay_alu instid0(SALU_CYCLE_1)
	s_or_b32 exec_lo, exec_lo, s12
	v_lshrrev_b32_e32 v8, 24, v8
	v_lshrrev_b32_e32 v3, 24, v3
	;; [unrolled: 1-line block ×3, first 2 shown]
	v_lshlrev_b32_e32 v4, 24, v4
	v_and_b32_e32 v5, 0x80000000, v5
	v_and_b32_e32 v8, 0x80, v8
	v_and_b32_e32 v3, 0x80, v3
	v_and_b32_e32 v6, 0xff, v6
	v_add_nc_u32_e32 v10, s28, v0
	s_mov_b32 s13, -1
	v_and_or_b32 v7, 0xff, v7, v8
	v_and_or_b32 v8, 0xff, v2, v3
	v_lshlrev_b64 v[2:3], 2, v[0:1]
	v_and_or_b32 v6, 0x80, v9, v6
	s_mov_b32 s12, exec_lo
	v_lshlrev_b32_e32 v7, 16, v7
	v_lshlrev_b32_e32 v8, 8, v8
	s_delay_alu instid0(VALU_DEP_4) | instskip(NEXT) | instid1(VALU_DEP_3)
	v_add_co_u32 v2, vcc_lo, s0, v2
	v_or3_b32 v4, v5, v4, v7
	v_add_co_ci_u32_e32 v3, vcc_lo, s1, v3, vcc_lo
	s_delay_alu instid0(VALU_DEP_2)
	v_or3_b32 v4, v4, v8, v6
	global_store_b32 v[2:3], v4, off
	v_cmpx_gt_u32_e64 s8, v10
	s_cbranch_execz .LBB36_62
; %bb.88:                               ;   in Loop: Header=BB36_63 Depth=1
	v_bfe_u32 v8, v10, 4, 26
	v_mov_b32_e32 v11, v1
	s_mov_b32 s13, exec_lo
	s_delay_alu instid0(VALU_DEP_2) | instskip(NEXT) | instid1(VALU_DEP_2)
	v_mad_u64_u32 v[2:3], null, v13, v8, 0
	v_lshlrev_b64 v[4:5], 4, v[10:11]
	s_delay_alu instid0(VALU_DEP_1) | instskip(SKIP_1) | instid1(VALU_DEP_3)
	v_mad_u64_u32 v[6:7], null, v14, v8, v[3:4]
	v_add_co_u32 v7, vcc_lo, s26, v4
	v_add_co_ci_u32_e32 v8, vcc_lo, s27, v5, vcc_lo
	v_add_co_u32 v15, vcc_lo, s10, v4
	s_delay_alu instid0(VALU_DEP_4) | instskip(SKIP_1) | instid1(VALU_DEP_2)
	v_mov_b32_e32 v3, v6
	v_add_co_ci_u32_e32 v16, vcc_lo, s11, v5, vcc_lo
	v_lshlrev_b64 v[17:18], 2, v[2:3]
	global_load_b128 v[2:5], v[7:8], off
	global_load_b128 v[6:9], v[15:16], off
	v_add_co_u32 v15, vcc_lo, s4, v17
	v_add_co_ci_u32_e32 v16, vcc_lo, s5, v18, vcc_lo
	global_load_b32 v15, v[15:16], off
	s_waitcnt vmcnt(2)
	v_mul_f32_e32 v2, v28, v2
	s_waitcnt vmcnt(1)
	s_delay_alu instid0(VALU_DEP_1) | instskip(SKIP_1) | instid1(VALU_DEP_1)
	v_mul_f32_e32 v2, v2, v6
	s_waitcnt vmcnt(0)
	v_div_scale_f32 v6, null, v15, v15, v2
	v_div_scale_f32 v17, vcc_lo, v2, v15, v2
	s_delay_alu instid0(VALU_DEP_2) | instskip(SKIP_2) | instid1(VALU_DEP_1)
	v_rcp_f32_e32 v12, v6
	s_waitcnt_depctr 0xfff
	v_fma_f32 v16, -v6, v12, 1.0
	v_fmac_f32_e32 v12, v16, v12
	s_delay_alu instid0(VALU_DEP_1) | instskip(NEXT) | instid1(VALU_DEP_1)
	v_mul_f32_e32 v16, v17, v12
	v_fma_f32 v18, -v6, v16, v17
	s_delay_alu instid0(VALU_DEP_1) | instskip(NEXT) | instid1(VALU_DEP_1)
	v_fmac_f32_e32 v16, v18, v12
	v_fma_f32 v6, -v6, v16, v17
	s_delay_alu instid0(VALU_DEP_1) | instskip(NEXT) | instid1(VALU_DEP_1)
	v_div_fmas_f32 v6, v6, v12, v16
	v_div_fixup_f32 v2, v6, v15, v2
	v_mov_b32_e32 v6, 0x7f
	s_delay_alu instid0(VALU_DEP_2) | instskip(SKIP_1) | instid1(VALU_DEP_2)
	v_minmax_f32 v12, v2, s7, 0xc3e00000
	v_mov_b32_e32 v2, 0x7f
	v_and_b32_e32 v16, 0x7fffffff, v12
	s_delay_alu instid0(VALU_DEP_1)
	v_cmpx_gt_u32_e32 0x43f00000, v16
	s_cbranch_execz .LBB36_94
; %bb.89:                               ;   in Loop: Header=BB36_63 Depth=1
	s_mov_b32 s14, exec_lo
                                        ; implicit-def: $vgpr6
	v_cmpx_lt_u32_e32 0x3c7fffff, v16
	s_xor_b32 s14, exec_lo, s14
; %bb.90:                               ;   in Loop: Header=BB36_63 Depth=1
	v_bfe_u32 v6, v12, 20, 1
	s_delay_alu instid0(VALU_DEP_1) | instskip(NEXT) | instid1(VALU_DEP_1)
	v_add3_u32 v6, v12, v6, 0x407ffff
	v_lshrrev_b32_e32 v6, 20, v6
; %bb.91:                               ;   in Loop: Header=BB36_63 Depth=1
	s_and_not1_saveexec_b32 s14, s14
; %bb.92:                               ;   in Loop: Header=BB36_63 Depth=1
	v_add_f32_e64 v6, 0x46800000, |v12|
; %bb.93:                               ;   in Loop: Header=BB36_63 Depth=1
	s_or_b32 exec_lo, exec_lo, s14
.LBB36_94:                              ;   in Loop: Header=BB36_63 Depth=1
	s_delay_alu instid0(SALU_CYCLE_1) | instskip(SKIP_2) | instid1(VALU_DEP_1)
	s_or_b32 exec_lo, exec_lo, s13
	v_mul_f32_e32 v3, v28, v3
	s_mov_b32 s13, exec_lo
	v_mul_f32_e32 v3, v3, v7
	s_delay_alu instid0(VALU_DEP_1) | instskip(NEXT) | instid1(VALU_DEP_1)
	v_div_scale_f32 v7, null, v15, v15, v3
	v_rcp_f32_e32 v16, v7
	s_waitcnt_depctr 0xfff
	v_fma_f32 v17, -v7, v16, 1.0
	s_delay_alu instid0(VALU_DEP_1) | instskip(SKIP_1) | instid1(VALU_DEP_1)
	v_fmac_f32_e32 v16, v17, v16
	v_div_scale_f32 v17, vcc_lo, v3, v15, v3
	v_mul_f32_e32 v18, v17, v16
	s_delay_alu instid0(VALU_DEP_1) | instskip(NEXT) | instid1(VALU_DEP_1)
	v_fma_f32 v19, -v7, v18, v17
	v_fmac_f32_e32 v18, v19, v16
	s_delay_alu instid0(VALU_DEP_1) | instskip(NEXT) | instid1(VALU_DEP_1)
	v_fma_f32 v7, -v7, v18, v17
	v_div_fmas_f32 v7, v7, v16, v18
	s_delay_alu instid0(VALU_DEP_1) | instskip(NEXT) | instid1(VALU_DEP_1)
	v_div_fixup_f32 v3, v7, v15, v3
	v_minmax_f32 v3, v3, s7, 0xc3e00000
	s_delay_alu instid0(VALU_DEP_1) | instskip(NEXT) | instid1(VALU_DEP_1)
	v_and_b32_e32 v7, 0x7fffffff, v3
	v_cmpx_gt_u32_e32 0x43f00000, v7
	s_cbranch_execz .LBB36_100
; %bb.95:                               ;   in Loop: Header=BB36_63 Depth=1
	s_mov_b32 s14, exec_lo
                                        ; implicit-def: $vgpr2
	v_cmpx_lt_u32_e32 0x3c7fffff, v7
	s_xor_b32 s14, exec_lo, s14
; %bb.96:                               ;   in Loop: Header=BB36_63 Depth=1
	v_bfe_u32 v2, v3, 20, 1
	s_delay_alu instid0(VALU_DEP_1) | instskip(NEXT) | instid1(VALU_DEP_1)
	v_add3_u32 v2, v3, v2, 0x407ffff
	v_lshrrev_b32_e32 v2, 20, v2
; %bb.97:                               ;   in Loop: Header=BB36_63 Depth=1
	s_and_not1_saveexec_b32 s14, s14
; %bb.98:                               ;   in Loop: Header=BB36_63 Depth=1
	v_add_f32_e64 v2, 0x46800000, |v3|
; %bb.99:                               ;   in Loop: Header=BB36_63 Depth=1
	s_or_b32 exec_lo, exec_lo, s14
.LBB36_100:                             ;   in Loop: Header=BB36_63 Depth=1
	s_delay_alu instid0(SALU_CYCLE_1) | instskip(SKIP_2) | instid1(VALU_DEP_1)
	s_or_b32 exec_lo, exec_lo, s13
	v_mul_f32_e32 v4, v28, v4
	s_mov_b32 s13, exec_lo
	v_mul_f32_e32 v4, v4, v8
	s_delay_alu instid0(VALU_DEP_1) | instskip(SKIP_1) | instid1(VALU_DEP_2)
	v_div_scale_f32 v7, null, v15, v15, v4
	v_div_scale_f32 v17, vcc_lo, v4, v15, v4
	v_rcp_f32_e32 v8, v7
	s_waitcnt_depctr 0xfff
	v_fma_f32 v16, -v7, v8, 1.0
	s_delay_alu instid0(VALU_DEP_1) | instskip(NEXT) | instid1(VALU_DEP_1)
	v_fmac_f32_e32 v8, v16, v8
	v_mul_f32_e32 v16, v17, v8
	s_delay_alu instid0(VALU_DEP_1) | instskip(NEXT) | instid1(VALU_DEP_1)
	v_fma_f32 v18, -v7, v16, v17
	v_fmac_f32_e32 v16, v18, v8
	s_delay_alu instid0(VALU_DEP_1) | instskip(NEXT) | instid1(VALU_DEP_1)
	v_fma_f32 v7, -v7, v16, v17
	v_div_fmas_f32 v7, v7, v8, v16
	s_delay_alu instid0(VALU_DEP_1) | instskip(SKIP_1) | instid1(VALU_DEP_2)
	v_div_fixup_f32 v4, v7, v15, v4
	v_mov_b32_e32 v7, 0x7f
	v_minmax_f32 v8, v4, s7, 0xc3e00000
	v_mov_b32_e32 v4, 0x7f
	s_delay_alu instid0(VALU_DEP_2) | instskip(NEXT) | instid1(VALU_DEP_1)
	v_and_b32_e32 v16, 0x7fffffff, v8
	v_cmpx_gt_u32_e32 0x43f00000, v16
	s_cbranch_execz .LBB36_106
; %bb.101:                              ;   in Loop: Header=BB36_63 Depth=1
	s_mov_b32 s14, exec_lo
                                        ; implicit-def: $vgpr7
	v_cmpx_lt_u32_e32 0x3c7fffff, v16
	s_xor_b32 s14, exec_lo, s14
; %bb.102:                              ;   in Loop: Header=BB36_63 Depth=1
	v_bfe_u32 v7, v8, 20, 1
	s_delay_alu instid0(VALU_DEP_1) | instskip(NEXT) | instid1(VALU_DEP_1)
	v_add3_u32 v7, v8, v7, 0x407ffff
	v_lshrrev_b32_e32 v7, 20, v7
; %bb.103:                              ;   in Loop: Header=BB36_63 Depth=1
	s_and_not1_saveexec_b32 s14, s14
; %bb.104:                              ;   in Loop: Header=BB36_63 Depth=1
	v_add_f32_e64 v7, 0x46800000, |v8|
; %bb.105:                              ;   in Loop: Header=BB36_63 Depth=1
	s_or_b32 exec_lo, exec_lo, s14
.LBB36_106:                             ;   in Loop: Header=BB36_63 Depth=1
	s_delay_alu instid0(SALU_CYCLE_1) | instskip(SKIP_2) | instid1(VALU_DEP_1)
	s_or_b32 exec_lo, exec_lo, s13
	v_mul_f32_e32 v5, v28, v5
	s_mov_b32 s13, exec_lo
	v_mul_f32_e32 v5, v5, v9
	s_delay_alu instid0(VALU_DEP_1) | instskip(NEXT) | instid1(VALU_DEP_1)
	v_div_scale_f32 v9, null, v15, v15, v5
	v_rcp_f32_e32 v16, v9
	s_waitcnt_depctr 0xfff
	v_fma_f32 v17, -v9, v16, 1.0
	s_delay_alu instid0(VALU_DEP_1) | instskip(SKIP_1) | instid1(VALU_DEP_1)
	v_fmac_f32_e32 v16, v17, v16
	v_div_scale_f32 v17, vcc_lo, v5, v15, v5
	v_mul_f32_e32 v18, v17, v16
	s_delay_alu instid0(VALU_DEP_1) | instskip(NEXT) | instid1(VALU_DEP_1)
	v_fma_f32 v19, -v9, v18, v17
	v_fmac_f32_e32 v18, v19, v16
	s_delay_alu instid0(VALU_DEP_1) | instskip(NEXT) | instid1(VALU_DEP_1)
	v_fma_f32 v9, -v9, v18, v17
	v_div_fmas_f32 v9, v9, v16, v18
	s_delay_alu instid0(VALU_DEP_1) | instskip(NEXT) | instid1(VALU_DEP_1)
	v_div_fixup_f32 v5, v9, v15, v5
	v_minmax_f32 v5, v5, s7, 0xc3e00000
	s_delay_alu instid0(VALU_DEP_1) | instskip(NEXT) | instid1(VALU_DEP_1)
	v_and_b32_e32 v9, 0x7fffffff, v5
	v_cmpx_gt_u32_e32 0x43f00000, v9
	s_cbranch_execz .LBB36_112
; %bb.107:                              ;   in Loop: Header=BB36_63 Depth=1
	s_mov_b32 s14, exec_lo
                                        ; implicit-def: $vgpr4
	v_cmpx_lt_u32_e32 0x3c7fffff, v9
	s_xor_b32 s14, exec_lo, s14
; %bb.108:                              ;   in Loop: Header=BB36_63 Depth=1
	v_bfe_u32 v4, v5, 20, 1
	s_delay_alu instid0(VALU_DEP_1) | instskip(NEXT) | instid1(VALU_DEP_1)
	v_add3_u32 v4, v5, v4, 0x407ffff
	v_lshrrev_b32_e32 v4, 20, v4
; %bb.109:                              ;   in Loop: Header=BB36_63 Depth=1
	s_and_not1_saveexec_b32 s14, s14
; %bb.110:                              ;   in Loop: Header=BB36_63 Depth=1
	v_add_f32_e64 v4, 0x46800000, |v5|
; %bb.111:                              ;   in Loop: Header=BB36_63 Depth=1
	s_or_b32 exec_lo, exec_lo, s14
.LBB36_112:                             ;   in Loop: Header=BB36_63 Depth=1
	s_delay_alu instid0(SALU_CYCLE_1)
	s_or_b32 exec_lo, exec_lo, s13
	v_lshrrev_b32_e32 v8, 24, v8
	v_lshrrev_b32_e32 v3, 24, v3
	v_lshrrev_b32_e32 v9, 24, v12
	v_lshlrev_b32_e32 v4, 24, v4
	v_and_b32_e32 v5, 0x80000000, v5
	v_and_b32_e32 v8, 0x80, v8
	;; [unrolled: 1-line block ×4, first 2 shown]
	s_mov_b32 s14, -1
	s_mov_b32 s13, exec_lo
	v_and_or_b32 v7, 0xff, v7, v8
	v_and_or_b32 v8, 0xff, v2, v3
	v_lshlrev_b64 v[2:3], 2, v[10:11]
	v_and_or_b32 v6, 0x80, v9, v6
	v_add_nc_u32_e32 v11, s3, v0
	v_lshlrev_b32_e32 v7, 16, v7
	v_lshlrev_b32_e32 v8, 8, v8
	v_add_co_u32 v2, vcc_lo, s0, v2
	s_delay_alu instid0(VALU_DEP_3) | instskip(SKIP_1) | instid1(VALU_DEP_2)
	v_or3_b32 v4, v5, v4, v7
	v_add_co_ci_u32_e32 v3, vcc_lo, s1, v3, vcc_lo
	v_or3_b32 v4, v4, v8, v6
	global_store_b32 v[2:3], v4, off
	v_cmpx_gt_u32_e64 s8, v11
	s_cbranch_execz .LBB36_61
; %bb.113:                              ;   in Loop: Header=BB36_63 Depth=1
	v_bfe_u32 v8, v11, 4, 26
	v_mov_b32_e32 v12, v1
	s_mov_b32 s14, exec_lo
	s_delay_alu instid0(VALU_DEP_2) | instskip(NEXT) | instid1(VALU_DEP_2)
	v_mad_u64_u32 v[2:3], null, v13, v8, 0
	v_lshlrev_b64 v[4:5], 4, v[11:12]
	s_delay_alu instid0(VALU_DEP_1) | instskip(SKIP_1) | instid1(VALU_DEP_3)
	v_mad_u64_u32 v[6:7], null, v14, v8, v[3:4]
	v_add_co_u32 v7, vcc_lo, s26, v4
	v_add_co_ci_u32_e32 v8, vcc_lo, s27, v5, vcc_lo
	v_add_co_u32 v15, vcc_lo, s10, v4
	s_delay_alu instid0(VALU_DEP_4) | instskip(SKIP_1) | instid1(VALU_DEP_2)
	v_mov_b32_e32 v3, v6
	v_add_co_ci_u32_e32 v16, vcc_lo, s11, v5, vcc_lo
	v_lshlrev_b64 v[17:18], 2, v[2:3]
	global_load_b128 v[2:5], v[7:8], off
	global_load_b128 v[6:9], v[15:16], off
	v_add_co_u32 v15, vcc_lo, s4, v17
	v_add_co_ci_u32_e32 v16, vcc_lo, s5, v18, vcc_lo
	global_load_b32 v16, v[15:16], off
	s_waitcnt vmcnt(2)
	v_mul_f32_e32 v2, v28, v2
	s_waitcnt vmcnt(1)
	s_delay_alu instid0(VALU_DEP_1) | instskip(SKIP_1) | instid1(VALU_DEP_1)
	v_mul_f32_e32 v2, v2, v6
	s_waitcnt vmcnt(0)
	v_div_scale_f32 v6, null, v16, v16, v2
	v_div_scale_f32 v18, vcc_lo, v2, v16, v2
	s_delay_alu instid0(VALU_DEP_2) | instskip(SKIP_2) | instid1(VALU_DEP_1)
	v_rcp_f32_e32 v15, v6
	s_waitcnt_depctr 0xfff
	v_fma_f32 v17, -v6, v15, 1.0
	v_fmac_f32_e32 v15, v17, v15
	s_delay_alu instid0(VALU_DEP_1) | instskip(NEXT) | instid1(VALU_DEP_1)
	v_mul_f32_e32 v17, v18, v15
	v_fma_f32 v19, -v6, v17, v18
	s_delay_alu instid0(VALU_DEP_1) | instskip(NEXT) | instid1(VALU_DEP_1)
	v_fmac_f32_e32 v17, v19, v15
	v_fma_f32 v6, -v6, v17, v18
	s_delay_alu instid0(VALU_DEP_1) | instskip(NEXT) | instid1(VALU_DEP_1)
	v_div_fmas_f32 v6, v6, v15, v17
	v_div_fixup_f32 v2, v6, v16, v2
	v_mov_b32_e32 v6, 0x7f
	s_delay_alu instid0(VALU_DEP_2) | instskip(SKIP_1) | instid1(VALU_DEP_2)
	v_minmax_f32 v15, v2, s7, 0xc3e00000
	v_mov_b32_e32 v2, 0x7f
	v_and_b32_e32 v17, 0x7fffffff, v15
	s_delay_alu instid0(VALU_DEP_1)
	v_cmpx_gt_u32_e32 0x43f00000, v17
	s_cbranch_execz .LBB36_119
; %bb.114:                              ;   in Loop: Header=BB36_63 Depth=1
	s_mov_b32 s15, exec_lo
                                        ; implicit-def: $vgpr6
	v_cmpx_lt_u32_e32 0x3c7fffff, v17
	s_xor_b32 s15, exec_lo, s15
; %bb.115:                              ;   in Loop: Header=BB36_63 Depth=1
	v_bfe_u32 v6, v15, 20, 1
	s_delay_alu instid0(VALU_DEP_1) | instskip(NEXT) | instid1(VALU_DEP_1)
	v_add3_u32 v6, v15, v6, 0x407ffff
	v_lshrrev_b32_e32 v6, 20, v6
; %bb.116:                              ;   in Loop: Header=BB36_63 Depth=1
	s_and_not1_saveexec_b32 s15, s15
; %bb.117:                              ;   in Loop: Header=BB36_63 Depth=1
	v_add_f32_e64 v6, 0x46800000, |v15|
; %bb.118:                              ;   in Loop: Header=BB36_63 Depth=1
	s_or_b32 exec_lo, exec_lo, s15
.LBB36_119:                             ;   in Loop: Header=BB36_63 Depth=1
	s_delay_alu instid0(SALU_CYCLE_1) | instskip(SKIP_2) | instid1(VALU_DEP_1)
	s_or_b32 exec_lo, exec_lo, s14
	v_mul_f32_e32 v3, v28, v3
	s_mov_b32 s14, exec_lo
	v_mul_f32_e32 v3, v3, v7
	s_delay_alu instid0(VALU_DEP_1) | instskip(NEXT) | instid1(VALU_DEP_1)
	v_div_scale_f32 v7, null, v16, v16, v3
	v_rcp_f32_e32 v17, v7
	s_waitcnt_depctr 0xfff
	v_fma_f32 v18, -v7, v17, 1.0
	s_delay_alu instid0(VALU_DEP_1) | instskip(SKIP_1) | instid1(VALU_DEP_1)
	v_fmac_f32_e32 v17, v18, v17
	v_div_scale_f32 v18, vcc_lo, v3, v16, v3
	v_mul_f32_e32 v19, v18, v17
	s_delay_alu instid0(VALU_DEP_1) | instskip(NEXT) | instid1(VALU_DEP_1)
	v_fma_f32 v20, -v7, v19, v18
	v_fmac_f32_e32 v19, v20, v17
	s_delay_alu instid0(VALU_DEP_1) | instskip(NEXT) | instid1(VALU_DEP_1)
	v_fma_f32 v7, -v7, v19, v18
	v_div_fmas_f32 v7, v7, v17, v19
	s_delay_alu instid0(VALU_DEP_1) | instskip(NEXT) | instid1(VALU_DEP_1)
	v_div_fixup_f32 v3, v7, v16, v3
	v_minmax_f32 v3, v3, s7, 0xc3e00000
	s_delay_alu instid0(VALU_DEP_1) | instskip(NEXT) | instid1(VALU_DEP_1)
	v_and_b32_e32 v7, 0x7fffffff, v3
	v_cmpx_gt_u32_e32 0x43f00000, v7
	s_cbranch_execz .LBB36_125
; %bb.120:                              ;   in Loop: Header=BB36_63 Depth=1
	s_mov_b32 s15, exec_lo
                                        ; implicit-def: $vgpr2
	v_cmpx_lt_u32_e32 0x3c7fffff, v7
	s_xor_b32 s15, exec_lo, s15
; %bb.121:                              ;   in Loop: Header=BB36_63 Depth=1
	v_bfe_u32 v2, v3, 20, 1
	s_delay_alu instid0(VALU_DEP_1) | instskip(NEXT) | instid1(VALU_DEP_1)
	v_add3_u32 v2, v3, v2, 0x407ffff
	v_lshrrev_b32_e32 v2, 20, v2
; %bb.122:                              ;   in Loop: Header=BB36_63 Depth=1
	s_and_not1_saveexec_b32 s15, s15
; %bb.123:                              ;   in Loop: Header=BB36_63 Depth=1
	v_add_f32_e64 v2, 0x46800000, |v3|
; %bb.124:                              ;   in Loop: Header=BB36_63 Depth=1
	s_or_b32 exec_lo, exec_lo, s15
.LBB36_125:                             ;   in Loop: Header=BB36_63 Depth=1
	s_delay_alu instid0(SALU_CYCLE_1) | instskip(SKIP_2) | instid1(VALU_DEP_1)
	s_or_b32 exec_lo, exec_lo, s14
	v_mul_f32_e32 v4, v28, v4
	s_mov_b32 s14, exec_lo
	v_mul_f32_e32 v4, v4, v8
	s_delay_alu instid0(VALU_DEP_1) | instskip(SKIP_1) | instid1(VALU_DEP_2)
	v_div_scale_f32 v7, null, v16, v16, v4
	v_div_scale_f32 v18, vcc_lo, v4, v16, v4
	v_rcp_f32_e32 v8, v7
	s_waitcnt_depctr 0xfff
	v_fma_f32 v17, -v7, v8, 1.0
	s_delay_alu instid0(VALU_DEP_1) | instskip(NEXT) | instid1(VALU_DEP_1)
	v_fmac_f32_e32 v8, v17, v8
	v_mul_f32_e32 v17, v18, v8
	s_delay_alu instid0(VALU_DEP_1) | instskip(NEXT) | instid1(VALU_DEP_1)
	v_fma_f32 v19, -v7, v17, v18
	v_fmac_f32_e32 v17, v19, v8
	s_delay_alu instid0(VALU_DEP_1) | instskip(NEXT) | instid1(VALU_DEP_1)
	v_fma_f32 v7, -v7, v17, v18
	v_div_fmas_f32 v7, v7, v8, v17
	s_delay_alu instid0(VALU_DEP_1) | instskip(SKIP_1) | instid1(VALU_DEP_2)
	v_div_fixup_f32 v4, v7, v16, v4
	v_mov_b32_e32 v7, 0x7f
	v_minmax_f32 v8, v4, s7, 0xc3e00000
	v_mov_b32_e32 v4, 0x7f
	s_delay_alu instid0(VALU_DEP_2) | instskip(NEXT) | instid1(VALU_DEP_1)
	v_and_b32_e32 v17, 0x7fffffff, v8
	v_cmpx_gt_u32_e32 0x43f00000, v17
	s_cbranch_execz .LBB36_131
; %bb.126:                              ;   in Loop: Header=BB36_63 Depth=1
	s_mov_b32 s15, exec_lo
                                        ; implicit-def: $vgpr7
	v_cmpx_lt_u32_e32 0x3c7fffff, v17
	s_xor_b32 s15, exec_lo, s15
; %bb.127:                              ;   in Loop: Header=BB36_63 Depth=1
	v_bfe_u32 v7, v8, 20, 1
	s_delay_alu instid0(VALU_DEP_1) | instskip(NEXT) | instid1(VALU_DEP_1)
	v_add3_u32 v7, v8, v7, 0x407ffff
	v_lshrrev_b32_e32 v7, 20, v7
; %bb.128:                              ;   in Loop: Header=BB36_63 Depth=1
	s_and_not1_saveexec_b32 s15, s15
; %bb.129:                              ;   in Loop: Header=BB36_63 Depth=1
	v_add_f32_e64 v7, 0x46800000, |v8|
; %bb.130:                              ;   in Loop: Header=BB36_63 Depth=1
	s_or_b32 exec_lo, exec_lo, s15
.LBB36_131:                             ;   in Loop: Header=BB36_63 Depth=1
	s_delay_alu instid0(SALU_CYCLE_1) | instskip(SKIP_2) | instid1(VALU_DEP_1)
	s_or_b32 exec_lo, exec_lo, s14
	v_mul_f32_e32 v5, v28, v5
	s_mov_b32 s14, exec_lo
	v_mul_f32_e32 v5, v5, v9
	s_delay_alu instid0(VALU_DEP_1) | instskip(NEXT) | instid1(VALU_DEP_1)
	v_div_scale_f32 v9, null, v16, v16, v5
	v_rcp_f32_e32 v17, v9
	s_waitcnt_depctr 0xfff
	v_fma_f32 v18, -v9, v17, 1.0
	s_delay_alu instid0(VALU_DEP_1) | instskip(SKIP_1) | instid1(VALU_DEP_1)
	v_fmac_f32_e32 v17, v18, v17
	v_div_scale_f32 v18, vcc_lo, v5, v16, v5
	v_mul_f32_e32 v19, v18, v17
	s_delay_alu instid0(VALU_DEP_1) | instskip(NEXT) | instid1(VALU_DEP_1)
	v_fma_f32 v20, -v9, v19, v18
	v_fmac_f32_e32 v19, v20, v17
	s_delay_alu instid0(VALU_DEP_1) | instskip(NEXT) | instid1(VALU_DEP_1)
	v_fma_f32 v9, -v9, v19, v18
	v_div_fmas_f32 v9, v9, v17, v19
	s_delay_alu instid0(VALU_DEP_1) | instskip(NEXT) | instid1(VALU_DEP_1)
	v_div_fixup_f32 v5, v9, v16, v5
	v_minmax_f32 v5, v5, s7, 0xc3e00000
	s_delay_alu instid0(VALU_DEP_1) | instskip(NEXT) | instid1(VALU_DEP_1)
	v_and_b32_e32 v9, 0x7fffffff, v5
	v_cmpx_gt_u32_e32 0x43f00000, v9
	s_cbranch_execz .LBB36_137
; %bb.132:                              ;   in Loop: Header=BB36_63 Depth=1
	s_mov_b32 s15, exec_lo
                                        ; implicit-def: $vgpr4
	v_cmpx_lt_u32_e32 0x3c7fffff, v9
	s_xor_b32 s15, exec_lo, s15
; %bb.133:                              ;   in Loop: Header=BB36_63 Depth=1
	v_bfe_u32 v4, v5, 20, 1
	s_delay_alu instid0(VALU_DEP_1) | instskip(NEXT) | instid1(VALU_DEP_1)
	v_add3_u32 v4, v5, v4, 0x407ffff
	v_lshrrev_b32_e32 v4, 20, v4
; %bb.134:                              ;   in Loop: Header=BB36_63 Depth=1
	s_and_not1_saveexec_b32 s15, s15
; %bb.135:                              ;   in Loop: Header=BB36_63 Depth=1
	v_add_f32_e64 v4, 0x46800000, |v5|
; %bb.136:                              ;   in Loop: Header=BB36_63 Depth=1
	s_or_b32 exec_lo, exec_lo, s15
.LBB36_137:                             ;   in Loop: Header=BB36_63 Depth=1
	s_delay_alu instid0(SALU_CYCLE_1)
	s_or_b32 exec_lo, exec_lo, s14
	v_lshrrev_b32_e32 v8, 24, v8
	v_lshrrev_b32_e32 v3, 24, v3
	;; [unrolled: 1-line block ×3, first 2 shown]
	v_lshlrev_b32_e32 v4, 24, v4
	v_and_b32_e32 v5, 0x80000000, v5
	v_and_b32_e32 v8, 0x80, v8
	v_and_b32_e32 v3, 0x80, v3
	v_and_b32_e32 v6, 0xff, v6
	v_add_nc_u32_e32 v0, s2, v0
	s_mov_b32 s15, -1
	v_and_or_b32 v7, 0xff, v7, v8
	v_and_or_b32 v8, 0xff, v2, v3
	v_lshlrev_b64 v[2:3], 2, v[11:12]
	v_and_or_b32 v6, 0x80, v9, v6
	s_mov_b32 s14, exec_lo
	v_lshlrev_b32_e32 v7, 16, v7
	v_lshlrev_b32_e32 v8, 8, v8
	s_delay_alu instid0(VALU_DEP_4) | instskip(NEXT) | instid1(VALU_DEP_3)
	v_add_co_u32 v2, vcc_lo, s0, v2
	v_or3_b32 v4, v5, v4, v7
	v_add_co_ci_u32_e32 v3, vcc_lo, s1, v3, vcc_lo
	s_delay_alu instid0(VALU_DEP_2)
	v_or3_b32 v4, v4, v8, v6
	global_store_b32 v[2:3], v4, off
	v_cmpx_gt_u32_e64 s8, v0
	s_cbranch_execz .LBB36_60
; %bb.138:                              ;   in Loop: Header=BB36_63 Depth=1
	v_bfe_u32 v8, v0, 4, 26
	v_lshlrev_b64 v[4:5], 4, v[0:1]
	s_mov_b32 s15, exec_lo
	s_delay_alu instid0(VALU_DEP_2) | instskip(NEXT) | instid1(VALU_DEP_1)
	v_mad_u64_u32 v[2:3], null, v13, v8, 0
	v_mad_u64_u32 v[6:7], null, v14, v8, v[3:4]
	v_add_co_u32 v7, vcc_lo, s26, v4
	s_delay_alu instid0(VALU_DEP_4) | instskip(SKIP_1) | instid1(VALU_DEP_4)
	v_add_co_ci_u32_e32 v8, vcc_lo, s27, v5, vcc_lo
	v_add_co_u32 v11, vcc_lo, s10, v4
	v_mov_b32_e32 v3, v6
	v_add_co_ci_u32_e32 v12, vcc_lo, s11, v5, vcc_lo
	s_delay_alu instid0(VALU_DEP_2)
	v_lshlrev_b64 v[15:16], 2, v[2:3]
	global_load_b128 v[2:5], v[7:8], off
	global_load_b128 v[6:9], v[11:12], off
	v_add_co_u32 v11, vcc_lo, s4, v15
	v_add_co_ci_u32_e32 v12, vcc_lo, s5, v16, vcc_lo
	global_load_b32 v12, v[11:12], off
	s_waitcnt vmcnt(2)
	v_mul_f32_e32 v2, v28, v2
	s_waitcnt vmcnt(1)
	s_delay_alu instid0(VALU_DEP_1) | instskip(SKIP_1) | instid1(VALU_DEP_1)
	v_mul_f32_e32 v2, v2, v6
	s_waitcnt vmcnt(0)
	v_div_scale_f32 v6, null, v12, v12, v2
	s_delay_alu instid0(VALU_DEP_1) | instskip(SKIP_2) | instid1(VALU_DEP_1)
	v_rcp_f32_e32 v11, v6
	s_waitcnt_depctr 0xfff
	v_fma_f32 v15, -v6, v11, 1.0
	v_fmac_f32_e32 v11, v15, v11
	v_div_scale_f32 v16, vcc_lo, v2, v12, v2
	s_delay_alu instid0(VALU_DEP_1) | instskip(NEXT) | instid1(VALU_DEP_1)
	v_mul_f32_e32 v15, v16, v11
	v_fma_f32 v17, -v6, v15, v16
	s_delay_alu instid0(VALU_DEP_1) | instskip(NEXT) | instid1(VALU_DEP_1)
	v_fmac_f32_e32 v15, v17, v11
	v_fma_f32 v6, -v6, v15, v16
	s_delay_alu instid0(VALU_DEP_1) | instskip(NEXT) | instid1(VALU_DEP_1)
	v_div_fmas_f32 v6, v6, v11, v15
	v_div_fixup_f32 v2, v6, v12, v2
	v_mov_b32_e32 v6, 0x7f
	s_delay_alu instid0(VALU_DEP_2) | instskip(SKIP_1) | instid1(VALU_DEP_2)
	v_minmax_f32 v11, v2, s7, 0xc3e00000
	v_mov_b32_e32 v2, 0x7f
	v_and_b32_e32 v15, 0x7fffffff, v11
	s_delay_alu instid0(VALU_DEP_1)
	v_cmpx_gt_u32_e32 0x43f00000, v15
	s_cbranch_execz .LBB36_144
; %bb.139:                              ;   in Loop: Header=BB36_63 Depth=1
	s_mov_b32 s16, exec_lo
                                        ; implicit-def: $vgpr6
	v_cmpx_lt_u32_e32 0x3c7fffff, v15
	s_xor_b32 s16, exec_lo, s16
; %bb.140:                              ;   in Loop: Header=BB36_63 Depth=1
	v_bfe_u32 v6, v11, 20, 1
	s_delay_alu instid0(VALU_DEP_1) | instskip(NEXT) | instid1(VALU_DEP_1)
	v_add3_u32 v6, v11, v6, 0x407ffff
	v_lshrrev_b32_e32 v6, 20, v6
; %bb.141:                              ;   in Loop: Header=BB36_63 Depth=1
	s_and_not1_saveexec_b32 s16, s16
; %bb.142:                              ;   in Loop: Header=BB36_63 Depth=1
	v_add_f32_e64 v6, 0x46800000, |v11|
; %bb.143:                              ;   in Loop: Header=BB36_63 Depth=1
	s_or_b32 exec_lo, exec_lo, s16
.LBB36_144:                             ;   in Loop: Header=BB36_63 Depth=1
	s_delay_alu instid0(SALU_CYCLE_1) | instskip(SKIP_2) | instid1(VALU_DEP_1)
	s_or_b32 exec_lo, exec_lo, s15
	v_mul_f32_e32 v3, v28, v3
	s_mov_b32 s15, exec_lo
	v_mul_f32_e32 v3, v3, v7
	s_delay_alu instid0(VALU_DEP_1) | instskip(NEXT) | instid1(VALU_DEP_1)
	v_div_scale_f32 v7, null, v12, v12, v3
	v_rcp_f32_e32 v15, v7
	s_waitcnt_depctr 0xfff
	v_fma_f32 v16, -v7, v15, 1.0
	s_delay_alu instid0(VALU_DEP_1) | instskip(SKIP_1) | instid1(VALU_DEP_1)
	v_fmac_f32_e32 v15, v16, v15
	v_div_scale_f32 v16, vcc_lo, v3, v12, v3
	v_mul_f32_e32 v17, v16, v15
	s_delay_alu instid0(VALU_DEP_1) | instskip(NEXT) | instid1(VALU_DEP_1)
	v_fma_f32 v18, -v7, v17, v16
	v_fmac_f32_e32 v17, v18, v15
	s_delay_alu instid0(VALU_DEP_1) | instskip(NEXT) | instid1(VALU_DEP_1)
	v_fma_f32 v7, -v7, v17, v16
	v_div_fmas_f32 v7, v7, v15, v17
	s_delay_alu instid0(VALU_DEP_1) | instskip(NEXT) | instid1(VALU_DEP_1)
	v_div_fixup_f32 v3, v7, v12, v3
	v_minmax_f32 v3, v3, s7, 0xc3e00000
	s_delay_alu instid0(VALU_DEP_1) | instskip(NEXT) | instid1(VALU_DEP_1)
	v_and_b32_e32 v7, 0x7fffffff, v3
	v_cmpx_gt_u32_e32 0x43f00000, v7
	s_cbranch_execz .LBB36_150
; %bb.145:                              ;   in Loop: Header=BB36_63 Depth=1
	s_mov_b32 s16, exec_lo
                                        ; implicit-def: $vgpr2
	v_cmpx_lt_u32_e32 0x3c7fffff, v7
	s_xor_b32 s16, exec_lo, s16
; %bb.146:                              ;   in Loop: Header=BB36_63 Depth=1
	v_bfe_u32 v2, v3, 20, 1
	s_delay_alu instid0(VALU_DEP_1) | instskip(NEXT) | instid1(VALU_DEP_1)
	v_add3_u32 v2, v3, v2, 0x407ffff
	v_lshrrev_b32_e32 v2, 20, v2
; %bb.147:                              ;   in Loop: Header=BB36_63 Depth=1
	s_and_not1_saveexec_b32 s16, s16
; %bb.148:                              ;   in Loop: Header=BB36_63 Depth=1
	v_add_f32_e64 v2, 0x46800000, |v3|
; %bb.149:                              ;   in Loop: Header=BB36_63 Depth=1
	s_or_b32 exec_lo, exec_lo, s16
.LBB36_150:                             ;   in Loop: Header=BB36_63 Depth=1
	s_delay_alu instid0(SALU_CYCLE_1) | instskip(SKIP_2) | instid1(VALU_DEP_1)
	s_or_b32 exec_lo, exec_lo, s15
	v_mul_f32_e32 v4, v28, v4
	s_mov_b32 s15, exec_lo
	v_mul_f32_e32 v4, v4, v8
	s_delay_alu instid0(VALU_DEP_1) | instskip(SKIP_1) | instid1(VALU_DEP_2)
	v_div_scale_f32 v7, null, v12, v12, v4
	v_div_scale_f32 v16, vcc_lo, v4, v12, v4
	v_rcp_f32_e32 v8, v7
	s_waitcnt_depctr 0xfff
	v_fma_f32 v15, -v7, v8, 1.0
	s_delay_alu instid0(VALU_DEP_1) | instskip(NEXT) | instid1(VALU_DEP_1)
	v_fmac_f32_e32 v8, v15, v8
	v_mul_f32_e32 v15, v16, v8
	s_delay_alu instid0(VALU_DEP_1) | instskip(NEXT) | instid1(VALU_DEP_1)
	v_fma_f32 v17, -v7, v15, v16
	v_fmac_f32_e32 v15, v17, v8
	s_delay_alu instid0(VALU_DEP_1) | instskip(NEXT) | instid1(VALU_DEP_1)
	v_fma_f32 v7, -v7, v15, v16
	v_div_fmas_f32 v7, v7, v8, v15
	s_delay_alu instid0(VALU_DEP_1) | instskip(SKIP_1) | instid1(VALU_DEP_2)
	v_div_fixup_f32 v4, v7, v12, v4
	v_mov_b32_e32 v7, 0x7f
	v_minmax_f32 v8, v4, s7, 0xc3e00000
	v_mov_b32_e32 v4, 0x7f
	s_delay_alu instid0(VALU_DEP_2) | instskip(NEXT) | instid1(VALU_DEP_1)
	v_and_b32_e32 v15, 0x7fffffff, v8
	v_cmpx_gt_u32_e32 0x43f00000, v15
	s_cbranch_execz .LBB36_156
; %bb.151:                              ;   in Loop: Header=BB36_63 Depth=1
	s_mov_b32 s16, exec_lo
                                        ; implicit-def: $vgpr7
	v_cmpx_lt_u32_e32 0x3c7fffff, v15
	s_xor_b32 s16, exec_lo, s16
; %bb.152:                              ;   in Loop: Header=BB36_63 Depth=1
	v_bfe_u32 v7, v8, 20, 1
	s_delay_alu instid0(VALU_DEP_1) | instskip(NEXT) | instid1(VALU_DEP_1)
	v_add3_u32 v7, v8, v7, 0x407ffff
	v_lshrrev_b32_e32 v7, 20, v7
; %bb.153:                              ;   in Loop: Header=BB36_63 Depth=1
	s_and_not1_saveexec_b32 s16, s16
; %bb.154:                              ;   in Loop: Header=BB36_63 Depth=1
	v_add_f32_e64 v7, 0x46800000, |v8|
; %bb.155:                              ;   in Loop: Header=BB36_63 Depth=1
	s_or_b32 exec_lo, exec_lo, s16
.LBB36_156:                             ;   in Loop: Header=BB36_63 Depth=1
	s_delay_alu instid0(SALU_CYCLE_1) | instskip(SKIP_2) | instid1(VALU_DEP_1)
	s_or_b32 exec_lo, exec_lo, s15
	v_mul_f32_e32 v5, v28, v5
	s_mov_b32 s15, exec_lo
	v_mul_f32_e32 v5, v5, v9
	s_delay_alu instid0(VALU_DEP_1) | instskip(NEXT) | instid1(VALU_DEP_1)
	v_div_scale_f32 v9, null, v12, v12, v5
	v_rcp_f32_e32 v15, v9
	s_waitcnt_depctr 0xfff
	v_fma_f32 v16, -v9, v15, 1.0
	s_delay_alu instid0(VALU_DEP_1) | instskip(SKIP_1) | instid1(VALU_DEP_1)
	v_fmac_f32_e32 v15, v16, v15
	v_div_scale_f32 v16, vcc_lo, v5, v12, v5
	v_mul_f32_e32 v17, v16, v15
	s_delay_alu instid0(VALU_DEP_1) | instskip(NEXT) | instid1(VALU_DEP_1)
	v_fma_f32 v18, -v9, v17, v16
	v_fmac_f32_e32 v17, v18, v15
	s_delay_alu instid0(VALU_DEP_1) | instskip(NEXT) | instid1(VALU_DEP_1)
	v_fma_f32 v9, -v9, v17, v16
	v_div_fmas_f32 v9, v9, v15, v17
	s_delay_alu instid0(VALU_DEP_1) | instskip(NEXT) | instid1(VALU_DEP_1)
	v_div_fixup_f32 v5, v9, v12, v5
	v_minmax_f32 v5, v5, s7, 0xc3e00000
	s_delay_alu instid0(VALU_DEP_1) | instskip(NEXT) | instid1(VALU_DEP_1)
	v_and_b32_e32 v9, 0x7fffffff, v5
	v_cmpx_gt_u32_e32 0x43f00000, v9
	s_cbranch_execz .LBB36_59
; %bb.157:                              ;   in Loop: Header=BB36_63 Depth=1
	s_mov_b32 s16, exec_lo
                                        ; implicit-def: $vgpr4
	v_cmpx_lt_u32_e32 0x3c7fffff, v9
	s_xor_b32 s16, exec_lo, s16
; %bb.158:                              ;   in Loop: Header=BB36_63 Depth=1
	v_bfe_u32 v4, v5, 20, 1
	s_delay_alu instid0(VALU_DEP_1) | instskip(NEXT) | instid1(VALU_DEP_1)
	v_add3_u32 v4, v5, v4, 0x407ffff
	v_lshrrev_b32_e32 v4, 20, v4
; %bb.159:                              ;   in Loop: Header=BB36_63 Depth=1
	s_and_not1_saveexec_b32 s16, s16
	s_cbranch_execz .LBB36_58
; %bb.160:                              ;   in Loop: Header=BB36_63 Depth=1
	v_add_f32_e64 v4, 0x46800000, |v5|
	s_branch .LBB36_58
.LBB36_161:
	s_nop 0
	s_sendmsg sendmsg(MSG_DEALLOC_VGPRS)
	s_endpgm
.LBB36_162:
                                        ; implicit-def: $vgpr3_vgpr4
	s_branch .LBB36_51
.LBB36_163:
                                        ; implicit-def: $vgpr1_vgpr2
	s_branch .LBB36_56
	.section	.rodata,"a",@progbits
	.p2align	6, 0x0
	.amdhsa_kernel _ZN4vllm31rms_norm_per_block_quant_kernelIfN3c1013Float8_e4m3fnELb0ELb1ELi64EEEvPT0_PfPKT_S8_PKffiiPS6_l
		.amdhsa_group_segment_fixed_size 4228
		.amdhsa_private_segment_fixed_size 0
		.amdhsa_kernarg_size 328
		.amdhsa_user_sgpr_count 15
		.amdhsa_user_sgpr_dispatch_ptr 0
		.amdhsa_user_sgpr_queue_ptr 0
		.amdhsa_user_sgpr_kernarg_segment_ptr 1
		.amdhsa_user_sgpr_dispatch_id 0
		.amdhsa_user_sgpr_private_segment_size 0
		.amdhsa_wavefront_size32 1
		.amdhsa_uses_dynamic_stack 0
		.amdhsa_enable_private_segment 0
		.amdhsa_system_sgpr_workgroup_id_x 1
		.amdhsa_system_sgpr_workgroup_id_y 0
		.amdhsa_system_sgpr_workgroup_id_z 0
		.amdhsa_system_sgpr_workgroup_info 0
		.amdhsa_system_vgpr_workitem_id 0
		.amdhsa_next_free_vgpr 35
		.amdhsa_next_free_sgpr 38
		.amdhsa_reserve_vcc 1
		.amdhsa_float_round_mode_32 0
		.amdhsa_float_round_mode_16_64 0
		.amdhsa_float_denorm_mode_32 3
		.amdhsa_float_denorm_mode_16_64 3
		.amdhsa_dx10_clamp 1
		.amdhsa_ieee_mode 1
		.amdhsa_fp16_overflow 0
		.amdhsa_workgroup_processor_mode 1
		.amdhsa_memory_ordered 1
		.amdhsa_forward_progress 0
		.amdhsa_shared_vgpr_count 0
		.amdhsa_exception_fp_ieee_invalid_op 0
		.amdhsa_exception_fp_denorm_src 0
		.amdhsa_exception_fp_ieee_div_zero 0
		.amdhsa_exception_fp_ieee_overflow 0
		.amdhsa_exception_fp_ieee_underflow 0
		.amdhsa_exception_fp_ieee_inexact 0
		.amdhsa_exception_int_div_zero 0
	.end_amdhsa_kernel
	.section	.text._ZN4vllm31rms_norm_per_block_quant_kernelIfN3c1013Float8_e4m3fnELb0ELb1ELi64EEEvPT0_PfPKT_S8_PKffiiPS6_l,"axG",@progbits,_ZN4vllm31rms_norm_per_block_quant_kernelIfN3c1013Float8_e4m3fnELb0ELb1ELi64EEEvPT0_PfPKT_S8_PKffiiPS6_l,comdat
.Lfunc_end36:
	.size	_ZN4vllm31rms_norm_per_block_quant_kernelIfN3c1013Float8_e4m3fnELb0ELb1ELi64EEEvPT0_PfPKT_S8_PKffiiPS6_l, .Lfunc_end36-_ZN4vllm31rms_norm_per_block_quant_kernelIfN3c1013Float8_e4m3fnELb0ELb1ELi64EEEvPT0_PfPKT_S8_PKffiiPS6_l
                                        ; -- End function
	.section	.AMDGPU.csdata,"",@progbits
; Kernel info:
; codeLenInByte = 10592
; NumSgprs: 40
; NumVgprs: 35
; ScratchSize: 0
; MemoryBound: 0
; FloatMode: 240
; IeeeMode: 1
; LDSByteSize: 4228 bytes/workgroup (compile time only)
; SGPRBlocks: 4
; VGPRBlocks: 4
; NumSGPRsForWavesPerEU: 40
; NumVGPRsForWavesPerEU: 35
; Occupancy: 16
; WaveLimiterHint : 0
; COMPUTE_PGM_RSRC2:SCRATCH_EN: 0
; COMPUTE_PGM_RSRC2:USER_SGPR: 15
; COMPUTE_PGM_RSRC2:TRAP_HANDLER: 0
; COMPUTE_PGM_RSRC2:TGID_X_EN: 1
; COMPUTE_PGM_RSRC2:TGID_Y_EN: 0
; COMPUTE_PGM_RSRC2:TGID_Z_EN: 0
; COMPUTE_PGM_RSRC2:TIDIG_COMP_CNT: 0
	.section	.text._ZN4vllm31rms_norm_per_block_quant_kernelIfN3c1015Float8_e4m3fnuzELb0ELb1ELi64EEEvPT0_PfPKT_S8_PKffiiPS6_l,"axG",@progbits,_ZN4vllm31rms_norm_per_block_quant_kernelIfN3c1015Float8_e4m3fnuzELb0ELb1ELi64EEEvPT0_PfPKT_S8_PKffiiPS6_l,comdat
	.protected	_ZN4vllm31rms_norm_per_block_quant_kernelIfN3c1015Float8_e4m3fnuzELb0ELb1ELi64EEEvPT0_PfPKT_S8_PKffiiPS6_l ; -- Begin function _ZN4vllm31rms_norm_per_block_quant_kernelIfN3c1015Float8_e4m3fnuzELb0ELb1ELi64EEEvPT0_PfPKT_S8_PKffiiPS6_l
	.globl	_ZN4vllm31rms_norm_per_block_quant_kernelIfN3c1015Float8_e4m3fnuzELb0ELb1ELi64EEEvPT0_PfPKT_S8_PKffiiPS6_l
	.p2align	8
	.type	_ZN4vllm31rms_norm_per_block_quant_kernelIfN3c1015Float8_e4m3fnuzELb0ELb1ELi64EEEvPT0_PfPKT_S8_PKffiiPS6_l,@function
_ZN4vllm31rms_norm_per_block_quant_kernelIfN3c1015Float8_e4m3fnuzELb0ELb1ELi64EEEvPT0_PfPKT_S8_PKffiiPS6_l: ; @_ZN4vllm31rms_norm_per_block_quant_kernelIfN3c1015Float8_e4m3fnuzELb0ELb1ELi64EEEvPT0_PfPKT_S8_PKffiiPS6_l
; %bb.0:
	s_mov_b32 s16, s15
	s_clause 0x2
	s_load_b128 s[12:15], s[0:1], 0x28
	s_load_b256 s[4:11], s[0:1], 0x0
	s_load_b32 s29, s[0:1], 0x48
	v_mov_b32_e32 v6, 0
	s_mov_b32 s17, 0
	s_waitcnt lgkmcnt(0)
	s_ashr_i32 s2, s14, 31
	s_mul_hi_u32 s3, s14, s16
	s_mul_i32 s15, s2, s16
	s_mul_i32 s2, s14, s16
	s_add_i32 s3, s3, s15
	s_mov_b32 s14, s13
	s_lshl_b64 s[2:3], s[2:3], 2
	s_delay_alu instid0(SALU_CYCLE_1)
	s_add_u32 s26, s8, s2
	s_addc_u32 s27, s9, s3
	s_ashr_i32 s8, s13, 2
	s_add_u32 s18, s0, 0x48
	v_cmp_gt_u32_e64 s2, s8, v0
	s_addc_u32 s19, s1, 0
	s_delay_alu instid0(VALU_DEP_1)
	s_and_saveexec_b32 s3, s2
	s_cbranch_execz .LBB37_10
; %bb.1:
	s_cmp_lt_u32 s16, s29
	v_mov_b32_e32 v2, 0
	s_cselect_b32 s9, 12, 18
                                        ; implicit-def: $sgpr15
	v_mov_b32_e32 v1, v0
	s_add_u32 s20, s18, s9
	s_addc_u32 s21, s19, 0
	s_mov_b32 s9, s17
	global_load_u16 v7, v2, s[20:21]
	s_waitcnt vmcnt(0)
	v_lshlrev_b32_e32 v9, 1, v7
	v_mul_lo_u32 v8, v7, 3
	v_add_nc_u32_e32 v10, v7, v7
	v_mov_b32_e32 v6, v2
	s_branch .LBB37_5
.LBB37_2:                               ;   in Loop: Header=BB37_5 Depth=1
	s_or_b32 exec_lo, exec_lo, s22
	s_delay_alu instid0(SALU_CYCLE_1)
	s_or_not1_b32 s22, s23, exec_lo
.LBB37_3:                               ;   in Loop: Header=BB37_5 Depth=1
	s_or_b32 exec_lo, exec_lo, s21
	s_delay_alu instid0(SALU_CYCLE_1) | instskip(SKIP_1) | instid1(SALU_CYCLE_1)
	s_and_not1_b32 s15, s15, exec_lo
	s_and_b32 s21, s22, exec_lo
	s_or_b32 s15, s15, s21
.LBB37_4:                               ;   in Loop: Header=BB37_5 Depth=1
	s_or_b32 exec_lo, exec_lo, s20
	s_delay_alu instid0(SALU_CYCLE_1) | instskip(NEXT) | instid1(SALU_CYCLE_1)
	s_and_b32 s20, exec_lo, s15
	s_or_b32 s9, s20, s9
	s_delay_alu instid0(SALU_CYCLE_1)
	s_and_not1_b32 exec_lo, exec_lo, s9
	s_cbranch_execz .LBB37_9
.LBB37_5:                               ; =>This Inner Loop Header: Depth=1
	v_lshlrev_b64 v[3:4], 4, v[1:2]
	s_or_b32 s15, s15, exec_lo
	s_mov_b32 s20, exec_lo
	s_delay_alu instid0(VALU_DEP_1) | instskip(NEXT) | instid1(VALU_DEP_2)
	v_add_co_u32 v3, vcc_lo, s26, v3
	v_add_co_ci_u32_e32 v4, vcc_lo, s27, v4, vcc_lo
	global_load_b128 v[11:14], v[3:4], off
	v_add_nc_u32_e32 v3, v1, v7
	s_waitcnt vmcnt(0)
	v_fmac_f32_e32 v6, v11, v11
	s_delay_alu instid0(VALU_DEP_1) | instskip(NEXT) | instid1(VALU_DEP_1)
	v_fmac_f32_e32 v6, v12, v12
	v_fmac_f32_e32 v6, v13, v13
	s_delay_alu instid0(VALU_DEP_1)
	v_fmac_f32_e32 v6, v14, v14
	v_cmpx_gt_u32_e64 s8, v3
	s_cbranch_execz .LBB37_4
; %bb.6:                                ;   in Loop: Header=BB37_5 Depth=1
	v_mov_b32_e32 v4, v2
	s_mov_b32 s22, -1
	s_mov_b32 s21, exec_lo
	s_delay_alu instid0(VALU_DEP_1) | instskip(NEXT) | instid1(VALU_DEP_1)
	v_lshlrev_b64 v[4:5], 4, v[3:4]
	v_add_co_u32 v4, vcc_lo, s26, v4
	s_delay_alu instid0(VALU_DEP_2) | instskip(SKIP_4) | instid1(VALU_DEP_1)
	v_add_co_ci_u32_e32 v5, vcc_lo, s27, v5, vcc_lo
	global_load_b128 v[11:14], v[4:5], off
	v_add_nc_u32_e32 v4, v9, v1
	s_waitcnt vmcnt(0)
	v_fmac_f32_e32 v6, v11, v11
	v_fmac_f32_e32 v6, v12, v12
	s_delay_alu instid0(VALU_DEP_1) | instskip(NEXT) | instid1(VALU_DEP_1)
	v_fmac_f32_e32 v6, v13, v13
	v_fmac_f32_e32 v6, v14, v14
	v_cmpx_gt_u32_e64 s8, v4
	s_cbranch_execz .LBB37_3
; %bb.7:                                ;   in Loop: Header=BB37_5 Depth=1
	v_mov_b32_e32 v5, v2
	s_mov_b32 s23, -1
	s_mov_b32 s22, exec_lo
	s_delay_alu instid0(VALU_DEP_1) | instskip(NEXT) | instid1(VALU_DEP_1)
	v_lshlrev_b64 v[4:5], 4, v[4:5]
	v_add_co_u32 v4, vcc_lo, s26, v4
	s_delay_alu instid0(VALU_DEP_2) | instskip(SKIP_3) | instid1(VALU_DEP_1)
	v_add_co_ci_u32_e32 v5, vcc_lo, s27, v5, vcc_lo
	global_load_b128 v[11:14], v[4:5], off
	s_waitcnt vmcnt(0)
	v_fmac_f32_e32 v6, v11, v11
	v_fmac_f32_e32 v6, v12, v12
	s_delay_alu instid0(VALU_DEP_1) | instskip(NEXT) | instid1(VALU_DEP_1)
	v_fmac_f32_e32 v6, v13, v13
	v_dual_fmac_f32 v6, v14, v14 :: v_dual_add_nc_u32 v1, v8, v1
	s_delay_alu instid0(VALU_DEP_1)
	v_cmpx_gt_u32_e64 s8, v1
	s_xor_b32 s22, exec_lo, s22
	s_cbranch_execz .LBB37_2
; %bb.8:                                ;   in Loop: Header=BB37_5 Depth=1
	v_lshlrev_b64 v[4:5], 4, v[1:2]
	v_add3_u32 v1, v10, v7, v3
	s_delay_alu instid0(VALU_DEP_2) | instskip(NEXT) | instid1(VALU_DEP_3)
	v_add_co_u32 v4, vcc_lo, s26, v4
	v_add_co_ci_u32_e32 v5, vcc_lo, s27, v5, vcc_lo
	s_delay_alu instid0(VALU_DEP_3) | instskip(SKIP_4) | instid1(VALU_DEP_1)
	v_cmp_le_u32_e32 vcc_lo, s8, v1
	global_load_b128 v[11:14], v[4:5], off
	s_or_not1_b32 s23, vcc_lo, exec_lo
	s_waitcnt vmcnt(0)
	v_fmac_f32_e32 v6, v11, v11
	v_fmac_f32_e32 v6, v12, v12
	s_delay_alu instid0(VALU_DEP_1) | instskip(NEXT) | instid1(VALU_DEP_1)
	v_fmac_f32_e32 v6, v13, v13
	v_fmac_f32_e32 v6, v14, v14
	s_branch .LBB37_2
.LBB37_9:
	s_or_b32 exec_lo, exec_lo, s9
.LBB37_10:
	s_delay_alu instid0(SALU_CYCLE_1) | instskip(SKIP_4) | instid1(VALU_DEP_2)
	s_or_b32 exec_lo, exec_lo, s3
	v_mbcnt_lo_u32_b32 v1, -1, 0
	s_load_b32 s3, s[18:19], 0xc
	v_and_b32_e32 v7, 0x3e0, v0
	s_mov_b32 s9, exec_lo
	v_cmp_ne_u32_e32 vcc_lo, 31, v1
	v_add_nc_u32_e32 v3, 1, v1
	v_add_co_ci_u32_e32 v2, vcc_lo, 0, v1, vcc_lo
	v_cmp_gt_u32_e32 vcc_lo, 30, v1
	s_delay_alu instid0(VALU_DEP_2)
	v_lshlrev_b32_e32 v2, 2, v2
	v_cndmask_b32_e64 v5, 0, 1, vcc_lo
	ds_bpermute_b32 v4, v2, v6
	s_waitcnt lgkmcnt(0)
	s_and_b32 s3, s3, 0xffff
	v_lshlrev_b32_e32 v5, 1, v5
	v_sub_nc_u32_e64 v12, s3, v7 clamp
	s_delay_alu instid0(VALU_DEP_1) | instskip(SKIP_1) | instid1(VALU_DEP_4)
	v_cmp_lt_u32_e32 vcc_lo, v3, v12
	v_add_f32_e32 v7, v6, v4
	v_add_lshl_u32 v4, v5, v1, 2
	s_delay_alu instid0(VALU_DEP_2) | instskip(SKIP_2) | instid1(VALU_DEP_1)
	v_cndmask_b32_e32 v7, v6, v7, vcc_lo
	v_cmp_gt_u32_e32 vcc_lo, 28, v1
	v_cndmask_b32_e64 v5, 0, 1, vcc_lo
	v_lshlrev_b32_e32 v8, 2, v5
	ds_bpermute_b32 v6, v4, v7
	v_add_nc_u32_e32 v5, 2, v1
	s_delay_alu instid0(VALU_DEP_1) | instskip(SKIP_3) | instid1(VALU_DEP_2)
	v_cmp_lt_u32_e32 vcc_lo, v5, v12
	s_waitcnt lgkmcnt(0)
	v_add_f32_e32 v9, v7, v6
	v_add_lshl_u32 v6, v8, v1, 2
	v_cndmask_b32_e32 v9, v7, v9, vcc_lo
	v_cmp_gt_u32_e32 vcc_lo, 24, v1
	ds_bpermute_b32 v8, v6, v9
	v_cndmask_b32_e64 v7, 0, 1, vcc_lo
	s_delay_alu instid0(VALU_DEP_1) | instskip(SKIP_1) | instid1(VALU_DEP_1)
	v_lshlrev_b32_e32 v10, 3, v7
	v_add_nc_u32_e32 v7, 4, v1
	v_cmp_lt_u32_e32 vcc_lo, v7, v12
	s_waitcnt lgkmcnt(0)
	v_add_f32_e32 v11, v9, v8
	v_add_lshl_u32 v8, v10, v1, 2
	s_delay_alu instid0(VALU_DEP_2) | instskip(SKIP_3) | instid1(VALU_DEP_1)
	v_cndmask_b32_e32 v11, v9, v11, vcc_lo
	v_cmp_gt_u32_e32 vcc_lo, 16, v1
	ds_bpermute_b32 v10, v8, v11
	v_cndmask_b32_e64 v9, 0, 1, vcc_lo
	v_lshlrev_b32_e32 v13, 4, v9
	v_add_nc_u32_e32 v9, 8, v1
	s_delay_alu instid0(VALU_DEP_1) | instskip(SKIP_3) | instid1(VALU_DEP_2)
	v_cmp_lt_u32_e32 vcc_lo, v9, v12
	s_waitcnt lgkmcnt(0)
	v_add_f32_e32 v14, v11, v10
	v_add_lshl_u32 v10, v13, v1, 2
	v_cndmask_b32_e32 v13, v11, v14, vcc_lo
	v_add_nc_u32_e32 v11, 16, v1
	ds_bpermute_b32 v14, v10, v13
	v_cmp_lt_u32_e32 vcc_lo, v11, v12
	s_waitcnt lgkmcnt(0)
	v_add_f32_e32 v14, v13, v14
	s_delay_alu instid0(VALU_DEP_1)
	v_cndmask_b32_e32 v12, v13, v14, vcc_lo
	v_cmpx_eq_u32_e32 0, v1
	s_cbranch_execz .LBB37_12
; %bb.11:
	v_lshrrev_b32_e32 v13, 3, v0
	s_delay_alu instid0(VALU_DEP_1)
	v_and_b32_e32 v13, 0x7c, v13
	ds_store_b32 v13, v12 offset:4096
.LBB37_12:
	s_or_b32 exec_lo, exec_lo, s9
	s_delay_alu instid0(SALU_CYCLE_1)
	s_mov_b32 s9, exec_lo
	s_waitcnt lgkmcnt(0)
	s_barrier
	buffer_gl0_inv
	v_cmpx_gt_u32_e32 32, v0
	s_cbranch_execz .LBB37_14
; %bb.13:
	v_lshlrev_b32_e32 v1, 2, v1
	s_add_i32 s3, s3, 31
	s_delay_alu instid0(SALU_CYCLE_1) | instskip(NEXT) | instid1(SALU_CYCLE_1)
	s_lshr_b32 s3, s3, 5
	v_cmp_gt_u32_e32 vcc_lo, s3, v3
	ds_load_b32 v1, v1 offset:4096
	s_waitcnt lgkmcnt(0)
	ds_bpermute_b32 v2, v2, v1
	s_waitcnt lgkmcnt(0)
	v_add_f32_e32 v2, v1, v2
	s_delay_alu instid0(VALU_DEP_1) | instskip(SKIP_4) | instid1(VALU_DEP_1)
	v_cndmask_b32_e32 v1, v1, v2, vcc_lo
	v_cmp_gt_u32_e32 vcc_lo, s3, v5
	ds_bpermute_b32 v2, v4, v1
	s_waitcnt lgkmcnt(0)
	v_add_f32_e32 v2, v1, v2
	v_cndmask_b32_e32 v1, v1, v2, vcc_lo
	v_cmp_gt_u32_e32 vcc_lo, s3, v7
	ds_bpermute_b32 v2, v6, v1
	s_waitcnt lgkmcnt(0)
	v_add_f32_e32 v2, v1, v2
	s_delay_alu instid0(VALU_DEP_1) | instskip(SKIP_4) | instid1(VALU_DEP_1)
	v_cndmask_b32_e32 v1, v1, v2, vcc_lo
	v_cmp_gt_u32_e32 vcc_lo, s3, v9
	ds_bpermute_b32 v2, v8, v1
	s_waitcnt lgkmcnt(0)
	v_add_f32_e32 v2, v1, v2
	v_cndmask_b32_e32 v1, v1, v2, vcc_lo
	v_cmp_gt_u32_e32 vcc_lo, s3, v11
	ds_bpermute_b32 v2, v10, v1
	s_waitcnt lgkmcnt(0)
	v_add_f32_e32 v2, v1, v2
	s_delay_alu instid0(VALU_DEP_1)
	v_cndmask_b32_e32 v12, v1, v2, vcc_lo
.LBB37_14:
	s_or_b32 exec_lo, exec_lo, s9
	s_delay_alu instid0(SALU_CYCLE_1)
	s_mov_b32 s3, exec_lo
	v_cmpx_eq_u32_e32 0, v0
	s_cbranch_execz .LBB37_16
; %bb.15:
	v_cvt_f32_i32_e32 v1, s13
	s_delay_alu instid0(VALU_DEP_1) | instskip(SKIP_1) | instid1(VALU_DEP_2)
	v_div_scale_f32 v2, null, v1, v1, v12
	v_div_scale_f32 v5, vcc_lo, v12, v1, v12
	v_rcp_f32_e32 v3, v2
	s_waitcnt_depctr 0xfff
	v_fma_f32 v4, -v2, v3, 1.0
	s_delay_alu instid0(VALU_DEP_1) | instskip(NEXT) | instid1(VALU_DEP_1)
	v_fmac_f32_e32 v3, v4, v3
	v_mul_f32_e32 v4, v5, v3
	s_delay_alu instid0(VALU_DEP_1) | instskip(NEXT) | instid1(VALU_DEP_1)
	v_fma_f32 v6, -v2, v4, v5
	v_fmac_f32_e32 v4, v6, v3
	s_delay_alu instid0(VALU_DEP_1) | instskip(NEXT) | instid1(VALU_DEP_1)
	v_fma_f32 v2, -v2, v4, v5
	v_div_fmas_f32 v2, v2, v3, v4
	s_delay_alu instid0(VALU_DEP_1) | instskip(NEXT) | instid1(VALU_DEP_1)
	v_div_fixup_f32 v1, v2, v1, v12
	v_add_f32_e32 v1, s12, v1
	s_delay_alu instid0(VALU_DEP_1) | instskip(SKIP_1) | instid1(VALU_DEP_2)
	v_mul_f32_e32 v2, 0x4b800000, v1
	v_cmp_gt_f32_e32 vcc_lo, 0x800000, v1
	v_cndmask_b32_e32 v1, v1, v2, vcc_lo
	s_delay_alu instid0(VALU_DEP_1) | instskip(SKIP_2) | instid1(VALU_DEP_1)
	v_rsq_f32_e32 v1, v1
	s_waitcnt_depctr 0xfff
	v_mul_f32_e32 v2, 0x45800000, v1
	v_dual_cndmask_b32 v1, v1, v2 :: v_dual_mov_b32 v2, 0
	ds_store_b32 v2, v1 offset:4224
.LBB37_16:
	s_or_b32 exec_lo, exec_lo, s3
	s_ashr_i32 s15, s13, 31
	v_mov_b32_e32 v4, 0
	s_lshr_b32 s3, s15, 26
	s_waitcnt lgkmcnt(0)
	s_add_i32 s3, s13, s3
	s_barrier
	s_ashr_i32 s12, s3, 6
	s_cmp_lt_u32 s16, s29
	buffer_gl0_inv
	s_cselect_b32 s9, 12, 18
	ds_load_b32 v28, v4 offset:4224
	s_add_u32 s18, s18, s9
	s_addc_u32 s19, s19, 0
	s_abs_i32 s9, s12
	global_load_u16 v1, v4, s[18:19]
	v_cvt_f32_u32_e32 v2, s9
	s_sub_i32 s18, 0, s9
	s_ashr_i32 s3, s3, 31
	s_delay_alu instid0(VALU_DEP_1) | instskip(SKIP_2) | instid1(VALU_DEP_1)
	v_rcp_iflag_f32_e32 v2, v2
	s_waitcnt_depctr 0xfff
	v_mul_f32_e32 v2, 0x4f7ffffe, v2
	v_cvt_u32_f32_e32 v2, v2
	s_delay_alu instid0(VALU_DEP_1) | instskip(NEXT) | instid1(VALU_DEP_1)
	v_readfirstlane_b32 s13, v2
	s_mul_i32 s18, s18, s13
	s_delay_alu instid0(SALU_CYCLE_1) | instskip(NEXT) | instid1(SALU_CYCLE_1)
	s_mul_hi_u32 s18, s13, s18
	s_add_i32 s13, s13, s18
	s_waitcnt vmcnt(0)
	v_readfirstlane_b32 s28, v1
	s_delay_alu instid0(VALU_DEP_1) | instskip(NEXT) | instid1(SALU_CYCLE_1)
	s_mul_hi_u32 s13, s28, s13
	s_mul_i32 s18, s13, s9
	s_add_i32 s19, s13, 1
	s_sub_i32 s18, s28, s18
	s_delay_alu instid0(SALU_CYCLE_1)
	s_sub_i32 s20, s18, s9
	s_cmp_ge_u32 s18, s9
	s_cselect_b32 s13, s19, s13
	s_cselect_b32 s18, s20, s18
	s_add_i32 s19, s13, 1
	s_cmp_ge_u32 s18, s9
	s_cselect_b32 s9, s19, s13
	s_delay_alu instid0(SALU_CYCLE_1) | instskip(NEXT) | instid1(SALU_CYCLE_1)
	s_xor_b32 s9, s9, s3
	s_sub_i32 s18, s9, s3
	s_delay_alu instid0(SALU_CYCLE_1) | instskip(SKIP_3) | instid1(VALU_DEP_1)
	s_abs_i32 s3, s18
	s_ashr_i32 s19, s18, 31
	v_cvt_f32_u32_e32 v1, s3
	s_sub_i32 s9, 0, s3
	v_rcp_iflag_f32_e32 v1, v1
	s_waitcnt_depctr 0xfff
	v_mul_f32_e32 v1, 0x4f7ffffe, v1
	s_delay_alu instid0(VALU_DEP_1) | instskip(NEXT) | instid1(VALU_DEP_1)
	v_cvt_u32_f32_e32 v1, v1
	v_mul_lo_u32 v2, s9, v1
	s_ashr_i32 s9, s8, 31
	s_delay_alu instid0(VALU_DEP_1) | instskip(NEXT) | instid1(VALU_DEP_1)
	v_mul_hi_u32 v2, v1, v2
	v_add_nc_u32_e32 v1, v1, v2
	s_delay_alu instid0(VALU_DEP_1) | instskip(NEXT) | instid1(VALU_DEP_1)
	v_mul_hi_u32 v1, v0, v1
	v_mul_lo_u32 v2, v1, s3
	v_add_nc_u32_e32 v3, 1, v1
	s_delay_alu instid0(VALU_DEP_2) | instskip(NEXT) | instid1(VALU_DEP_1)
	v_sub_nc_u32_e32 v2, v0, v2
	v_subrev_nc_u32_e32 v5, s3, v2
	v_cmp_le_u32_e32 vcc_lo, s3, v2
	s_delay_alu instid0(VALU_DEP_2) | instskip(NEXT) | instid1(VALU_DEP_1)
	v_dual_cndmask_b32 v2, v2, v5 :: v_dual_cndmask_b32 v1, v1, v3
	v_cmp_le_u32_e32 vcc_lo, s3, v2
	s_delay_alu instid0(VALU_DEP_2) | instskip(NEXT) | instid1(VALU_DEP_1)
	v_add_nc_u32_e32 v3, 1, v1
	v_cndmask_b32_e32 v1, v1, v3, vcc_lo
	s_delay_alu instid0(VALU_DEP_1) | instskip(NEXT) | instid1(VALU_DEP_1)
	v_xor_b32_e32 v1, s19, v1
	v_subrev_nc_u32_e32 v1, s19, v1
	s_delay_alu instid0(VALU_DEP_1) | instskip(SKIP_1) | instid1(VALU_DEP_2)
	v_ashrrev_i32_e32 v2, 31, v1
	v_mul_lo_u32 v3, v1, s18
	v_lshlrev_b64 v[7:8], 4, v[1:2]
	s_delay_alu instid0(VALU_DEP_2) | instskip(NEXT) | instid1(VALU_DEP_2)
	v_sub_nc_u32_e32 v3, v0, v3
	v_add_co_u32 v5, vcc_lo, v7, 16
	s_delay_alu instid0(VALU_DEP_3) | instskip(NEXT) | instid1(VALU_DEP_1)
	v_add_co_ci_u32_e32 v6, vcc_lo, 0, v8, vcc_lo
	v_cmp_gt_i64_e32 vcc_lo, s[8:9], v[5:6]
	v_cndmask_b32_e32 v6, s9, v6, vcc_lo
	v_cndmask_b32_e32 v5, s8, v5, vcc_lo
	v_add_co_u32 v7, vcc_lo, v7, v3
	v_add_co_ci_u32_e32 v8, vcc_lo, 0, v8, vcc_lo
	s_delay_alu instid0(VALU_DEP_3) | instskip(SKIP_2) | instid1(VALU_DEP_1)
	v_ashrrev_i32_e32 v10, 31, v5
	v_mov_b32_e32 v9, v5
	s_mov_b32 s9, exec_lo
	v_cmpx_lt_i64_e64 v[7:8], v[9:10]
	s_cbranch_execz .LBB37_26
; %bb.17:
	v_lshlrev_b64 v[11:12], 8, v[1:2]
	v_lshlrev_b64 v[13:14], 4, v[3:4]
	v_mov_b32_e32 v4, 0
	s_lshl_b64 s[20:21], s[18:19], 6
	s_mul_hi_i32 s13, s18, 3
	s_mul_i32 s30, s18, 3
	s_lshl_b64 s[22:23], s[18:19], 1
	v_add_co_u32 v19, vcc_lo, v11, v13
	v_add_co_ci_u32_e32 v20, vcc_lo, v12, v14, vcc_lo
	v_dual_mov_b32 v12, v8 :: v_dual_mov_b32 v11, v7
	s_lshl_b64 s[24:25], s[18:19], 4
	s_mov_b32 s31, 0
                                        ; implicit-def: $sgpr33
	s_branch .LBB37_21
.LBB37_18:                              ;   in Loop: Header=BB37_21 Depth=1
	s_or_b32 exec_lo, exec_lo, s36
	s_delay_alu instid0(SALU_CYCLE_1)
	s_or_not1_b32 s3, s3, exec_lo
.LBB37_19:                              ;   in Loop: Header=BB37_21 Depth=1
	s_or_b32 exec_lo, exec_lo, s35
	s_delay_alu instid0(SALU_CYCLE_1) | instskip(SKIP_1) | instid1(SALU_CYCLE_1)
	s_and_not1_b32 s33, s33, exec_lo
	s_and_b32 s3, s3, exec_lo
	s_or_b32 s33, s33, s3
.LBB37_20:                              ;   in Loop: Header=BB37_21 Depth=1
	s_or_b32 exec_lo, exec_lo, s34
	s_delay_alu instid0(SALU_CYCLE_1) | instskip(NEXT) | instid1(SALU_CYCLE_1)
	s_and_b32 s3, exec_lo, s33
	s_or_b32 s31, s3, s31
	s_delay_alu instid0(SALU_CYCLE_1)
	s_and_not1_b32 exec_lo, exec_lo, s31
	s_cbranch_execz .LBB37_25
.LBB37_21:                              ; =>This Inner Loop Header: Depth=1
	v_add_co_u32 v15, vcc_lo, s26, v19
	v_add_co_ci_u32_e32 v16, vcc_lo, s27, v20, vcc_lo
	v_add_co_u32 v17, vcc_lo, s10, v19
	v_add_co_ci_u32_e32 v18, vcc_lo, s11, v20, vcc_lo
	s_or_b32 s33, s33, exec_lo
	global_load_b128 v[21:24], v[15:16], off
	global_load_b128 v[29:32], v[17:18], off
	s_mov_b32 s34, exec_lo
	s_waitcnt vmcnt(1) lgkmcnt(0)
	v_mul_f32_e32 v14, v28, v22
	v_mul_f32_e32 v13, v28, v21
	;; [unrolled: 1-line block ×3, first 2 shown]
	s_waitcnt vmcnt(0)
	s_delay_alu instid0(VALU_DEP_3) | instskip(NEXT) | instid1(VALU_DEP_2)
	v_dual_mul_f32 v21, v28, v23 :: v_dual_mul_f32 v24, v14, v30
	v_dual_mul_f32 v23, v13, v29 :: v_dual_mul_f32 v22, v22, v32
	s_delay_alu instid0(VALU_DEP_2) | instskip(SKIP_1) | instid1(VALU_DEP_3)
	v_mul_f32_e32 v21, v21, v31
	v_add_co_u32 v13, vcc_lo, v11, s18
	v_max3_f32 v4, v4, |v23|, |v24|
	v_add_co_ci_u32_e32 v14, vcc_lo, s19, v12, vcc_lo
	s_delay_alu instid0(VALU_DEP_2) | instskip(NEXT) | instid1(VALU_DEP_2)
	v_max3_f32 v4, v4, |v21|, |v22|
	v_cmpx_lt_i64_e64 v[13:14], v[9:10]
	s_cbranch_execz .LBB37_20
; %bb.22:                               ;   in Loop: Header=BB37_21 Depth=1
	v_add_co_u32 v15, vcc_lo, v15, s24
	v_add_co_ci_u32_e32 v16, vcc_lo, s25, v16, vcc_lo
	v_add_co_u32 v17, vcc_lo, v17, s24
	v_add_co_ci_u32_e32 v18, vcc_lo, s25, v18, vcc_lo
	s_mov_b32 s3, -1
	global_load_b128 v[21:24], v[15:16], off
	global_load_b128 v[29:32], v[17:18], off
	s_mov_b32 s35, exec_lo
	s_waitcnt vmcnt(1)
	v_mul_f32_e32 v22, v28, v22
	v_mul_f32_e32 v21, v28, v21
	;; [unrolled: 1-line block ×4, first 2 shown]
	s_waitcnt vmcnt(0)
	s_delay_alu instid0(VALU_DEP_3) | instskip(NEXT) | instid1(VALU_DEP_2)
	v_dual_mul_f32 v26, v22, v30 :: v_dual_mul_f32 v25, v21, v29
	v_dual_mul_f32 v23, v23, v31 :: v_dual_mul_f32 v24, v24, v32
	v_add_co_u32 v21, vcc_lo, s22, v11
	s_delay_alu instid0(VALU_DEP_3) | instskip(SKIP_1) | instid1(VALU_DEP_2)
	v_max3_f32 v4, v4, |v25|, |v26|
	v_add_co_ci_u32_e32 v22, vcc_lo, s23, v12, vcc_lo
	v_max3_f32 v4, v4, |v23|, |v24|
	s_delay_alu instid0(VALU_DEP_2)
	v_cmpx_lt_i64_e64 v[21:22], v[9:10]
	s_cbranch_execz .LBB37_19
; %bb.23:                               ;   in Loop: Header=BB37_21 Depth=1
	v_add_co_u32 v15, vcc_lo, v15, s24
	v_add_co_ci_u32_e32 v16, vcc_lo, s25, v16, vcc_lo
	v_add_co_u32 v17, vcc_lo, v17, s24
	v_add_co_ci_u32_e32 v18, vcc_lo, s25, v18, vcc_lo
	v_add_co_u32 v11, vcc_lo, s30, v11
	global_load_b128 v[21:24], v[15:16], off
	global_load_b128 v[29:32], v[17:18], off
	v_add_co_ci_u32_e32 v12, vcc_lo, s13, v12, vcc_lo
	s_delay_alu instid0(VALU_DEP_1)
	v_cmp_lt_i64_e32 vcc_lo, v[11:12], v[9:10]
                                        ; implicit-def: $vgpr11_vgpr12
	s_waitcnt vmcnt(1)
	v_mul_f32_e32 v22, v28, v22
	v_mul_f32_e32 v21, v28, v21
	;; [unrolled: 1-line block ×4, first 2 shown]
	s_waitcnt vmcnt(0)
	s_delay_alu instid0(VALU_DEP_3) | instskip(NEXT) | instid1(VALU_DEP_3)
	v_dual_mul_f32 v22, v22, v30 :: v_dual_mul_f32 v21, v21, v29
	v_mul_f32_e32 v23, v23, v31
	s_delay_alu instid0(VALU_DEP_2) | instskip(SKIP_1) | instid1(VALU_DEP_1)
	v_max3_f32 v4, v4, |v21|, |v22|
	v_mul_f32_e32 v21, v24, v32
	v_max3_f32 v4, v4, |v23|, |v21|
	s_and_saveexec_b32 s36, vcc_lo
	s_delay_alu instid0(SALU_CYCLE_1)
	s_xor_b32 s36, exec_lo, s36
	s_cbranch_execz .LBB37_18
; %bb.24:                               ;   in Loop: Header=BB37_21 Depth=1
	v_add_co_u32 v11, vcc_lo, v15, s24
	v_add_co_ci_u32_e32 v12, vcc_lo, s25, v16, vcc_lo
	v_add_co_u32 v21, vcc_lo, v17, s24
	v_add_co_ci_u32_e32 v22, vcc_lo, s25, v18, vcc_lo
	s_add_u32 s3, s18, s18
	global_load_b128 v[15:18], v[11:12], off
	global_load_b128 v[21:24], v[21:22], off
	s_addc_u32 s37, s19, s19
	s_add_u32 s3, s3, s18
	s_addc_u32 s37, s37, s19
	s_waitcnt vmcnt(1)
	v_mul_f32_e32 v11, v28, v15
	v_mul_f32_e32 v12, v28, v16
	;; [unrolled: 1-line block ×3, first 2 shown]
	s_waitcnt vmcnt(0)
	s_delay_alu instid0(VALU_DEP_3) | instskip(NEXT) | instid1(VALU_DEP_3)
	v_dual_mul_f32 v16, v28, v18 :: v_dual_mul_f32 v17, v11, v21
	v_mul_f32_e32 v18, v12, v22
	v_add_co_u32 v11, vcc_lo, s3, v13
	v_mul_f32_e32 v13, v15, v23
	v_add_co_ci_u32_e32 v12, vcc_lo, s37, v14, vcc_lo
	v_mul_f32_e32 v14, v16, v24
	v_max3_f32 v4, v4, |v17|, |v18|
	v_add_co_u32 v19, s3, v19, s20
	s_delay_alu instid0(VALU_DEP_4) | instskip(SKIP_1) | instid1(VALU_DEP_4)
	v_cmp_ge_i64_e32 vcc_lo, v[11:12], v[9:10]
	v_add_co_ci_u32_e64 v20, s3, s21, v20, s3
	v_max3_f32 v4, v4, |v13|, |v14|
	s_or_not1_b32 s3, vcc_lo, exec_lo
	s_branch .LBB37_18
.LBB37_25:
	s_or_b32 exec_lo, exec_lo, s31
.LBB37_26:
	s_delay_alu instid0(SALU_CYCLE_1)
	s_or_b32 exec_lo, exec_lo, s9
	s_lshr_b32 s9, s28, 5
	v_lshlrev_b32_e32 v29, 2, v0
	v_cvt_f32_u32_e32 v9, s9
	s_sub_i32 s13, 0, s9
	s_add_i32 s20, s12, s9
	s_delay_alu instid0(SALU_CYCLE_1) | instskip(NEXT) | instid1(VALU_DEP_1)
	s_add_i32 s20, s20, -1
	v_rcp_iflag_f32_e32 v9, v9
	s_abs_i32 s21, s20
	s_ashr_i32 s20, s20, 31
	ds_store_b32 v29, v4
	s_waitcnt lgkmcnt(0)
	s_barrier
	buffer_gl0_inv
	v_mul_f32_e32 v9, 0x4f7ffffe, v9
	s_delay_alu instid0(VALU_DEP_1) | instskip(NEXT) | instid1(VALU_DEP_1)
	v_cvt_u32_f32_e32 v9, v9
	v_readfirstlane_b32 s3, v9
	s_delay_alu instid0(VALU_DEP_1) | instskip(NEXT) | instid1(SALU_CYCLE_1)
	s_mul_i32 s13, s13, s3
	s_mul_hi_u32 s13, s3, s13
	s_delay_alu instid0(SALU_CYCLE_1) | instskip(NEXT) | instid1(SALU_CYCLE_1)
	s_add_i32 s3, s3, s13
	s_mul_hi_u32 s3, s21, s3
	s_delay_alu instid0(SALU_CYCLE_1) | instskip(NEXT) | instid1(SALU_CYCLE_1)
	s_mul_i32 s13, s3, s9
	s_sub_i32 s13, s21, s13
	s_add_i32 s21, s3, 1
	s_sub_i32 s22, s13, s9
	s_cmp_ge_u32 s13, s9
	s_cselect_b32 s3, s21, s3
	s_cselect_b32 s13, s22, s13
	s_add_i32 s21, s3, 1
	s_cmp_ge_u32 s13, s9
	s_cselect_b32 s3, s21, s3
	s_delay_alu instid0(SALU_CYCLE_1) | instskip(NEXT) | instid1(SALU_CYCLE_1)
	s_xor_b32 s3, s3, s20
	s_sub_i32 s20, s3, s20
	s_delay_alu instid0(SALU_CYCLE_1) | instskip(NEXT) | instid1(SALU_CYCLE_1)
	s_ashr_i32 s21, s20, 31
	v_cmp_lt_i64_e64 s3, s[20:21], 1
	s_delay_alu instid0(VALU_DEP_1)
	s_and_b32 vcc_lo, exec_lo, s3
	s_cbranch_vccnz .LBB37_46
; %bb.27:
	v_lshrrev_b32_e32 v9, 5, v0
	v_and_b32_e32 v4, 31, v0
	s_ashr_i32 s13, s12, 31
	s_mov_b64 s[22:23], 0
	s_mov_b64 s[24:25], src_shared_base
	v_mul_lo_u32 v19, s18, v9
	v_add_co_u32 v11, s3, v4, 16
	s_delay_alu instid0(VALU_DEP_1) | instskip(SKIP_1) | instid1(VALU_DEP_1)
	v_add_co_ci_u32_e64 v12, null, 0, 0, s3
	v_add_co_u32 v13, s3, v4, 8
	v_add_co_ci_u32_e64 v14, null, 0, 0, s3
	v_add_co_u32 v15, s3, v4, 4
	v_dual_mov_b32 v10, 0 :: v_dual_lshlrev_b32 v21, 2, v19
	v_lshlrev_b32_e32 v22, 2, v4
	v_add_co_ci_u32_e64 v16, null, 0, 0, s3
	v_add_co_u32 v17, s3, v4, 2
	s_delay_alu instid0(VALU_DEP_1) | instskip(SKIP_1) | instid1(VALU_DEP_1)
	v_add_co_ci_u32_e64 v18, null, 0, 0, s3
	v_add_co_u32 v19, s3, v4, 1
	v_add_co_ci_u32_e64 v20, null, 0, 0, s3
	v_add3_u32 v30, v21, v22, 0x80
	s_mul_i32 s3, s18, s9
	s_delay_alu instid0(SALU_CYCLE_1)
	s_lshl_b32 s30, s3, 2
	s_branch .LBB37_30
.LBB37_28:                              ;   in Loop: Header=BB37_30 Depth=1
	s_or_b32 exec_lo, exec_lo, s3
	v_mov_b32_e32 v22, s25
	flat_load_b32 v21, v[21:22] glc dlc
	s_waitcnt vmcnt(0)
.LBB37_29:                              ;   in Loop: Header=BB37_30 Depth=1
	s_or_b32 exec_lo, exec_lo, s24
	s_add_u32 s22, s22, 1
	v_add_nc_u32_e32 v30, s30, v30
	s_addc_u32 s23, s23, 0
	s_delay_alu instid0(SALU_CYCLE_1)
	s_cmp_eq_u64 s[22:23], s[20:21]
	s_cbranch_scc1 .LBB37_46
.LBB37_30:                              ; =>This Loop Header: Depth=1
                                        ;     Child Loop BB37_33 Depth 2
	s_waitcnt lgkmcnt(0)
	v_mad_u64_u32 v[21:22], null, s22, s9, v[9:10]
	s_mov_b32 s24, exec_lo
	s_delay_alu instid0(VALU_DEP_1) | instskip(NEXT) | instid1(VALU_DEP_1)
	v_mad_u64_u32 v[23:24], null, s23, s9, v[22:23]
	v_mov_b32_e32 v22, v23
	s_delay_alu instid0(VALU_DEP_1)
	v_cmpx_gt_i64_e64 s[12:13], v[21:22]
	s_cbranch_execz .LBB37_29
; %bb.31:                               ;   in Loop: Header=BB37_30 Depth=1
	v_mul_lo_u32 v24, v22, s18
	v_mul_lo_u32 v25, v21, s19
	v_mad_u64_u32 v[22:23], null, v21, s18, 0
	s_delay_alu instid0(VALU_DEP_1) | instskip(NEXT) | instid1(VALU_DEP_2)
	v_add3_u32 v23, v23, v25, v24
	v_add_co_u32 v24, vcc_lo, v22, s18
	v_add_co_u32 v31, s3, v22, v4
	s_delay_alu instid0(VALU_DEP_3) | instskip(SKIP_2) | instid1(VALU_DEP_2)
	v_add_co_ci_u32_e32 v25, vcc_lo, s19, v23, vcc_lo
	v_add_co_ci_u32_e64 v21, s3, 0, v23, s3
	s_mov_b32 s3, exec_lo
	v_cmp_gt_i64_e32 vcc_lo, s[14:15], v[24:25]
	v_cndmask_b32_e32 v25, s15, v25, vcc_lo
	v_cndmask_b32_e32 v24, s14, v24, vcc_lo
	v_add_co_u32 v26, vcc_lo, v31, 32
	v_add_co_ci_u32_e32 v27, vcc_lo, 0, v21, vcc_lo
	v_lshlrev_b32_e32 v21, 2, v31
	s_delay_alu instid0(VALU_DEP_2)
	v_cmpx_lt_i64_e64 v[26:27], v[24:25]
	s_cbranch_execz .LBB37_34
; %bb.32:                               ;   in Loop: Header=BB37_30 Depth=1
	ds_load_b32 v33, v21
	v_mov_b32_e32 v32, v30
	s_mov_b32 s31, 0
.LBB37_33:                              ;   Parent Loop BB37_30 Depth=1
                                        ; =>  This Inner Loop Header: Depth=2
	ds_load_b32 v34, v32
	v_add_co_u32 v26, vcc_lo, v26, 32
	v_add_co_ci_u32_e32 v27, vcc_lo, 0, v27, vcc_lo
	s_waitcnt lgkmcnt(1)
	v_dual_max_f32 v33, v33, v33 :: v_dual_add_nc_u32 v32, 0x80, v32
	s_delay_alu instid0(VALU_DEP_2) | instskip(SKIP_3) | instid1(VALU_DEP_1)
	v_cmp_ge_i64_e32 vcc_lo, v[26:27], v[24:25]
	s_or_b32 s31, vcc_lo, s31
	s_waitcnt lgkmcnt(0)
	v_max_f32_e32 v34, v34, v34
	v_max_f32_e32 v33, v33, v34
	ds_store_b32 v21, v33
	s_and_not1_b32 exec_lo, exec_lo, s31
	s_cbranch_execnz .LBB37_33
.LBB37_34:                              ;   in Loop: Header=BB37_30 Depth=1
	s_or_b32 exec_lo, exec_lo, s3
	v_sub_co_u32 v22, vcc_lo, v24, v22
	v_sub_co_ci_u32_e32 v23, vcc_lo, v25, v23, vcc_lo
	s_mov_b32 s3, exec_lo
	s_delay_alu instid0(VALU_DEP_1) | instskip(SKIP_1) | instid1(VALU_DEP_1)
	v_cmp_gt_i64_e32 vcc_lo, 32, v[22:23]
	v_dual_cndmask_b32 v24, 0, v23 :: v_dual_cndmask_b32 v23, 32, v22
	v_cmpx_lt_i64_e64 v[11:12], v[23:24]
	s_cbranch_execz .LBB37_36
; %bb.35:                               ;   in Loop: Header=BB37_30 Depth=1
	v_dual_mov_b32 v22, s25 :: v_dual_add_nc_u32 v25, 64, v21
	v_mov_b32_e32 v26, s25
	flat_load_b32 v27, v[21:22] glc dlc
	s_waitcnt vmcnt(0)
	flat_load_b32 v25, v[25:26] glc dlc
	s_waitcnt vmcnt(0) lgkmcnt(0)
	v_dual_max_f32 v26, v27, v27 :: v_dual_max_f32 v25, v25, v25
	s_delay_alu instid0(VALU_DEP_1)
	v_max_f32_e32 v25, v26, v25
	flat_store_b32 v[21:22], v25 dlc
	s_waitcnt_vscnt null, 0x0
.LBB37_36:                              ;   in Loop: Header=BB37_30 Depth=1
	s_or_b32 exec_lo, exec_lo, s3
	s_delay_alu instid0(SALU_CYCLE_1)
	s_mov_b32 s3, exec_lo
	v_cmpx_lt_i64_e64 v[13:14], v[23:24]
	s_cbranch_execz .LBB37_38
; %bb.37:                               ;   in Loop: Header=BB37_30 Depth=1
	v_dual_mov_b32 v22, s25 :: v_dual_add_nc_u32 v25, 32, v21
	v_mov_b32_e32 v26, s25
	flat_load_b32 v27, v[21:22] glc dlc
	s_waitcnt vmcnt(0)
	flat_load_b32 v25, v[25:26] glc dlc
	s_waitcnt vmcnt(0) lgkmcnt(0)
	v_dual_max_f32 v26, v27, v27 :: v_dual_max_f32 v25, v25, v25
	s_delay_alu instid0(VALU_DEP_1)
	v_max_f32_e32 v25, v26, v25
	flat_store_b32 v[21:22], v25 dlc
	s_waitcnt_vscnt null, 0x0
.LBB37_38:                              ;   in Loop: Header=BB37_30 Depth=1
	s_or_b32 exec_lo, exec_lo, s3
	s_delay_alu instid0(SALU_CYCLE_1)
	s_mov_b32 s3, exec_lo
	v_cmpx_ge_i64_e64 v[15:16], v[23:24]
	s_xor_b32 s3, exec_lo, s3
; %bb.39:                               ;   in Loop: Header=BB37_30 Depth=1
                                        ; implicit-def: $vgpr21
; %bb.40:                               ;   in Loop: Header=BB37_30 Depth=1
	s_delay_alu instid0(SALU_CYCLE_1)
	s_and_not1_saveexec_b32 s3, s3
	s_cbranch_execz .LBB37_42
; %bb.41:                               ;   in Loop: Header=BB37_30 Depth=1
	v_dual_mov_b32 v22, s25 :: v_dual_add_nc_u32 v25, 16, v21
	v_mov_b32_e32 v26, s25
	flat_load_b32 v27, v[21:22] glc dlc
	s_waitcnt vmcnt(0)
	flat_load_b32 v25, v[25:26] glc dlc
	s_waitcnt vmcnt(0) lgkmcnt(0)
	v_dual_max_f32 v26, v27, v27 :: v_dual_max_f32 v25, v25, v25
	s_delay_alu instid0(VALU_DEP_1)
	v_max_f32_e32 v25, v26, v25
	flat_store_b32 v[21:22], v25 dlc
	s_waitcnt_vscnt null, 0x0
.LBB37_42:                              ;   in Loop: Header=BB37_30 Depth=1
	s_or_b32 exec_lo, exec_lo, s3
	v_lshlrev_b32_e32 v21, 2, v31
	s_mov_b32 s3, exec_lo
	v_cmpx_lt_i64_e64 v[17:18], v[23:24]
	s_cbranch_execz .LBB37_44
; %bb.43:                               ;   in Loop: Header=BB37_30 Depth=1
	s_delay_alu instid0(VALU_DEP_2)
	v_dual_mov_b32 v22, s25 :: v_dual_add_nc_u32 v25, 8, v21
	v_mov_b32_e32 v26, s25
	flat_load_b32 v27, v[21:22] glc dlc
	s_waitcnt vmcnt(0)
	flat_load_b32 v25, v[25:26] glc dlc
	s_waitcnt vmcnt(0) lgkmcnt(0)
	v_dual_max_f32 v26, v27, v27 :: v_dual_max_f32 v25, v25, v25
	s_delay_alu instid0(VALU_DEP_1)
	v_max_f32_e32 v25, v26, v25
	flat_store_b32 v[21:22], v25 dlc
	s_waitcnt_vscnt null, 0x0
.LBB37_44:                              ;   in Loop: Header=BB37_30 Depth=1
	s_or_b32 exec_lo, exec_lo, s3
	s_delay_alu instid0(SALU_CYCLE_1)
	s_mov_b32 s3, exec_lo
	v_cmpx_lt_i64_e64 v[19:20], v[23:24]
	s_cbranch_execz .LBB37_28
; %bb.45:                               ;   in Loop: Header=BB37_30 Depth=1
	v_dual_mov_b32 v22, s25 :: v_dual_add_nc_u32 v23, 4, v21
	v_mov_b32_e32 v24, s25
	flat_load_b32 v25, v[21:22] glc dlc
	s_waitcnt vmcnt(0)
	flat_load_b32 v23, v[23:24] glc dlc
	s_waitcnt vmcnt(0) lgkmcnt(0)
	v_dual_max_f32 v24, v25, v25 :: v_dual_max_f32 v23, v23, v23
	s_delay_alu instid0(VALU_DEP_1)
	v_max_f32_e32 v23, v24, v23
	flat_store_b32 v[21:22], v23 dlc
	s_waitcnt_vscnt null, 0x0
	s_branch .LBB37_28
.LBB37_46:
	s_load_b64 s[12:13], s[0:1], 0x40
	v_cmp_lt_i64_e32 vcc_lo, v[7:8], v[5:6]
	v_cmp_eq_u32_e64 s3, 0, v3
	s_waitcnt lgkmcnt(0)
	s_barrier
	buffer_gl0_inv
	s_and_b32 s9, s3, vcc_lo
	s_delay_alu instid0(SALU_CYCLE_1)
	s_and_saveexec_b32 s3, s9
	s_cbranch_execz .LBB37_53
; %bb.47:
	s_load_b64 s[0:1], s[0:1], 0x20
	ds_load_b32 v5, v29
	s_waitcnt lgkmcnt(0)
	s_cmp_eq_u64 s[0:1], 0
	s_cbranch_scc1 .LBB37_49
; %bb.48:
	s_load_b32 s0, s[0:1], 0x0
	v_max_f32_e32 v3, v5, v5
	s_waitcnt lgkmcnt(0)
	v_max_f32_e64 v4, s0, s0
	s_delay_alu instid0(VALU_DEP_1)
	v_min_f32_e32 v5, v3, v4
.LBB37_49:
	s_add_u32 s0, s12, s29
	s_addc_u32 s1, s13, 0
	s_add_u32 s18, s0, -1
	s_addc_u32 s19, s1, -1
	s_delay_alu instid0(SALU_CYCLE_1) | instskip(SKIP_1) | instid1(SALU_CYCLE_1)
	s_or_b64 s[20:21], s[18:19], s[12:13]
	s_mov_b32 s20, 0
	s_cmp_lg_u64 s[20:21], 0
	s_cbranch_scc0 .LBB37_194
; %bb.50:
	s_ashr_i32 s0, s13, 31
	s_delay_alu instid0(SALU_CYCLE_1) | instskip(SKIP_2) | instid1(SALU_CYCLE_1)
	s_add_u32 s22, s12, s0
	s_mov_b32 s1, s0
	s_addc_u32 s23, s13, s0
	s_xor_b64 s[0:1], s[22:23], s[0:1]
	s_delay_alu instid0(SALU_CYCLE_1) | instskip(SKIP_3) | instid1(VALU_DEP_1)
	v_cvt_f32_u32_e32 v3, s0
	v_cvt_f32_u32_e32 v4, s1
	s_sub_u32 s22, 0, s0
	s_subb_u32 s23, 0, s1
	v_fmamk_f32 v3, v4, 0x4f800000, v3
	s_delay_alu instid0(VALU_DEP_1) | instskip(SKIP_2) | instid1(VALU_DEP_1)
	v_rcp_f32_e32 v3, v3
	s_waitcnt_depctr 0xfff
	v_mul_f32_e32 v3, 0x5f7ffffc, v3
	v_mul_f32_e32 v4, 0x2f800000, v3
	s_delay_alu instid0(VALU_DEP_1) | instskip(NEXT) | instid1(VALU_DEP_1)
	v_trunc_f32_e32 v4, v4
	v_fmamk_f32 v3, v4, 0xcf800000, v3
	v_cvt_u32_f32_e32 v4, v4
	s_delay_alu instid0(VALU_DEP_2) | instskip(NEXT) | instid1(VALU_DEP_2)
	v_cvt_u32_f32_e32 v3, v3
	v_readfirstlane_b32 s9, v4
	s_delay_alu instid0(VALU_DEP_2) | instskip(NEXT) | instid1(VALU_DEP_2)
	v_readfirstlane_b32 s21, v3
	s_mul_i32 s24, s22, s9
	s_delay_alu instid0(VALU_DEP_1)
	s_mul_hi_u32 s30, s22, s21
	s_mul_i32 s25, s23, s21
	s_add_i32 s24, s30, s24
	s_mul_i32 s31, s22, s21
	s_add_i32 s24, s24, s25
	s_mul_hi_u32 s30, s21, s31
	s_mul_hi_u32 s33, s9, s31
	s_mul_i32 s25, s9, s31
	s_mul_hi_u32 s31, s21, s24
	s_mul_i32 s21, s21, s24
	s_mul_hi_u32 s34, s9, s24
	s_add_u32 s21, s30, s21
	s_addc_u32 s30, 0, s31
	s_add_u32 s21, s21, s25
	s_mul_i32 s24, s9, s24
	s_addc_u32 s21, s30, s33
	s_addc_u32 s25, s34, 0
	s_add_u32 s21, s21, s24
	s_addc_u32 s24, 0, s25
	v_add_co_u32 v3, s21, v3, s21
	s_delay_alu instid0(VALU_DEP_1) | instskip(SKIP_1) | instid1(VALU_DEP_1)
	s_cmp_lg_u32 s21, 0
	s_addc_u32 s9, s9, s24
	v_readfirstlane_b32 s21, v3
	s_mul_i32 s24, s22, s9
	s_delay_alu instid0(VALU_DEP_1)
	s_mul_hi_u32 s25, s22, s21
	s_mul_i32 s23, s23, s21
	s_add_i32 s24, s25, s24
	s_mul_i32 s22, s22, s21
	s_add_i32 s24, s24, s23
	s_mul_hi_u32 s25, s9, s22
	s_mul_i32 s30, s9, s22
	s_mul_hi_u32 s22, s21, s22
	s_mul_hi_u32 s31, s21, s24
	s_mul_i32 s21, s21, s24
	s_mul_hi_u32 s23, s9, s24
	s_add_u32 s21, s22, s21
	s_addc_u32 s22, 0, s31
	s_add_u32 s21, s21, s30
	s_mul_i32 s24, s9, s24
	s_addc_u32 s21, s22, s25
	s_addc_u32 s22, s23, 0
	s_add_u32 s21, s21, s24
	s_addc_u32 s22, 0, s22
	v_add_co_u32 v3, s21, v3, s21
	s_delay_alu instid0(VALU_DEP_1) | instskip(SKIP_2) | instid1(VALU_DEP_1)
	s_cmp_lg_u32 s21, 0
	s_addc_u32 s9, s9, s22
	s_ashr_i32 s22, s19, 31
	v_readfirstlane_b32 s21, v3
	s_add_u32 s24, s18, s22
	s_mov_b32 s23, s22
	s_addc_u32 s25, s19, s22
	s_delay_alu instid0(SALU_CYCLE_1) | instskip(NEXT) | instid1(SALU_CYCLE_1)
	s_xor_b64 s[24:25], s[24:25], s[22:23]
	s_mul_i32 s30, s24, s9
	s_mul_hi_u32 s31, s24, s21
	s_mul_hi_u32 s23, s24, s9
	;; [unrolled: 1-line block ×3, first 2 shown]
	s_mul_i32 s21, s25, s21
	s_add_u32 s30, s31, s30
	s_addc_u32 s23, 0, s23
	s_mul_hi_u32 s33, s25, s9
	s_add_u32 s21, s30, s21
	s_mul_i32 s9, s25, s9
	s_addc_u32 s21, s23, s34
	s_addc_u32 s23, s33, 0
	s_add_u32 s9, s21, s9
	s_addc_u32 s21, 0, s23
	s_mul_hi_u32 s23, s0, s9
	s_mul_i32 s21, s0, s21
	s_mul_i32 s30, s1, s9
	;; [unrolled: 1-line block ×3, first 2 shown]
	s_add_i32 s21, s23, s21
	v_sub_co_u32 v3, s9, s24, s9
	s_add_i32 s21, s21, s30
	s_delay_alu instid0(SALU_CYCLE_1) | instskip(SKIP_1) | instid1(VALU_DEP_1)
	s_sub_i32 s23, s25, s21
	s_cmp_lg_u32 s9, 0
	v_sub_co_u32 v4, s24, v3, s0
	s_subb_u32 s23, s23, s1
	s_cmp_lg_u32 s24, 0
	s_subb_u32 s30, s23, 0
	s_delay_alu instid0(VALU_DEP_1)
	v_cmp_le_u32_e32 vcc_lo, s0, v4
	s_cmp_ge_u32 s30, s1
	s_cselect_b32 s31, -1, 0
	s_cmp_eq_u32 s30, s1
	v_cndmask_b32_e64 v6, 0, -1, vcc_lo
	s_cselect_b32 vcc_lo, -1, 0
	s_cmp_lg_u32 s24, 0
	v_sub_co_u32 v7, s24, v4, s0
	s_subb_u32 s23, s23, s1
	s_cmp_lg_u32 s24, 0
	v_cndmask_b32_e32 v6, s31, v6, vcc_lo
	s_subb_u32 s23, s23, 0
	s_cmp_lg_u32 s9, 0
	v_cmp_le_u32_e32 vcc_lo, s0, v3
	s_subb_u32 s9, s25, s21
	s_delay_alu instid0(SALU_CYCLE_1)
	s_cmp_ge_u32 s9, s1
	v_cndmask_b32_e64 v8, 0, -1, vcc_lo
	s_cselect_b32 s21, -1, 0
	s_cmp_eq_u32 s9, s1
	v_cmp_ne_u32_e32 vcc_lo, 0, v6
	v_mov_b32_e32 v6, s23
	s_cselect_b32 s0, -1, 0
	s_delay_alu instid0(SALU_CYCLE_1) | instskip(SKIP_1) | instid1(VALU_DEP_3)
	v_cndmask_b32_e64 v8, s21, v8, s0
	v_cndmask_b32_e32 v4, v4, v7, vcc_lo
	v_cndmask_b32_e32 v6, s30, v6, vcc_lo
	s_delay_alu instid0(VALU_DEP_3) | instskip(NEXT) | instid1(VALU_DEP_3)
	v_cmp_ne_u32_e32 vcc_lo, 0, v8
	v_cndmask_b32_e32 v3, v3, v4, vcc_lo
	s_delay_alu instid0(VALU_DEP_3) | instskip(NEXT) | instid1(VALU_DEP_2)
	v_cndmask_b32_e32 v6, s9, v6, vcc_lo
	v_xor_b32_e32 v3, s22, v3
	s_delay_alu instid0(VALU_DEP_2) | instskip(NEXT) | instid1(VALU_DEP_2)
	v_xor_b32_e32 v4, s22, v6
	v_sub_co_u32 v3, vcc_lo, v3, s22
	s_delay_alu instid0(VALU_DEP_2)
	v_subrev_co_ci_u32_e32 v4, vcc_lo, s22, v4, vcc_lo
	s_and_not1_b32 vcc_lo, exec_lo, s20
	s_cbranch_vccnz .LBB37_52
.LBB37_51:
	v_cvt_f32_u32_e32 v3, s12
	s_sub_i32 s0, 0, s12
	s_delay_alu instid0(VALU_DEP_1) | instskip(SKIP_2) | instid1(VALU_DEP_1)
	v_rcp_iflag_f32_e32 v3, v3
	s_waitcnt_depctr 0xfff
	v_mul_f32_e32 v3, 0x4f7ffffe, v3
	v_cvt_u32_f32_e32 v3, v3
	s_delay_alu instid0(VALU_DEP_1) | instskip(NEXT) | instid1(VALU_DEP_1)
	v_mul_lo_u32 v4, s0, v3
	v_mul_hi_u32 v4, v3, v4
	s_delay_alu instid0(VALU_DEP_1) | instskip(NEXT) | instid1(VALU_DEP_1)
	v_add_nc_u32_e32 v3, v3, v4
	v_mul_hi_u32 v3, s18, v3
	s_delay_alu instid0(VALU_DEP_1) | instskip(NEXT) | instid1(VALU_DEP_1)
	v_mul_lo_u32 v3, v3, s12
	v_sub_nc_u32_e32 v3, s18, v3
	s_delay_alu instid0(VALU_DEP_1) | instskip(SKIP_1) | instid1(VALU_DEP_2)
	v_subrev_nc_u32_e32 v4, s12, v3
	v_cmp_le_u32_e32 vcc_lo, s12, v3
	v_cndmask_b32_e32 v3, v3, v4, vcc_lo
	s_delay_alu instid0(VALU_DEP_1) | instskip(SKIP_1) | instid1(VALU_DEP_2)
	v_subrev_nc_u32_e32 v4, s12, v3
	v_cmp_le_u32_e32 vcc_lo, s12, v3
	v_dual_cndmask_b32 v3, v3, v4 :: v_dual_mov_b32 v4, 0
.LBB37_52:
	v_div_scale_f32 v6, null, 0x43600000, 0x43600000, v5
	v_div_scale_f32 v9, vcc_lo, v5, 0x43600000, v5
	s_delay_alu instid0(VALU_DEP_3) | instskip(NEXT) | instid1(VALU_DEP_3)
	v_sub_co_u32 v10, s0, s18, v3
	v_rcp_f32_e32 v7, v6
	v_sub_co_ci_u32_e64 v3, s0, s19, v4, s0
	s_lshl_b64 s[0:1], s[16:17], 2
	s_delay_alu instid0(SALU_CYCLE_1) | instskip(NEXT) | instid1(VALU_DEP_1)
	s_add_u32 s0, s0, s6
	v_mul_lo_u32 v11, v3, v1
	s_addc_u32 s1, s1, s7
	s_waitcnt_depctr 0xfff
	v_fma_f32 v8, -v6, v7, 1.0
	s_delay_alu instid0(VALU_DEP_1) | instskip(NEXT) | instid1(VALU_DEP_1)
	v_fmac_f32_e32 v7, v8, v7
	v_mul_f32_e32 v8, v9, v7
	s_delay_alu instid0(VALU_DEP_1) | instskip(NEXT) | instid1(VALU_DEP_1)
	v_fma_f32 v4, -v6, v8, v9
	v_fmac_f32_e32 v8, v4, v7
	v_mul_lo_u32 v4, v10, v2
	v_mad_u64_u32 v[2:3], null, v10, v1, 0
	s_delay_alu instid0(VALU_DEP_3) | instskip(NEXT) | instid1(VALU_DEP_2)
	v_fma_f32 v1, -v6, v8, v9
	v_add3_u32 v3, v3, v4, v11
	s_delay_alu instid0(VALU_DEP_2) | instskip(NEXT) | instid1(VALU_DEP_1)
	v_div_fmas_f32 v1, v1, v7, v8
	v_div_fixup_f32 v4, v1, 0x43600000, v5
	s_delay_alu instid0(VALU_DEP_3) | instskip(NEXT) | instid1(VALU_DEP_2)
	v_lshlrev_b64 v[1:2], 2, v[2:3]
	v_max_f32_e32 v3, 0x37124925, v4
	s_delay_alu instid0(VALU_DEP_2) | instskip(NEXT) | instid1(VALU_DEP_3)
	v_add_co_u32 v1, vcc_lo, s0, v1
	v_add_co_ci_u32_e32 v2, vcc_lo, s1, v2, vcc_lo
	global_store_b32 v[1:2], v3, off
.LBB37_53:
	s_or_b32 exec_lo, exec_lo, s3
	s_waitcnt_vscnt null, 0x0
	s_barrier
	buffer_gl0_inv
	s_and_saveexec_b32 s0, s2
	s_cbranch_execz .LBB37_193
; %bb.54:
	s_add_u32 s0, s12, s29
	s_addc_u32 s1, s13, 0
	s_add_u32 s2, s0, -1
	s_addc_u32 s3, s1, -1
	s_delay_alu instid0(SALU_CYCLE_1) | instskip(SKIP_1) | instid1(SALU_CYCLE_1)
	s_or_b64 s[18:19], s[2:3], s[12:13]
	s_mov_b32 s18, 0
	s_cmp_lg_u64 s[18:19], 0
	s_cbranch_scc0 .LBB37_195
; %bb.55:
	s_ashr_i32 s0, s13, 31
	s_delay_alu instid0(SALU_CYCLE_1) | instskip(SKIP_2) | instid1(SALU_CYCLE_1)
	s_add_u32 s20, s12, s0
	s_mov_b32 s1, s0
	s_addc_u32 s21, s13, s0
	s_xor_b64 s[0:1], s[20:21], s[0:1]
	s_delay_alu instid0(SALU_CYCLE_1) | instskip(SKIP_3) | instid1(VALU_DEP_1)
	v_cvt_f32_u32_e32 v1, s0
	v_cvt_f32_u32_e32 v2, s1
	s_sub_u32 s19, 0, s0
	s_subb_u32 s20, 0, s1
	v_fmamk_f32 v1, v2, 0x4f800000, v1
	s_delay_alu instid0(VALU_DEP_1) | instskip(SKIP_2) | instid1(VALU_DEP_1)
	v_rcp_f32_e32 v1, v1
	s_waitcnt_depctr 0xfff
	v_mul_f32_e32 v1, 0x5f7ffffc, v1
	v_mul_f32_e32 v2, 0x2f800000, v1
	s_delay_alu instid0(VALU_DEP_1) | instskip(NEXT) | instid1(VALU_DEP_1)
	v_trunc_f32_e32 v2, v2
	v_fmamk_f32 v1, v2, 0xcf800000, v1
	v_cvt_u32_f32_e32 v2, v2
	s_delay_alu instid0(VALU_DEP_2) | instskip(NEXT) | instid1(VALU_DEP_2)
	v_cvt_u32_f32_e32 v1, v1
	v_readfirstlane_b32 s9, v2
	s_delay_alu instid0(VALU_DEP_2) | instskip(NEXT) | instid1(VALU_DEP_2)
	v_readfirstlane_b32 s13, v1
	s_mul_i32 s21, s19, s9
	s_delay_alu instid0(VALU_DEP_1)
	s_mul_hi_u32 s23, s19, s13
	s_mul_i32 s22, s20, s13
	s_add_i32 s21, s23, s21
	s_mul_i32 s24, s19, s13
	s_add_i32 s21, s21, s22
	s_mul_hi_u32 s23, s13, s24
	s_mul_hi_u32 s25, s9, s24
	s_mul_i32 s22, s9, s24
	s_mul_hi_u32 s24, s13, s21
	s_mul_i32 s13, s13, s21
	s_mul_hi_u32 s29, s9, s21
	s_add_u32 s13, s23, s13
	s_addc_u32 s23, 0, s24
	s_add_u32 s13, s13, s22
	s_mul_i32 s21, s9, s21
	s_addc_u32 s13, s23, s25
	s_addc_u32 s22, s29, 0
	s_add_u32 s13, s13, s21
	s_addc_u32 s21, 0, s22
	v_add_co_u32 v1, s13, v1, s13
	s_delay_alu instid0(VALU_DEP_1) | instskip(SKIP_1) | instid1(VALU_DEP_1)
	s_cmp_lg_u32 s13, 0
	s_addc_u32 s9, s9, s21
	v_readfirstlane_b32 s13, v1
	s_mul_i32 s21, s19, s9
	s_delay_alu instid0(VALU_DEP_1)
	s_mul_hi_u32 s22, s19, s13
	s_mul_i32 s20, s20, s13
	s_add_i32 s21, s22, s21
	s_mul_i32 s19, s19, s13
	s_add_i32 s21, s21, s20
	s_mul_hi_u32 s22, s9, s19
	s_mul_i32 s23, s9, s19
	s_mul_hi_u32 s19, s13, s19
	s_mul_hi_u32 s24, s13, s21
	s_mul_i32 s13, s13, s21
	s_mul_hi_u32 s20, s9, s21
	s_add_u32 s13, s19, s13
	s_addc_u32 s19, 0, s24
	s_add_u32 s13, s13, s23
	s_mul_i32 s21, s9, s21
	s_addc_u32 s13, s19, s22
	s_addc_u32 s19, s20, 0
	s_add_u32 s13, s13, s21
	s_addc_u32 s19, 0, s19
	v_add_co_u32 v1, s13, v1, s13
	s_delay_alu instid0(VALU_DEP_1) | instskip(SKIP_2) | instid1(VALU_DEP_1)
	s_cmp_lg_u32 s13, 0
	s_addc_u32 s9, s9, s19
	s_ashr_i32 s20, s3, 31
	v_readfirstlane_b32 s13, v1
	s_add_u32 s22, s2, s20
	s_mov_b32 s21, s20
	s_addc_u32 s23, s3, s20
	s_delay_alu instid0(SALU_CYCLE_1) | instskip(NEXT) | instid1(SALU_CYCLE_1)
	s_xor_b64 s[22:23], s[22:23], s[20:21]
	s_mul_i32 s21, s22, s9
	s_mul_hi_u32 s24, s22, s13
	s_mul_hi_u32 s19, s22, s9
	;; [unrolled: 1-line block ×3, first 2 shown]
	s_mul_i32 s13, s23, s13
	s_add_u32 s21, s24, s21
	s_addc_u32 s19, 0, s19
	s_mul_hi_u32 s25, s23, s9
	s_add_u32 s13, s21, s13
	s_mul_i32 s9, s23, s9
	s_addc_u32 s13, s19, s29
	s_addc_u32 s19, s25, 0
	s_add_u32 s9, s13, s9
	s_addc_u32 s13, 0, s19
	s_mul_hi_u32 s19, s0, s9
	s_mul_i32 s13, s0, s13
	s_mul_i32 s21, s1, s9
	;; [unrolled: 1-line block ×3, first 2 shown]
	s_add_i32 s13, s19, s13
	v_sub_co_u32 v1, s9, s22, s9
	s_add_i32 s13, s13, s21
	s_delay_alu instid0(SALU_CYCLE_1) | instskip(SKIP_1) | instid1(VALU_DEP_1)
	s_sub_i32 s19, s23, s13
	s_cmp_lg_u32 s9, 0
	v_sub_co_u32 v2, s21, v1, s0
	s_subb_u32 s19, s19, s1
	s_cmp_lg_u32 s21, 0
	s_subb_u32 s22, s19, 0
	s_delay_alu instid0(VALU_DEP_1)
	v_cmp_le_u32_e32 vcc_lo, s0, v2
	s_cmp_ge_u32 s22, s1
	s_cselect_b32 s24, -1, 0
	s_cmp_eq_u32 s22, s1
	v_cndmask_b32_e64 v3, 0, -1, vcc_lo
	s_cselect_b32 vcc_lo, -1, 0
	s_cmp_lg_u32 s21, 0
	v_sub_co_u32 v4, s21, v2, s0
	s_subb_u32 s19, s19, s1
	s_cmp_lg_u32 s21, 0
	v_cndmask_b32_e32 v3, s24, v3, vcc_lo
	s_subb_u32 s19, s19, 0
	s_cmp_lg_u32 s9, 0
	v_cmp_le_u32_e32 vcc_lo, s0, v1
	s_subb_u32 s9, s23, s13
	s_delay_alu instid0(SALU_CYCLE_1)
	s_cmp_ge_u32 s9, s1
	v_cndmask_b32_e64 v5, 0, -1, vcc_lo
	s_cselect_b32 s13, -1, 0
	s_cmp_eq_u32 s9, s1
	v_cmp_ne_u32_e32 vcc_lo, 0, v3
	v_mov_b32_e32 v3, s19
	s_cselect_b32 s0, -1, 0
	s_delay_alu instid0(SALU_CYCLE_1) | instskip(SKIP_1) | instid1(VALU_DEP_3)
	v_cndmask_b32_e64 v5, s13, v5, s0
	v_cndmask_b32_e32 v2, v2, v4, vcc_lo
	v_cndmask_b32_e32 v3, s22, v3, vcc_lo
	s_delay_alu instid0(VALU_DEP_3) | instskip(NEXT) | instid1(VALU_DEP_3)
	v_cmp_ne_u32_e32 vcc_lo, 0, v5
	v_cndmask_b32_e32 v1, v1, v2, vcc_lo
	s_delay_alu instid0(VALU_DEP_3) | instskip(NEXT) | instid1(VALU_DEP_2)
	v_cndmask_b32_e32 v3, s9, v3, vcc_lo
	v_xor_b32_e32 v1, s20, v1
	s_delay_alu instid0(VALU_DEP_2) | instskip(NEXT) | instid1(VALU_DEP_2)
	v_xor_b32_e32 v2, s20, v3
	v_sub_co_u32 v1, vcc_lo, v1, s20
	s_delay_alu instid0(VALU_DEP_2)
	v_subrev_co_ci_u32_e32 v2, vcc_lo, s20, v2, vcc_lo
	s_and_not1_b32 vcc_lo, exec_lo, s18
	s_cbranch_vccnz .LBB37_57
.LBB37_56:
	v_cvt_f32_u32_e32 v1, s12
	s_sub_i32 s0, 0, s12
	s_delay_alu instid0(VALU_DEP_1) | instskip(SKIP_2) | instid1(VALU_DEP_1)
	v_rcp_iflag_f32_e32 v1, v1
	s_waitcnt_depctr 0xfff
	v_mul_f32_e32 v1, 0x4f7ffffe, v1
	v_cvt_u32_f32_e32 v1, v1
	s_delay_alu instid0(VALU_DEP_1) | instskip(NEXT) | instid1(VALU_DEP_1)
	v_mul_lo_u32 v2, s0, v1
	v_mul_hi_u32 v2, v1, v2
	s_delay_alu instid0(VALU_DEP_1) | instskip(NEXT) | instid1(VALU_DEP_1)
	v_add_nc_u32_e32 v1, v1, v2
	v_mul_hi_u32 v1, s2, v1
	s_delay_alu instid0(VALU_DEP_1) | instskip(NEXT) | instid1(VALU_DEP_1)
	v_mul_lo_u32 v1, v1, s12
	v_sub_nc_u32_e32 v1, s2, v1
	s_delay_alu instid0(VALU_DEP_1) | instskip(SKIP_1) | instid1(VALU_DEP_2)
	v_subrev_nc_u32_e32 v2, s12, v1
	v_cmp_le_u32_e32 vcc_lo, s12, v1
	v_cndmask_b32_e32 v1, v1, v2, vcc_lo
	s_delay_alu instid0(VALU_DEP_1) | instskip(SKIP_1) | instid1(VALU_DEP_2)
	v_subrev_nc_u32_e32 v2, s12, v1
	v_cmp_le_u32_e32 vcc_lo, s12, v1
	v_dual_cndmask_b32 v1, v1, v2 :: v_dual_mov_b32 v2, 0
.LBB37_57:
	s_mul_i32 s0, s15, s16
	s_mul_hi_u32 s1, s14, s16
	s_mul_i32 s9, s14, s16
	s_add_i32 s1, s1, s0
	v_sub_co_u32 v13, vcc_lo, s2, v1
	s_add_u32 s0, s4, s9
	s_addc_u32 s1, s5, s1
	s_lshl_b64 s[4:5], s[16:17], 2
	v_sub_co_ci_u32_e32 v14, vcc_lo, s3, v2, vcc_lo
	v_mov_b32_e32 v1, 0
	s_add_u32 s4, s6, s4
	s_addc_u32 s5, s7, s5
	s_mul_i32 s2, s28, 3
	s_lshl_b32 s3, s28, 1
	s_mov_b32 s6, 0
	s_mov_b32 s7, 0x43600000
	s_branch .LBB37_63
.LBB37_58:                              ;   in Loop: Header=BB37_63 Depth=1
	s_or_b32 exec_lo, exec_lo, s16
.LBB37_59:                              ;   in Loop: Header=BB37_63 Depth=1
	s_delay_alu instid0(SALU_CYCLE_1)
	s_or_b32 exec_lo, exec_lo, s14
	v_lshlrev_b32_e32 v7, 16, v4
	v_lshlrev_b64 v[4:5], 2, v[0:1]
	v_lshlrev_b32_e32 v6, 8, v6
	s_add_i32 s14, s28, s28
	v_and_b32_e32 v8, 0xff, v2
	v_add3_u32 v0, s14, s28, v10
	v_perm_b32 v7, v3, v7, 0x4020c0c
	v_and_b32_e32 v6, 0xff00, v6
	v_add_co_u32 v2, vcc_lo, s0, v4
	v_add_co_ci_u32_e32 v3, vcc_lo, s1, v5, vcc_lo
	v_cmp_le_u32_e32 vcc_lo, s8, v0
	s_delay_alu instid0(VALU_DEP_4)
	v_or3_b32 v4, v7, v6, v8
	s_or_not1_b32 s14, vcc_lo, exec_lo
	global_store_b32 v[2:3], v4, off
.LBB37_60:                              ;   in Loop: Header=BB37_63 Depth=1
	s_or_b32 exec_lo, exec_lo, s13
	s_delay_alu instid0(SALU_CYCLE_1)
	s_or_not1_b32 s13, s14, exec_lo
.LBB37_61:                              ;   in Loop: Header=BB37_63 Depth=1
	s_or_b32 exec_lo, exec_lo, s12
	s_delay_alu instid0(SALU_CYCLE_1)
	s_or_not1_b32 s12, s13, exec_lo
.LBB37_62:                              ;   in Loop: Header=BB37_63 Depth=1
	s_or_b32 exec_lo, exec_lo, s9
	s_delay_alu instid0(SALU_CYCLE_1) | instskip(NEXT) | instid1(SALU_CYCLE_1)
	s_and_b32 s9, exec_lo, s12
	s_or_b32 s6, s9, s6
	s_delay_alu instid0(SALU_CYCLE_1)
	s_and_not1_b32 exec_lo, exec_lo, s6
	s_cbranch_execz .LBB37_193
.LBB37_63:                              ; =>This Inner Loop Header: Depth=1
	v_bfe_u32 v8, v0, 4, 26
	v_lshlrev_b64 v[4:5], 4, v[0:1]
	s_mov_b32 s9, exec_lo
	s_delay_alu instid0(VALU_DEP_2) | instskip(NEXT) | instid1(VALU_DEP_1)
	v_mad_u64_u32 v[2:3], null, v13, v8, 0
	v_mad_u64_u32 v[6:7], null, v14, v8, v[3:4]
	v_add_co_u32 v7, vcc_lo, s26, v4
	s_delay_alu instid0(VALU_DEP_4) | instskip(SKIP_1) | instid1(VALU_DEP_4)
	v_add_co_ci_u32_e32 v8, vcc_lo, s27, v5, vcc_lo
	v_add_co_u32 v9, vcc_lo, s10, v4
	v_mov_b32_e32 v3, v6
	v_add_co_ci_u32_e32 v10, vcc_lo, s11, v5, vcc_lo
	s_delay_alu instid0(VALU_DEP_2)
	v_lshlrev_b64 v[11:12], 2, v[2:3]
	global_load_b128 v[2:5], v[7:8], off
	global_load_b128 v[6:9], v[9:10], off
	v_add_co_u32 v10, vcc_lo, s4, v11
	v_add_co_ci_u32_e32 v11, vcc_lo, s5, v12, vcc_lo
	global_load_b32 v10, v[10:11], off
	s_waitcnt vmcnt(2)
	v_mul_f32_e32 v2, v28, v2
	s_waitcnt vmcnt(1)
	s_delay_alu instid0(VALU_DEP_1) | instskip(SKIP_1) | instid1(VALU_DEP_1)
	v_mul_f32_e32 v2, v2, v6
	s_waitcnt vmcnt(0)
	v_div_scale_f32 v6, null, v10, v10, v2
	s_delay_alu instid0(VALU_DEP_1) | instskip(SKIP_2) | instid1(VALU_DEP_1)
	v_rcp_f32_e32 v11, v6
	s_waitcnt_depctr 0xfff
	v_fma_f32 v12, -v6, v11, 1.0
	v_fmac_f32_e32 v11, v12, v11
	v_div_scale_f32 v15, vcc_lo, v2, v10, v2
	s_delay_alu instid0(VALU_DEP_1) | instskip(NEXT) | instid1(VALU_DEP_1)
	v_mul_f32_e32 v12, v15, v11
	v_fma_f32 v16, -v6, v12, v15
	s_delay_alu instid0(VALU_DEP_1) | instskip(NEXT) | instid1(VALU_DEP_1)
	v_fmac_f32_e32 v12, v16, v11
	v_fma_f32 v6, -v6, v12, v15
	s_delay_alu instid0(VALU_DEP_1) | instskip(NEXT) | instid1(VALU_DEP_1)
	v_div_fmas_f32 v6, v6, v11, v12
	v_div_fixup_f32 v2, v6, v10, v2
	v_mov_b32_e32 v6, 0x80
	s_delay_alu instid0(VALU_DEP_2) | instskip(SKIP_1) | instid1(VALU_DEP_2)
	v_minmax_f32 v11, v2, s7, 0xc3600000
	v_mov_b32_e32 v2, 0x80
	v_and_b32_e32 v12, 0x7fffffff, v11
	s_delay_alu instid0(VALU_DEP_1)
	v_cmpx_gt_u32_e32 0x43800000, v12
	s_cbranch_execz .LBB37_69
; %bb.64:                               ;   in Loop: Header=BB37_63 Depth=1
	v_cmp_lt_u32_e32 vcc_lo, 0x3bffffff, v12
	s_mov_b32 s12, 0
                                        ; implicit-def: $vgpr12
	s_and_saveexec_b32 s13, vcc_lo
	s_delay_alu instid0(SALU_CYCLE_1)
	s_xor_b32 s13, exec_lo, s13
	s_cbranch_execnz .LBB37_160
; %bb.65:                               ;   in Loop: Header=BB37_63 Depth=1
	s_or_saveexec_b32 s13, s13
                                        ; implicit-def: $sgpr14
	s_delay_alu instid0(SALU_CYCLE_1)
	s_xor_b32 exec_lo, exec_lo, s13
	s_cbranch_execnz .LBB37_161
.LBB37_66:                              ;   in Loop: Header=BB37_63 Depth=1
	s_or_b32 exec_lo, exec_lo, s13
	v_mov_b32_e32 v6, s14
	s_and_saveexec_b32 s13, s12
.LBB37_67:                              ;   in Loop: Header=BB37_63 Depth=1
	v_lshrrev_b32_e32 v6, 24, v11
	s_delay_alu instid0(VALU_DEP_1)
	v_and_or_b32 v6, 0x80, v6, v12
.LBB37_68:                              ;   in Loop: Header=BB37_63 Depth=1
	s_or_b32 exec_lo, exec_lo, s13
.LBB37_69:                              ;   in Loop: Header=BB37_63 Depth=1
	s_delay_alu instid0(SALU_CYCLE_1) | instskip(SKIP_2) | instid1(VALU_DEP_1)
	s_or_b32 exec_lo, exec_lo, s9
	v_mul_f32_e32 v3, v28, v3
	s_mov_b32 s9, exec_lo
	v_mul_f32_e32 v3, v3, v7
	s_delay_alu instid0(VALU_DEP_1) | instskip(NEXT) | instid1(VALU_DEP_1)
	v_div_scale_f32 v7, null, v10, v10, v3
	v_rcp_f32_e32 v11, v7
	s_waitcnt_depctr 0xfff
	v_fma_f32 v12, -v7, v11, 1.0
	s_delay_alu instid0(VALU_DEP_1) | instskip(SKIP_1) | instid1(VALU_DEP_1)
	v_fmac_f32_e32 v11, v12, v11
	v_div_scale_f32 v12, vcc_lo, v3, v10, v3
	v_mul_f32_e32 v15, v12, v11
	s_delay_alu instid0(VALU_DEP_1) | instskip(NEXT) | instid1(VALU_DEP_1)
	v_fma_f32 v16, -v7, v15, v12
	v_fmac_f32_e32 v15, v16, v11
	s_delay_alu instid0(VALU_DEP_1) | instskip(NEXT) | instid1(VALU_DEP_1)
	v_fma_f32 v7, -v7, v15, v12
	v_div_fmas_f32 v7, v7, v11, v15
	s_delay_alu instid0(VALU_DEP_1) | instskip(NEXT) | instid1(VALU_DEP_1)
	v_div_fixup_f32 v3, v7, v10, v3
	v_minmax_f32 v3, v3, s7, 0xc3600000
	s_delay_alu instid0(VALU_DEP_1) | instskip(NEXT) | instid1(VALU_DEP_1)
	v_and_b32_e32 v7, 0x7fffffff, v3
	v_cmpx_gt_u32_e32 0x43800000, v7
	s_cbranch_execz .LBB37_75
; %bb.70:                               ;   in Loop: Header=BB37_63 Depth=1
	v_cmp_lt_u32_e32 vcc_lo, 0x3bffffff, v7
	s_mov_b32 s12, 0
                                        ; implicit-def: $vgpr7
	s_and_saveexec_b32 s13, vcc_lo
	s_delay_alu instid0(SALU_CYCLE_1)
	s_xor_b32 s13, exec_lo, s13
	s_cbranch_execnz .LBB37_162
; %bb.71:                               ;   in Loop: Header=BB37_63 Depth=1
	s_or_saveexec_b32 s13, s13
                                        ; implicit-def: $sgpr14
	s_delay_alu instid0(SALU_CYCLE_1)
	s_xor_b32 exec_lo, exec_lo, s13
	s_cbranch_execnz .LBB37_163
.LBB37_72:                              ;   in Loop: Header=BB37_63 Depth=1
	s_or_b32 exec_lo, exec_lo, s13
	v_mov_b32_e32 v2, s14
	s_and_saveexec_b32 s13, s12
.LBB37_73:                              ;   in Loop: Header=BB37_63 Depth=1
	v_lshrrev_b32_e32 v2, 24, v3
	s_delay_alu instid0(VALU_DEP_1)
	v_and_or_b32 v2, 0x80, v2, v7
.LBB37_74:                              ;   in Loop: Header=BB37_63 Depth=1
	s_or_b32 exec_lo, exec_lo, s13
.LBB37_75:                              ;   in Loop: Header=BB37_63 Depth=1
	s_delay_alu instid0(SALU_CYCLE_1) | instskip(SKIP_2) | instid1(VALU_DEP_1)
	s_or_b32 exec_lo, exec_lo, s9
	v_mul_f32_e32 v3, v28, v4
	s_mov_b32 s9, exec_lo
	v_mul_f32_e32 v3, v3, v8
	s_delay_alu instid0(VALU_DEP_1) | instskip(SKIP_1) | instid1(VALU_DEP_2)
	v_div_scale_f32 v4, null, v10, v10, v3
	v_div_scale_f32 v11, vcc_lo, v3, v10, v3
	v_rcp_f32_e32 v7, v4
	s_waitcnt_depctr 0xfff
	v_fma_f32 v8, -v4, v7, 1.0
	s_delay_alu instid0(VALU_DEP_1) | instskip(NEXT) | instid1(VALU_DEP_1)
	v_fmac_f32_e32 v7, v8, v7
	v_mul_f32_e32 v8, v11, v7
	s_delay_alu instid0(VALU_DEP_1) | instskip(NEXT) | instid1(VALU_DEP_1)
	v_fma_f32 v12, -v4, v8, v11
	v_fmac_f32_e32 v8, v12, v7
	s_delay_alu instid0(VALU_DEP_1) | instskip(NEXT) | instid1(VALU_DEP_1)
	v_fma_f32 v4, -v4, v8, v11
	v_div_fmas_f32 v4, v4, v7, v8
	s_delay_alu instid0(VALU_DEP_1) | instskip(SKIP_1) | instid1(VALU_DEP_2)
	v_div_fixup_f32 v3, v4, v10, v3
	v_mov_b32_e32 v4, 0x80
	v_minmax_f32 v7, v3, s7, 0xc3600000
	v_mov_b32_e32 v3, 0x80
	s_delay_alu instid0(VALU_DEP_2) | instskip(NEXT) | instid1(VALU_DEP_1)
	v_and_b32_e32 v8, 0x7fffffff, v7
	v_cmpx_gt_u32_e32 0x43800000, v8
	s_cbranch_execz .LBB37_81
; %bb.76:                               ;   in Loop: Header=BB37_63 Depth=1
	v_cmp_lt_u32_e32 vcc_lo, 0x3bffffff, v8
	s_mov_b32 s12, 0
                                        ; implicit-def: $vgpr8
	s_and_saveexec_b32 s13, vcc_lo
	s_delay_alu instid0(SALU_CYCLE_1)
	s_xor_b32 s13, exec_lo, s13
	s_cbranch_execnz .LBB37_164
; %bb.77:                               ;   in Loop: Header=BB37_63 Depth=1
	s_or_saveexec_b32 s13, s13
                                        ; implicit-def: $sgpr14
	s_delay_alu instid0(SALU_CYCLE_1)
	s_xor_b32 exec_lo, exec_lo, s13
	s_cbranch_execnz .LBB37_165
.LBB37_78:                              ;   in Loop: Header=BB37_63 Depth=1
	s_or_b32 exec_lo, exec_lo, s13
	v_mov_b32_e32 v4, s14
	s_and_saveexec_b32 s13, s12
.LBB37_79:                              ;   in Loop: Header=BB37_63 Depth=1
	v_lshrrev_b32_e32 v4, 24, v7
	s_delay_alu instid0(VALU_DEP_1)
	v_and_or_b32 v4, 0x80, v4, v8
.LBB37_80:                              ;   in Loop: Header=BB37_63 Depth=1
	s_or_b32 exec_lo, exec_lo, s13
.LBB37_81:                              ;   in Loop: Header=BB37_63 Depth=1
	s_delay_alu instid0(SALU_CYCLE_1) | instskip(SKIP_2) | instid1(VALU_DEP_1)
	s_or_b32 exec_lo, exec_lo, s9
	v_mul_f32_e32 v5, v28, v5
	s_mov_b32 s9, exec_lo
	v_mul_f32_e32 v5, v5, v9
	s_delay_alu instid0(VALU_DEP_1) | instskip(NEXT) | instid1(VALU_DEP_1)
	v_div_scale_f32 v7, null, v10, v10, v5
	v_rcp_f32_e32 v8, v7
	s_waitcnt_depctr 0xfff
	v_fma_f32 v9, -v7, v8, 1.0
	s_delay_alu instid0(VALU_DEP_1) | instskip(SKIP_1) | instid1(VALU_DEP_1)
	v_fmac_f32_e32 v8, v9, v8
	v_div_scale_f32 v9, vcc_lo, v5, v10, v5
	v_mul_f32_e32 v11, v9, v8
	s_delay_alu instid0(VALU_DEP_1) | instskip(NEXT) | instid1(VALU_DEP_1)
	v_fma_f32 v12, -v7, v11, v9
	v_fmac_f32_e32 v11, v12, v8
	s_delay_alu instid0(VALU_DEP_1) | instskip(NEXT) | instid1(VALU_DEP_1)
	v_fma_f32 v7, -v7, v11, v9
	v_div_fmas_f32 v7, v7, v8, v11
	s_delay_alu instid0(VALU_DEP_1) | instskip(NEXT) | instid1(VALU_DEP_1)
	v_div_fixup_f32 v5, v7, v10, v5
	v_minmax_f32 v5, v5, s7, 0xc3600000
	s_delay_alu instid0(VALU_DEP_1) | instskip(NEXT) | instid1(VALU_DEP_1)
	v_and_b32_e32 v7, 0x7fffffff, v5
	v_cmpx_gt_u32_e32 0x43800000, v7
	s_cbranch_execz .LBB37_87
; %bb.82:                               ;   in Loop: Header=BB37_63 Depth=1
	v_cmp_lt_u32_e32 vcc_lo, 0x3bffffff, v7
	s_mov_b32 s12, 0
                                        ; implicit-def: $vgpr7
	s_and_saveexec_b32 s13, vcc_lo
	s_delay_alu instid0(SALU_CYCLE_1)
	s_xor_b32 s13, exec_lo, s13
	s_cbranch_execnz .LBB37_166
; %bb.83:                               ;   in Loop: Header=BB37_63 Depth=1
	s_or_saveexec_b32 s13, s13
                                        ; implicit-def: $sgpr14
	s_delay_alu instid0(SALU_CYCLE_1)
	s_xor_b32 exec_lo, exec_lo, s13
	s_cbranch_execnz .LBB37_167
.LBB37_84:                              ;   in Loop: Header=BB37_63 Depth=1
	s_or_b32 exec_lo, exec_lo, s13
	v_mov_b32_e32 v3, s14
	s_and_saveexec_b32 s13, s12
.LBB37_85:                              ;   in Loop: Header=BB37_63 Depth=1
	v_lshrrev_b32_e32 v3, 24, v5
	s_delay_alu instid0(VALU_DEP_1)
	v_and_or_b32 v3, 0x80, v3, v7
.LBB37_86:                              ;   in Loop: Header=BB37_63 Depth=1
	s_or_b32 exec_lo, exec_lo, s13
.LBB37_87:                              ;   in Loop: Header=BB37_63 Depth=1
	s_delay_alu instid0(SALU_CYCLE_1)
	s_or_b32 exec_lo, exec_lo, s9
	v_lshlrev_b32_e32 v7, 16, v4
	v_lshlrev_b32_e32 v2, 8, v2
	v_lshlrev_b64 v[4:5], 2, v[0:1]
	v_and_b32_e32 v6, 0xff, v6
	v_add_nc_u32_e32 v10, s28, v0
	v_perm_b32 v7, v3, v7, 0x4020c0c
	v_and_b32_e32 v8, 0xff00, v2
	s_mov_b32 s12, -1
	v_add_co_u32 v2, vcc_lo, s0, v4
	v_add_co_ci_u32_e32 v3, vcc_lo, s1, v5, vcc_lo
	s_delay_alu instid0(VALU_DEP_3)
	v_or3_b32 v4, v7, v8, v6
	s_mov_b32 s9, exec_lo
	global_store_b32 v[2:3], v4, off
	v_cmpx_gt_u32_e64 s8, v10
	s_cbranch_execz .LBB37_62
; %bb.88:                               ;   in Loop: Header=BB37_63 Depth=1
	v_bfe_u32 v8, v10, 4, 26
	v_mov_b32_e32 v11, v1
	s_mov_b32 s12, exec_lo
	s_delay_alu instid0(VALU_DEP_2) | instskip(NEXT) | instid1(VALU_DEP_2)
	v_mad_u64_u32 v[2:3], null, v13, v8, 0
	v_lshlrev_b64 v[4:5], 4, v[10:11]
	s_delay_alu instid0(VALU_DEP_1) | instskip(SKIP_1) | instid1(VALU_DEP_3)
	v_mad_u64_u32 v[6:7], null, v14, v8, v[3:4]
	v_add_co_u32 v7, vcc_lo, s26, v4
	v_add_co_ci_u32_e32 v8, vcc_lo, s27, v5, vcc_lo
	v_add_co_u32 v15, vcc_lo, s10, v4
	s_delay_alu instid0(VALU_DEP_4) | instskip(SKIP_1) | instid1(VALU_DEP_2)
	v_mov_b32_e32 v3, v6
	v_add_co_ci_u32_e32 v16, vcc_lo, s11, v5, vcc_lo
	v_lshlrev_b64 v[17:18], 2, v[2:3]
	global_load_b128 v[2:5], v[7:8], off
	global_load_b128 v[6:9], v[15:16], off
	v_add_co_u32 v15, vcc_lo, s4, v17
	v_add_co_ci_u32_e32 v16, vcc_lo, s5, v18, vcc_lo
	global_load_b32 v12, v[15:16], off
	s_waitcnt vmcnt(2)
	v_mul_f32_e32 v2, v28, v2
	s_waitcnt vmcnt(1)
	s_delay_alu instid0(VALU_DEP_1) | instskip(SKIP_1) | instid1(VALU_DEP_1)
	v_mul_f32_e32 v2, v2, v6
	s_waitcnt vmcnt(0)
	v_div_scale_f32 v6, null, v12, v12, v2
	s_delay_alu instid0(VALU_DEP_1) | instskip(SKIP_2) | instid1(VALU_DEP_1)
	v_rcp_f32_e32 v15, v6
	s_waitcnt_depctr 0xfff
	v_fma_f32 v16, -v6, v15, 1.0
	v_fmac_f32_e32 v15, v16, v15
	v_div_scale_f32 v17, vcc_lo, v2, v12, v2
	s_delay_alu instid0(VALU_DEP_1) | instskip(NEXT) | instid1(VALU_DEP_1)
	v_mul_f32_e32 v16, v17, v15
	v_fma_f32 v18, -v6, v16, v17
	s_delay_alu instid0(VALU_DEP_1) | instskip(NEXT) | instid1(VALU_DEP_1)
	v_fmac_f32_e32 v16, v18, v15
	v_fma_f32 v6, -v6, v16, v17
	s_delay_alu instid0(VALU_DEP_1) | instskip(NEXT) | instid1(VALU_DEP_1)
	v_div_fmas_f32 v6, v6, v15, v16
	v_div_fixup_f32 v2, v6, v12, v2
	v_mov_b32_e32 v6, 0x80
	s_delay_alu instid0(VALU_DEP_2) | instskip(SKIP_1) | instid1(VALU_DEP_2)
	v_minmax_f32 v15, v2, s7, 0xc3600000
	v_mov_b32_e32 v2, 0x80
	v_and_b32_e32 v16, 0x7fffffff, v15
	s_delay_alu instid0(VALU_DEP_1)
	v_cmpx_gt_u32_e32 0x43800000, v16
	s_cbranch_execz .LBB37_94
; %bb.89:                               ;   in Loop: Header=BB37_63 Depth=1
	v_cmp_lt_u32_e32 vcc_lo, 0x3bffffff, v16
	s_mov_b32 s13, 0
                                        ; implicit-def: $vgpr16
	s_and_saveexec_b32 s14, vcc_lo
	s_delay_alu instid0(SALU_CYCLE_1)
	s_xor_b32 s14, exec_lo, s14
	s_cbranch_execnz .LBB37_168
; %bb.90:                               ;   in Loop: Header=BB37_63 Depth=1
	s_or_saveexec_b32 s14, s14
                                        ; implicit-def: $sgpr15
	s_delay_alu instid0(SALU_CYCLE_1)
	s_xor_b32 exec_lo, exec_lo, s14
	s_cbranch_execnz .LBB37_169
.LBB37_91:                              ;   in Loop: Header=BB37_63 Depth=1
	s_or_b32 exec_lo, exec_lo, s14
	v_mov_b32_e32 v2, s15
	s_and_saveexec_b32 s14, s13
.LBB37_92:                              ;   in Loop: Header=BB37_63 Depth=1
	v_lshrrev_b32_e32 v2, 24, v15
	s_delay_alu instid0(VALU_DEP_1)
	v_and_or_b32 v2, 0x80, v2, v16
.LBB37_93:                              ;   in Loop: Header=BB37_63 Depth=1
	s_or_b32 exec_lo, exec_lo, s14
.LBB37_94:                              ;   in Loop: Header=BB37_63 Depth=1
	s_delay_alu instid0(SALU_CYCLE_1) | instskip(SKIP_2) | instid1(VALU_DEP_1)
	s_or_b32 exec_lo, exec_lo, s12
	v_mul_f32_e32 v3, v28, v3
	s_mov_b32 s12, exec_lo
	v_mul_f32_e32 v3, v3, v7
	s_delay_alu instid0(VALU_DEP_1) | instskip(NEXT) | instid1(VALU_DEP_1)
	v_div_scale_f32 v7, null, v12, v12, v3
	v_rcp_f32_e32 v15, v7
	s_waitcnt_depctr 0xfff
	v_fma_f32 v16, -v7, v15, 1.0
	s_delay_alu instid0(VALU_DEP_1) | instskip(SKIP_1) | instid1(VALU_DEP_1)
	v_fmac_f32_e32 v15, v16, v15
	v_div_scale_f32 v16, vcc_lo, v3, v12, v3
	v_mul_f32_e32 v17, v16, v15
	s_delay_alu instid0(VALU_DEP_1) | instskip(NEXT) | instid1(VALU_DEP_1)
	v_fma_f32 v18, -v7, v17, v16
	v_fmac_f32_e32 v17, v18, v15
	s_delay_alu instid0(VALU_DEP_1) | instskip(NEXT) | instid1(VALU_DEP_1)
	v_fma_f32 v7, -v7, v17, v16
	v_div_fmas_f32 v7, v7, v15, v17
	s_delay_alu instid0(VALU_DEP_1) | instskip(NEXT) | instid1(VALU_DEP_1)
	v_div_fixup_f32 v3, v7, v12, v3
	v_minmax_f32 v3, v3, s7, 0xc3600000
	s_delay_alu instid0(VALU_DEP_1) | instskip(NEXT) | instid1(VALU_DEP_1)
	v_and_b32_e32 v7, 0x7fffffff, v3
	v_cmpx_gt_u32_e32 0x43800000, v7
	s_cbranch_execz .LBB37_100
; %bb.95:                               ;   in Loop: Header=BB37_63 Depth=1
	v_cmp_lt_u32_e32 vcc_lo, 0x3bffffff, v7
	s_mov_b32 s13, 0
                                        ; implicit-def: $vgpr7
	s_and_saveexec_b32 s14, vcc_lo
	s_delay_alu instid0(SALU_CYCLE_1)
	s_xor_b32 s14, exec_lo, s14
	s_cbranch_execnz .LBB37_170
; %bb.96:                               ;   in Loop: Header=BB37_63 Depth=1
	s_or_saveexec_b32 s14, s14
                                        ; implicit-def: $sgpr15
	s_delay_alu instid0(SALU_CYCLE_1)
	s_xor_b32 exec_lo, exec_lo, s14
	s_cbranch_execnz .LBB37_171
.LBB37_97:                              ;   in Loop: Header=BB37_63 Depth=1
	s_or_b32 exec_lo, exec_lo, s14
	v_mov_b32_e32 v6, s15
	s_and_saveexec_b32 s14, s13
.LBB37_98:                              ;   in Loop: Header=BB37_63 Depth=1
	v_lshrrev_b32_e32 v3, 24, v3
	s_delay_alu instid0(VALU_DEP_1)
	v_and_or_b32 v6, 0x80, v3, v7
.LBB37_99:                              ;   in Loop: Header=BB37_63 Depth=1
	s_or_b32 exec_lo, exec_lo, s14
.LBB37_100:                             ;   in Loop: Header=BB37_63 Depth=1
	s_delay_alu instid0(SALU_CYCLE_1) | instskip(SKIP_2) | instid1(VALU_DEP_1)
	s_or_b32 exec_lo, exec_lo, s12
	v_mul_f32_e32 v3, v28, v4
	s_mov_b32 s12, exec_lo
	v_mul_f32_e32 v3, v3, v8
	s_delay_alu instid0(VALU_DEP_1) | instskip(SKIP_1) | instid1(VALU_DEP_2)
	v_div_scale_f32 v4, null, v12, v12, v3
	v_div_scale_f32 v15, vcc_lo, v3, v12, v3
	v_rcp_f32_e32 v7, v4
	s_waitcnt_depctr 0xfff
	v_fma_f32 v8, -v4, v7, 1.0
	s_delay_alu instid0(VALU_DEP_1) | instskip(NEXT) | instid1(VALU_DEP_1)
	v_fmac_f32_e32 v7, v8, v7
	v_mul_f32_e32 v8, v15, v7
	s_delay_alu instid0(VALU_DEP_1) | instskip(NEXT) | instid1(VALU_DEP_1)
	v_fma_f32 v16, -v4, v8, v15
	v_fmac_f32_e32 v8, v16, v7
	s_delay_alu instid0(VALU_DEP_1) | instskip(NEXT) | instid1(VALU_DEP_1)
	v_fma_f32 v4, -v4, v8, v15
	v_div_fmas_f32 v4, v4, v7, v8
	s_delay_alu instid0(VALU_DEP_1) | instskip(SKIP_1) | instid1(VALU_DEP_2)
	v_div_fixup_f32 v3, v4, v12, v3
	v_mov_b32_e32 v4, 0x80
	v_minmax_f32 v7, v3, s7, 0xc3600000
	v_mov_b32_e32 v3, 0x80
	s_delay_alu instid0(VALU_DEP_2) | instskip(NEXT) | instid1(VALU_DEP_1)
	v_and_b32_e32 v8, 0x7fffffff, v7
	v_cmpx_gt_u32_e32 0x43800000, v8
	s_cbranch_execz .LBB37_106
; %bb.101:                              ;   in Loop: Header=BB37_63 Depth=1
	v_cmp_lt_u32_e32 vcc_lo, 0x3bffffff, v8
	s_mov_b32 s13, 0
                                        ; implicit-def: $vgpr8
	s_and_saveexec_b32 s14, vcc_lo
	s_delay_alu instid0(SALU_CYCLE_1)
	s_xor_b32 s14, exec_lo, s14
	s_cbranch_execnz .LBB37_172
; %bb.102:                              ;   in Loop: Header=BB37_63 Depth=1
	s_or_saveexec_b32 s14, s14
                                        ; implicit-def: $sgpr15
	s_delay_alu instid0(SALU_CYCLE_1)
	s_xor_b32 exec_lo, exec_lo, s14
	s_cbranch_execnz .LBB37_173
.LBB37_103:                             ;   in Loop: Header=BB37_63 Depth=1
	s_or_b32 exec_lo, exec_lo, s14
	v_mov_b32_e32 v4, s15
	s_and_saveexec_b32 s14, s13
.LBB37_104:                             ;   in Loop: Header=BB37_63 Depth=1
	v_lshrrev_b32_e32 v4, 24, v7
	s_delay_alu instid0(VALU_DEP_1)
	v_and_or_b32 v4, 0x80, v4, v8
.LBB37_105:                             ;   in Loop: Header=BB37_63 Depth=1
	s_or_b32 exec_lo, exec_lo, s14
.LBB37_106:                             ;   in Loop: Header=BB37_63 Depth=1
	s_delay_alu instid0(SALU_CYCLE_1) | instskip(SKIP_2) | instid1(VALU_DEP_1)
	s_or_b32 exec_lo, exec_lo, s12
	v_mul_f32_e32 v5, v28, v5
	s_mov_b32 s12, exec_lo
	v_mul_f32_e32 v5, v5, v9
	s_delay_alu instid0(VALU_DEP_1) | instskip(NEXT) | instid1(VALU_DEP_1)
	v_div_scale_f32 v7, null, v12, v12, v5
	v_rcp_f32_e32 v8, v7
	s_waitcnt_depctr 0xfff
	v_fma_f32 v9, -v7, v8, 1.0
	s_delay_alu instid0(VALU_DEP_1) | instskip(SKIP_1) | instid1(VALU_DEP_1)
	v_fmac_f32_e32 v8, v9, v8
	v_div_scale_f32 v9, vcc_lo, v5, v12, v5
	v_mul_f32_e32 v15, v9, v8
	s_delay_alu instid0(VALU_DEP_1) | instskip(NEXT) | instid1(VALU_DEP_1)
	v_fma_f32 v16, -v7, v15, v9
	v_fmac_f32_e32 v15, v16, v8
	s_delay_alu instid0(VALU_DEP_1) | instskip(NEXT) | instid1(VALU_DEP_1)
	v_fma_f32 v7, -v7, v15, v9
	v_div_fmas_f32 v7, v7, v8, v15
	s_delay_alu instid0(VALU_DEP_1) | instskip(NEXT) | instid1(VALU_DEP_1)
	v_div_fixup_f32 v5, v7, v12, v5
	v_minmax_f32 v5, v5, s7, 0xc3600000
	s_delay_alu instid0(VALU_DEP_1) | instskip(NEXT) | instid1(VALU_DEP_1)
	v_and_b32_e32 v7, 0x7fffffff, v5
	v_cmpx_gt_u32_e32 0x43800000, v7
	s_cbranch_execz .LBB37_112
; %bb.107:                              ;   in Loop: Header=BB37_63 Depth=1
	v_cmp_lt_u32_e32 vcc_lo, 0x3bffffff, v7
	s_mov_b32 s13, 0
                                        ; implicit-def: $vgpr7
	s_and_saveexec_b32 s14, vcc_lo
	s_delay_alu instid0(SALU_CYCLE_1)
	s_xor_b32 s14, exec_lo, s14
	s_cbranch_execnz .LBB37_174
; %bb.108:                              ;   in Loop: Header=BB37_63 Depth=1
	s_or_saveexec_b32 s14, s14
                                        ; implicit-def: $sgpr15
	s_delay_alu instid0(SALU_CYCLE_1)
	s_xor_b32 exec_lo, exec_lo, s14
	s_cbranch_execnz .LBB37_175
.LBB37_109:                             ;   in Loop: Header=BB37_63 Depth=1
	s_or_b32 exec_lo, exec_lo, s14
	v_mov_b32_e32 v3, s15
	s_and_saveexec_b32 s14, s13
.LBB37_110:                             ;   in Loop: Header=BB37_63 Depth=1
	v_lshrrev_b32_e32 v3, 24, v5
	s_delay_alu instid0(VALU_DEP_1)
	v_and_or_b32 v3, 0x80, v3, v7
.LBB37_111:                             ;   in Loop: Header=BB37_63 Depth=1
	s_or_b32 exec_lo, exec_lo, s14
.LBB37_112:                             ;   in Loop: Header=BB37_63 Depth=1
	s_delay_alu instid0(SALU_CYCLE_1)
	s_or_b32 exec_lo, exec_lo, s12
	v_lshlrev_b32_e32 v7, 16, v4
	v_lshlrev_b32_e32 v6, 8, v6
	v_lshlrev_b64 v[4:5], 2, v[10:11]
	v_and_b32_e32 v8, 0xff, v2
	v_add_nc_u32_e32 v11, s3, v0
	v_perm_b32 v7, v3, v7, 0x4020c0c
	v_and_b32_e32 v6, 0xff00, v6
	s_mov_b32 s13, -1
	v_add_co_u32 v2, vcc_lo, s0, v4
	v_add_co_ci_u32_e32 v3, vcc_lo, s1, v5, vcc_lo
	s_delay_alu instid0(VALU_DEP_3)
	v_or3_b32 v4, v7, v6, v8
	s_mov_b32 s12, exec_lo
	global_store_b32 v[2:3], v4, off
	v_cmpx_gt_u32_e64 s8, v11
	s_cbranch_execz .LBB37_61
; %bb.113:                              ;   in Loop: Header=BB37_63 Depth=1
	v_bfe_u32 v8, v11, 4, 26
	v_mov_b32_e32 v12, v1
	s_mov_b32 s13, exec_lo
	s_delay_alu instid0(VALU_DEP_2) | instskip(NEXT) | instid1(VALU_DEP_2)
	v_mad_u64_u32 v[2:3], null, v13, v8, 0
	v_lshlrev_b64 v[4:5], 4, v[11:12]
	s_delay_alu instid0(VALU_DEP_1) | instskip(SKIP_1) | instid1(VALU_DEP_3)
	v_mad_u64_u32 v[6:7], null, v14, v8, v[3:4]
	v_add_co_u32 v7, vcc_lo, s26, v4
	v_add_co_ci_u32_e32 v8, vcc_lo, s27, v5, vcc_lo
	v_add_co_u32 v15, vcc_lo, s10, v4
	s_delay_alu instid0(VALU_DEP_4) | instskip(SKIP_1) | instid1(VALU_DEP_2)
	v_mov_b32_e32 v3, v6
	v_add_co_ci_u32_e32 v16, vcc_lo, s11, v5, vcc_lo
	v_lshlrev_b64 v[17:18], 2, v[2:3]
	global_load_b128 v[2:5], v[7:8], off
	global_load_b128 v[6:9], v[15:16], off
	v_add_co_u32 v15, vcc_lo, s4, v17
	v_add_co_ci_u32_e32 v16, vcc_lo, s5, v18, vcc_lo
	global_load_b32 v15, v[15:16], off
	s_waitcnt vmcnt(2)
	v_mul_f32_e32 v2, v28, v2
	s_waitcnt vmcnt(1)
	s_delay_alu instid0(VALU_DEP_1) | instskip(SKIP_1) | instid1(VALU_DEP_1)
	v_mul_f32_e32 v2, v2, v6
	s_waitcnt vmcnt(0)
	v_div_scale_f32 v6, null, v15, v15, v2
	v_div_scale_f32 v18, vcc_lo, v2, v15, v2
	s_delay_alu instid0(VALU_DEP_2) | instskip(SKIP_2) | instid1(VALU_DEP_1)
	v_rcp_f32_e32 v16, v6
	s_waitcnt_depctr 0xfff
	v_fma_f32 v17, -v6, v16, 1.0
	v_fmac_f32_e32 v16, v17, v16
	s_delay_alu instid0(VALU_DEP_1) | instskip(NEXT) | instid1(VALU_DEP_1)
	v_mul_f32_e32 v17, v18, v16
	v_fma_f32 v19, -v6, v17, v18
	s_delay_alu instid0(VALU_DEP_1) | instskip(NEXT) | instid1(VALU_DEP_1)
	v_fmac_f32_e32 v17, v19, v16
	v_fma_f32 v6, -v6, v17, v18
	s_delay_alu instid0(VALU_DEP_1) | instskip(NEXT) | instid1(VALU_DEP_1)
	v_div_fmas_f32 v6, v6, v16, v17
	v_div_fixup_f32 v2, v6, v15, v2
	v_mov_b32_e32 v6, 0x80
	s_delay_alu instid0(VALU_DEP_2) | instskip(SKIP_1) | instid1(VALU_DEP_2)
	v_minmax_f32 v16, v2, s7, 0xc3600000
	v_mov_b32_e32 v2, 0x80
	v_and_b32_e32 v17, 0x7fffffff, v16
	s_delay_alu instid0(VALU_DEP_1)
	v_cmpx_gt_u32_e32 0x43800000, v17
	s_cbranch_execz .LBB37_119
; %bb.114:                              ;   in Loop: Header=BB37_63 Depth=1
	v_cmp_lt_u32_e32 vcc_lo, 0x3bffffff, v17
	s_mov_b32 s14, 0
                                        ; implicit-def: $vgpr17
	s_and_saveexec_b32 s15, vcc_lo
	s_delay_alu instid0(SALU_CYCLE_1)
	s_xor_b32 s15, exec_lo, s15
	s_cbranch_execnz .LBB37_176
; %bb.115:                              ;   in Loop: Header=BB37_63 Depth=1
	s_or_saveexec_b32 s15, s15
                                        ; implicit-def: $sgpr16
	s_delay_alu instid0(SALU_CYCLE_1)
	s_xor_b32 exec_lo, exec_lo, s15
	s_cbranch_execnz .LBB37_177
.LBB37_116:                             ;   in Loop: Header=BB37_63 Depth=1
	s_or_b32 exec_lo, exec_lo, s15
	v_mov_b32_e32 v2, s16
	s_and_saveexec_b32 s15, s14
.LBB37_117:                             ;   in Loop: Header=BB37_63 Depth=1
	v_lshrrev_b32_e32 v2, 24, v16
	s_delay_alu instid0(VALU_DEP_1)
	v_and_or_b32 v2, 0x80, v2, v17
.LBB37_118:                             ;   in Loop: Header=BB37_63 Depth=1
	s_or_b32 exec_lo, exec_lo, s15
.LBB37_119:                             ;   in Loop: Header=BB37_63 Depth=1
	s_delay_alu instid0(SALU_CYCLE_1) | instskip(SKIP_2) | instid1(VALU_DEP_1)
	s_or_b32 exec_lo, exec_lo, s13
	v_mul_f32_e32 v3, v28, v3
	s_mov_b32 s13, exec_lo
	v_mul_f32_e32 v3, v3, v7
	s_delay_alu instid0(VALU_DEP_1) | instskip(NEXT) | instid1(VALU_DEP_1)
	v_div_scale_f32 v7, null, v15, v15, v3
	v_rcp_f32_e32 v16, v7
	s_waitcnt_depctr 0xfff
	v_fma_f32 v17, -v7, v16, 1.0
	s_delay_alu instid0(VALU_DEP_1) | instskip(SKIP_1) | instid1(VALU_DEP_1)
	v_fmac_f32_e32 v16, v17, v16
	v_div_scale_f32 v17, vcc_lo, v3, v15, v3
	v_mul_f32_e32 v18, v17, v16
	s_delay_alu instid0(VALU_DEP_1) | instskip(NEXT) | instid1(VALU_DEP_1)
	v_fma_f32 v19, -v7, v18, v17
	v_fmac_f32_e32 v18, v19, v16
	s_delay_alu instid0(VALU_DEP_1) | instskip(NEXT) | instid1(VALU_DEP_1)
	v_fma_f32 v7, -v7, v18, v17
	v_div_fmas_f32 v7, v7, v16, v18
	s_delay_alu instid0(VALU_DEP_1) | instskip(NEXT) | instid1(VALU_DEP_1)
	v_div_fixup_f32 v3, v7, v15, v3
	v_minmax_f32 v3, v3, s7, 0xc3600000
	s_delay_alu instid0(VALU_DEP_1) | instskip(NEXT) | instid1(VALU_DEP_1)
	v_and_b32_e32 v7, 0x7fffffff, v3
	v_cmpx_gt_u32_e32 0x43800000, v7
	s_cbranch_execz .LBB37_125
; %bb.120:                              ;   in Loop: Header=BB37_63 Depth=1
	v_cmp_lt_u32_e32 vcc_lo, 0x3bffffff, v7
	s_mov_b32 s14, 0
                                        ; implicit-def: $vgpr7
	s_and_saveexec_b32 s15, vcc_lo
	s_delay_alu instid0(SALU_CYCLE_1)
	s_xor_b32 s15, exec_lo, s15
	s_cbranch_execnz .LBB37_178
; %bb.121:                              ;   in Loop: Header=BB37_63 Depth=1
	s_or_saveexec_b32 s15, s15
                                        ; implicit-def: $sgpr16
	s_delay_alu instid0(SALU_CYCLE_1)
	s_xor_b32 exec_lo, exec_lo, s15
	s_cbranch_execnz .LBB37_179
.LBB37_122:                             ;   in Loop: Header=BB37_63 Depth=1
	s_or_b32 exec_lo, exec_lo, s15
	v_mov_b32_e32 v6, s16
	s_and_saveexec_b32 s15, s14
.LBB37_123:                             ;   in Loop: Header=BB37_63 Depth=1
	v_lshrrev_b32_e32 v3, 24, v3
	s_delay_alu instid0(VALU_DEP_1)
	v_and_or_b32 v6, 0x80, v3, v7
.LBB37_124:                             ;   in Loop: Header=BB37_63 Depth=1
	s_or_b32 exec_lo, exec_lo, s15
.LBB37_125:                             ;   in Loop: Header=BB37_63 Depth=1
	s_delay_alu instid0(SALU_CYCLE_1) | instskip(SKIP_2) | instid1(VALU_DEP_1)
	s_or_b32 exec_lo, exec_lo, s13
	v_mul_f32_e32 v3, v28, v4
	s_mov_b32 s13, exec_lo
	v_mul_f32_e32 v3, v3, v8
	s_delay_alu instid0(VALU_DEP_1) | instskip(SKIP_1) | instid1(VALU_DEP_2)
	v_div_scale_f32 v4, null, v15, v15, v3
	v_div_scale_f32 v16, vcc_lo, v3, v15, v3
	v_rcp_f32_e32 v7, v4
	s_waitcnt_depctr 0xfff
	v_fma_f32 v8, -v4, v7, 1.0
	s_delay_alu instid0(VALU_DEP_1) | instskip(NEXT) | instid1(VALU_DEP_1)
	v_fmac_f32_e32 v7, v8, v7
	v_mul_f32_e32 v8, v16, v7
	s_delay_alu instid0(VALU_DEP_1) | instskip(NEXT) | instid1(VALU_DEP_1)
	v_fma_f32 v17, -v4, v8, v16
	v_fmac_f32_e32 v8, v17, v7
	s_delay_alu instid0(VALU_DEP_1) | instskip(NEXT) | instid1(VALU_DEP_1)
	v_fma_f32 v4, -v4, v8, v16
	v_div_fmas_f32 v4, v4, v7, v8
	s_delay_alu instid0(VALU_DEP_1) | instskip(SKIP_1) | instid1(VALU_DEP_2)
	v_div_fixup_f32 v3, v4, v15, v3
	v_mov_b32_e32 v4, 0x80
	v_minmax_f32 v7, v3, s7, 0xc3600000
	v_mov_b32_e32 v3, 0x80
	s_delay_alu instid0(VALU_DEP_2) | instskip(NEXT) | instid1(VALU_DEP_1)
	v_and_b32_e32 v8, 0x7fffffff, v7
	v_cmpx_gt_u32_e32 0x43800000, v8
	s_cbranch_execz .LBB37_131
; %bb.126:                              ;   in Loop: Header=BB37_63 Depth=1
	v_cmp_lt_u32_e32 vcc_lo, 0x3bffffff, v8
	s_mov_b32 s14, 0
                                        ; implicit-def: $vgpr8
	s_and_saveexec_b32 s15, vcc_lo
	s_delay_alu instid0(SALU_CYCLE_1)
	s_xor_b32 s15, exec_lo, s15
	s_cbranch_execnz .LBB37_180
; %bb.127:                              ;   in Loop: Header=BB37_63 Depth=1
	s_or_saveexec_b32 s15, s15
                                        ; implicit-def: $sgpr16
	s_delay_alu instid0(SALU_CYCLE_1)
	s_xor_b32 exec_lo, exec_lo, s15
	s_cbranch_execnz .LBB37_181
.LBB37_128:                             ;   in Loop: Header=BB37_63 Depth=1
	s_or_b32 exec_lo, exec_lo, s15
	v_mov_b32_e32 v4, s16
	s_and_saveexec_b32 s15, s14
.LBB37_129:                             ;   in Loop: Header=BB37_63 Depth=1
	v_lshrrev_b32_e32 v4, 24, v7
	s_delay_alu instid0(VALU_DEP_1)
	v_and_or_b32 v4, 0x80, v4, v8
.LBB37_130:                             ;   in Loop: Header=BB37_63 Depth=1
	s_or_b32 exec_lo, exec_lo, s15
.LBB37_131:                             ;   in Loop: Header=BB37_63 Depth=1
	s_delay_alu instid0(SALU_CYCLE_1) | instskip(SKIP_2) | instid1(VALU_DEP_1)
	s_or_b32 exec_lo, exec_lo, s13
	v_mul_f32_e32 v5, v28, v5
	s_mov_b32 s13, exec_lo
	v_mul_f32_e32 v5, v5, v9
	s_delay_alu instid0(VALU_DEP_1) | instskip(NEXT) | instid1(VALU_DEP_1)
	v_div_scale_f32 v7, null, v15, v15, v5
	v_rcp_f32_e32 v8, v7
	s_waitcnt_depctr 0xfff
	v_fma_f32 v9, -v7, v8, 1.0
	s_delay_alu instid0(VALU_DEP_1) | instskip(SKIP_1) | instid1(VALU_DEP_1)
	v_fmac_f32_e32 v8, v9, v8
	v_div_scale_f32 v9, vcc_lo, v5, v15, v5
	v_mul_f32_e32 v16, v9, v8
	s_delay_alu instid0(VALU_DEP_1) | instskip(NEXT) | instid1(VALU_DEP_1)
	v_fma_f32 v17, -v7, v16, v9
	v_fmac_f32_e32 v16, v17, v8
	s_delay_alu instid0(VALU_DEP_1) | instskip(NEXT) | instid1(VALU_DEP_1)
	v_fma_f32 v7, -v7, v16, v9
	v_div_fmas_f32 v7, v7, v8, v16
	s_delay_alu instid0(VALU_DEP_1) | instskip(NEXT) | instid1(VALU_DEP_1)
	v_div_fixup_f32 v5, v7, v15, v5
	v_minmax_f32 v5, v5, s7, 0xc3600000
	s_delay_alu instid0(VALU_DEP_1) | instskip(NEXT) | instid1(VALU_DEP_1)
	v_and_b32_e32 v7, 0x7fffffff, v5
	v_cmpx_gt_u32_e32 0x43800000, v7
	s_cbranch_execz .LBB37_137
; %bb.132:                              ;   in Loop: Header=BB37_63 Depth=1
	v_cmp_lt_u32_e32 vcc_lo, 0x3bffffff, v7
	s_mov_b32 s14, 0
                                        ; implicit-def: $vgpr7
	s_and_saveexec_b32 s15, vcc_lo
	s_delay_alu instid0(SALU_CYCLE_1)
	s_xor_b32 s15, exec_lo, s15
	s_cbranch_execnz .LBB37_182
; %bb.133:                              ;   in Loop: Header=BB37_63 Depth=1
	s_or_saveexec_b32 s15, s15
                                        ; implicit-def: $sgpr16
	s_delay_alu instid0(SALU_CYCLE_1)
	s_xor_b32 exec_lo, exec_lo, s15
	s_cbranch_execnz .LBB37_183
.LBB37_134:                             ;   in Loop: Header=BB37_63 Depth=1
	s_or_b32 exec_lo, exec_lo, s15
	v_mov_b32_e32 v3, s16
	s_and_saveexec_b32 s15, s14
.LBB37_135:                             ;   in Loop: Header=BB37_63 Depth=1
	v_lshrrev_b32_e32 v3, 24, v5
	s_delay_alu instid0(VALU_DEP_1)
	v_and_or_b32 v3, 0x80, v3, v7
.LBB37_136:                             ;   in Loop: Header=BB37_63 Depth=1
	s_or_b32 exec_lo, exec_lo, s15
.LBB37_137:                             ;   in Loop: Header=BB37_63 Depth=1
	s_delay_alu instid0(SALU_CYCLE_1)
	s_or_b32 exec_lo, exec_lo, s13
	v_lshlrev_b32_e32 v7, 16, v4
	v_lshlrev_b32_e32 v6, 8, v6
	v_lshlrev_b64 v[4:5], 2, v[11:12]
	v_and_b32_e32 v8, 0xff, v2
	v_add_nc_u32_e32 v0, s2, v0
	v_perm_b32 v7, v3, v7, 0x4020c0c
	v_and_b32_e32 v6, 0xff00, v6
	s_mov_b32 s14, -1
	v_add_co_u32 v2, vcc_lo, s0, v4
	v_add_co_ci_u32_e32 v3, vcc_lo, s1, v5, vcc_lo
	s_delay_alu instid0(VALU_DEP_3)
	v_or3_b32 v4, v7, v6, v8
	s_mov_b32 s13, exec_lo
	global_store_b32 v[2:3], v4, off
	v_cmpx_gt_u32_e64 s8, v0
	s_cbranch_execz .LBB37_60
; %bb.138:                              ;   in Loop: Header=BB37_63 Depth=1
	v_bfe_u32 v8, v0, 4, 26
	v_lshlrev_b64 v[4:5], 4, v[0:1]
	s_mov_b32 s14, exec_lo
	s_delay_alu instid0(VALU_DEP_2) | instskip(NEXT) | instid1(VALU_DEP_1)
	v_mad_u64_u32 v[2:3], null, v13, v8, 0
	v_mad_u64_u32 v[6:7], null, v14, v8, v[3:4]
	v_add_co_u32 v7, vcc_lo, s26, v4
	s_delay_alu instid0(VALU_DEP_4) | instskip(SKIP_1) | instid1(VALU_DEP_4)
	v_add_co_ci_u32_e32 v8, vcc_lo, s27, v5, vcc_lo
	v_add_co_u32 v11, vcc_lo, s10, v4
	v_mov_b32_e32 v3, v6
	v_add_co_ci_u32_e32 v12, vcc_lo, s11, v5, vcc_lo
	s_delay_alu instid0(VALU_DEP_2)
	v_lshlrev_b64 v[15:16], 2, v[2:3]
	global_load_b128 v[2:5], v[7:8], off
	global_load_b128 v[6:9], v[11:12], off
	v_add_co_u32 v11, vcc_lo, s4, v15
	v_add_co_ci_u32_e32 v12, vcc_lo, s5, v16, vcc_lo
	global_load_b32 v11, v[11:12], off
	s_waitcnt vmcnt(2)
	v_mul_f32_e32 v2, v28, v2
	s_waitcnt vmcnt(1)
	s_delay_alu instid0(VALU_DEP_1) | instskip(SKIP_1) | instid1(VALU_DEP_1)
	v_mul_f32_e32 v2, v2, v6
	s_waitcnt vmcnt(0)
	v_div_scale_f32 v6, null, v11, v11, v2
	v_div_scale_f32 v16, vcc_lo, v2, v11, v2
	s_delay_alu instid0(VALU_DEP_2) | instskip(SKIP_2) | instid1(VALU_DEP_1)
	v_rcp_f32_e32 v12, v6
	s_waitcnt_depctr 0xfff
	v_fma_f32 v15, -v6, v12, 1.0
	v_fmac_f32_e32 v12, v15, v12
	s_delay_alu instid0(VALU_DEP_1) | instskip(NEXT) | instid1(VALU_DEP_1)
	v_mul_f32_e32 v15, v16, v12
	v_fma_f32 v17, -v6, v15, v16
	s_delay_alu instid0(VALU_DEP_1) | instskip(NEXT) | instid1(VALU_DEP_1)
	v_fmac_f32_e32 v15, v17, v12
	v_fma_f32 v6, -v6, v15, v16
	s_delay_alu instid0(VALU_DEP_1) | instskip(NEXT) | instid1(VALU_DEP_1)
	v_div_fmas_f32 v6, v6, v12, v15
	v_div_fixup_f32 v2, v6, v11, v2
	v_mov_b32_e32 v6, 0x80
	s_delay_alu instid0(VALU_DEP_2) | instskip(SKIP_1) | instid1(VALU_DEP_2)
	v_minmax_f32 v12, v2, s7, 0xc3600000
	v_mov_b32_e32 v2, 0x80
	v_and_b32_e32 v15, 0x7fffffff, v12
	s_delay_alu instid0(VALU_DEP_1)
	v_cmpx_gt_u32_e32 0x43800000, v15
	s_cbranch_execz .LBB37_144
; %bb.139:                              ;   in Loop: Header=BB37_63 Depth=1
	v_cmp_lt_u32_e32 vcc_lo, 0x3bffffff, v15
	s_mov_b32 s15, 0
                                        ; implicit-def: $vgpr15
	s_and_saveexec_b32 s16, vcc_lo
	s_delay_alu instid0(SALU_CYCLE_1)
	s_xor_b32 s16, exec_lo, s16
	s_cbranch_execnz .LBB37_184
; %bb.140:                              ;   in Loop: Header=BB37_63 Depth=1
	s_or_saveexec_b32 s16, s16
                                        ; implicit-def: $sgpr17
	s_delay_alu instid0(SALU_CYCLE_1)
	s_xor_b32 exec_lo, exec_lo, s16
	s_cbranch_execnz .LBB37_185
.LBB37_141:                             ;   in Loop: Header=BB37_63 Depth=1
	s_or_b32 exec_lo, exec_lo, s16
	v_mov_b32_e32 v2, s17
	s_and_saveexec_b32 s16, s15
.LBB37_142:                             ;   in Loop: Header=BB37_63 Depth=1
	v_lshrrev_b32_e32 v2, 24, v12
	s_delay_alu instid0(VALU_DEP_1)
	v_and_or_b32 v2, 0x80, v2, v15
.LBB37_143:                             ;   in Loop: Header=BB37_63 Depth=1
	s_or_b32 exec_lo, exec_lo, s16
.LBB37_144:                             ;   in Loop: Header=BB37_63 Depth=1
	s_delay_alu instid0(SALU_CYCLE_1) | instskip(SKIP_2) | instid1(VALU_DEP_1)
	s_or_b32 exec_lo, exec_lo, s14
	v_mul_f32_e32 v3, v28, v3
	s_mov_b32 s14, exec_lo
	v_mul_f32_e32 v3, v3, v7
	s_delay_alu instid0(VALU_DEP_1) | instskip(NEXT) | instid1(VALU_DEP_1)
	v_div_scale_f32 v7, null, v11, v11, v3
	v_rcp_f32_e32 v12, v7
	s_waitcnt_depctr 0xfff
	v_fma_f32 v15, -v7, v12, 1.0
	s_delay_alu instid0(VALU_DEP_1) | instskip(SKIP_1) | instid1(VALU_DEP_1)
	v_fmac_f32_e32 v12, v15, v12
	v_div_scale_f32 v15, vcc_lo, v3, v11, v3
	v_mul_f32_e32 v16, v15, v12
	s_delay_alu instid0(VALU_DEP_1) | instskip(NEXT) | instid1(VALU_DEP_1)
	v_fma_f32 v17, -v7, v16, v15
	v_fmac_f32_e32 v16, v17, v12
	s_delay_alu instid0(VALU_DEP_1) | instskip(NEXT) | instid1(VALU_DEP_1)
	v_fma_f32 v7, -v7, v16, v15
	v_div_fmas_f32 v7, v7, v12, v16
	s_delay_alu instid0(VALU_DEP_1) | instskip(NEXT) | instid1(VALU_DEP_1)
	v_div_fixup_f32 v3, v7, v11, v3
	v_minmax_f32 v3, v3, s7, 0xc3600000
	s_delay_alu instid0(VALU_DEP_1) | instskip(NEXT) | instid1(VALU_DEP_1)
	v_and_b32_e32 v7, 0x7fffffff, v3
	v_cmpx_gt_u32_e32 0x43800000, v7
	s_cbranch_execz .LBB37_150
; %bb.145:                              ;   in Loop: Header=BB37_63 Depth=1
	v_cmp_lt_u32_e32 vcc_lo, 0x3bffffff, v7
	s_mov_b32 s15, 0
                                        ; implicit-def: $vgpr7
	s_and_saveexec_b32 s16, vcc_lo
	s_delay_alu instid0(SALU_CYCLE_1)
	s_xor_b32 s16, exec_lo, s16
	s_cbranch_execnz .LBB37_186
; %bb.146:                              ;   in Loop: Header=BB37_63 Depth=1
	s_or_saveexec_b32 s16, s16
                                        ; implicit-def: $sgpr17
	s_delay_alu instid0(SALU_CYCLE_1)
	s_xor_b32 exec_lo, exec_lo, s16
	s_cbranch_execnz .LBB37_187
.LBB37_147:                             ;   in Loop: Header=BB37_63 Depth=1
	s_or_b32 exec_lo, exec_lo, s16
	v_mov_b32_e32 v6, s17
	s_and_saveexec_b32 s16, s15
.LBB37_148:                             ;   in Loop: Header=BB37_63 Depth=1
	v_lshrrev_b32_e32 v3, 24, v3
	s_delay_alu instid0(VALU_DEP_1)
	v_and_or_b32 v6, 0x80, v3, v7
.LBB37_149:                             ;   in Loop: Header=BB37_63 Depth=1
	s_or_b32 exec_lo, exec_lo, s16
.LBB37_150:                             ;   in Loop: Header=BB37_63 Depth=1
	s_delay_alu instid0(SALU_CYCLE_1) | instskip(SKIP_2) | instid1(VALU_DEP_1)
	s_or_b32 exec_lo, exec_lo, s14
	v_mul_f32_e32 v3, v28, v4
	s_mov_b32 s14, exec_lo
	v_mul_f32_e32 v3, v3, v8
	s_delay_alu instid0(VALU_DEP_1) | instskip(SKIP_1) | instid1(VALU_DEP_2)
	v_div_scale_f32 v4, null, v11, v11, v3
	v_div_scale_f32 v12, vcc_lo, v3, v11, v3
	v_rcp_f32_e32 v7, v4
	s_waitcnt_depctr 0xfff
	v_fma_f32 v8, -v4, v7, 1.0
	s_delay_alu instid0(VALU_DEP_1) | instskip(NEXT) | instid1(VALU_DEP_1)
	v_fmac_f32_e32 v7, v8, v7
	v_mul_f32_e32 v8, v12, v7
	s_delay_alu instid0(VALU_DEP_1) | instskip(NEXT) | instid1(VALU_DEP_1)
	v_fma_f32 v15, -v4, v8, v12
	v_fmac_f32_e32 v8, v15, v7
	s_delay_alu instid0(VALU_DEP_1) | instskip(NEXT) | instid1(VALU_DEP_1)
	v_fma_f32 v4, -v4, v8, v12
	v_div_fmas_f32 v4, v4, v7, v8
	s_delay_alu instid0(VALU_DEP_1) | instskip(SKIP_1) | instid1(VALU_DEP_2)
	v_div_fixup_f32 v3, v4, v11, v3
	v_mov_b32_e32 v4, 0x80
	v_minmax_f32 v7, v3, s7, 0xc3600000
	v_mov_b32_e32 v3, 0x80
	s_delay_alu instid0(VALU_DEP_2) | instskip(NEXT) | instid1(VALU_DEP_1)
	v_and_b32_e32 v8, 0x7fffffff, v7
	v_cmpx_gt_u32_e32 0x43800000, v8
	s_cbranch_execz .LBB37_156
; %bb.151:                              ;   in Loop: Header=BB37_63 Depth=1
	v_cmp_lt_u32_e32 vcc_lo, 0x3bffffff, v8
	s_mov_b32 s15, 0
                                        ; implicit-def: $vgpr8
	s_and_saveexec_b32 s16, vcc_lo
	s_delay_alu instid0(SALU_CYCLE_1)
	s_xor_b32 s16, exec_lo, s16
	s_cbranch_execnz .LBB37_188
; %bb.152:                              ;   in Loop: Header=BB37_63 Depth=1
	s_or_saveexec_b32 s16, s16
                                        ; implicit-def: $sgpr17
	s_delay_alu instid0(SALU_CYCLE_1)
	s_xor_b32 exec_lo, exec_lo, s16
	s_cbranch_execnz .LBB37_189
.LBB37_153:                             ;   in Loop: Header=BB37_63 Depth=1
	s_or_b32 exec_lo, exec_lo, s16
	v_mov_b32_e32 v4, s17
	s_and_saveexec_b32 s16, s15
.LBB37_154:                             ;   in Loop: Header=BB37_63 Depth=1
	v_lshrrev_b32_e32 v4, 24, v7
	s_delay_alu instid0(VALU_DEP_1)
	v_and_or_b32 v4, 0x80, v4, v8
.LBB37_155:                             ;   in Loop: Header=BB37_63 Depth=1
	s_or_b32 exec_lo, exec_lo, s16
.LBB37_156:                             ;   in Loop: Header=BB37_63 Depth=1
	s_delay_alu instid0(SALU_CYCLE_1) | instskip(SKIP_2) | instid1(VALU_DEP_1)
	s_or_b32 exec_lo, exec_lo, s14
	v_mul_f32_e32 v5, v28, v5
	s_mov_b32 s14, exec_lo
	v_mul_f32_e32 v5, v5, v9
	s_delay_alu instid0(VALU_DEP_1) | instskip(NEXT) | instid1(VALU_DEP_1)
	v_div_scale_f32 v7, null, v11, v11, v5
	v_rcp_f32_e32 v8, v7
	s_waitcnt_depctr 0xfff
	v_fma_f32 v9, -v7, v8, 1.0
	s_delay_alu instid0(VALU_DEP_1) | instskip(SKIP_1) | instid1(VALU_DEP_1)
	v_fmac_f32_e32 v8, v9, v8
	v_div_scale_f32 v9, vcc_lo, v5, v11, v5
	v_mul_f32_e32 v12, v9, v8
	s_delay_alu instid0(VALU_DEP_1) | instskip(NEXT) | instid1(VALU_DEP_1)
	v_fma_f32 v15, -v7, v12, v9
	v_fmac_f32_e32 v12, v15, v8
	s_delay_alu instid0(VALU_DEP_1) | instskip(NEXT) | instid1(VALU_DEP_1)
	v_fma_f32 v7, -v7, v12, v9
	v_div_fmas_f32 v7, v7, v8, v12
	s_delay_alu instid0(VALU_DEP_1) | instskip(NEXT) | instid1(VALU_DEP_1)
	v_div_fixup_f32 v5, v7, v11, v5
	v_minmax_f32 v5, v5, s7, 0xc3600000
	s_delay_alu instid0(VALU_DEP_1) | instskip(NEXT) | instid1(VALU_DEP_1)
	v_and_b32_e32 v7, 0x7fffffff, v5
	v_cmpx_gt_u32_e32 0x43800000, v7
	s_cbranch_execz .LBB37_59
; %bb.157:                              ;   in Loop: Header=BB37_63 Depth=1
	v_cmp_lt_u32_e32 vcc_lo, 0x3bffffff, v7
	s_mov_b32 s15, 0
                                        ; implicit-def: $vgpr7
	s_and_saveexec_b32 s16, vcc_lo
	s_delay_alu instid0(SALU_CYCLE_1)
	s_xor_b32 s16, exec_lo, s16
	s_cbranch_execnz .LBB37_190
; %bb.158:                              ;   in Loop: Header=BB37_63 Depth=1
	s_or_saveexec_b32 s16, s16
                                        ; implicit-def: $sgpr17
	s_delay_alu instid0(SALU_CYCLE_1)
	s_xor_b32 exec_lo, exec_lo, s16
	s_cbranch_execnz .LBB37_191
.LBB37_159:                             ;   in Loop: Header=BB37_63 Depth=1
	s_or_b32 exec_lo, exec_lo, s16
	v_mov_b32_e32 v3, s17
	s_and_saveexec_b32 s16, s15
	s_cbranch_execz .LBB37_58
	s_branch .LBB37_192
.LBB37_160:                             ;   in Loop: Header=BB37_63 Depth=1
	v_bfe_u32 v6, v11, 20, 1
	s_mov_b32 s12, exec_lo
	s_delay_alu instid0(VALU_DEP_1) | instskip(NEXT) | instid1(VALU_DEP_1)
	v_add3_u32 v6, v11, v6, 0x487ffff
	v_lshrrev_b32_e32 v12, 20, v6
	s_or_saveexec_b32 s13, s13
                                        ; implicit-def: $sgpr14
	s_delay_alu instid0(SALU_CYCLE_1)
	s_xor_b32 exec_lo, exec_lo, s13
	s_cbranch_execz .LBB37_66
.LBB37_161:                             ;   in Loop: Header=BB37_63 Depth=1
	v_add_f32_e64 v6, 0x46000000, |v11|
	s_and_not1_b32 s12, s12, exec_lo
	s_mov_b32 s14, 0
	s_delay_alu instid0(VALU_DEP_1) | instskip(NEXT) | instid1(VALU_DEP_1)
	v_and_b32_e32 v12, 0xff, v6
	v_cmp_ne_u32_e32 vcc_lo, 0, v12
	s_and_b32 s15, vcc_lo, exec_lo
	s_delay_alu instid0(SALU_CYCLE_1)
	s_or_b32 s12, s12, s15
	s_or_b32 exec_lo, exec_lo, s13
	v_mov_b32_e32 v6, s14
	s_and_saveexec_b32 s13, s12
	s_cbranch_execnz .LBB37_67
	s_branch .LBB37_68
.LBB37_162:                             ;   in Loop: Header=BB37_63 Depth=1
	v_bfe_u32 v2, v3, 20, 1
	s_mov_b32 s12, exec_lo
	s_delay_alu instid0(VALU_DEP_1) | instskip(NEXT) | instid1(VALU_DEP_1)
	v_add3_u32 v2, v3, v2, 0x487ffff
	v_lshrrev_b32_e32 v7, 20, v2
	s_or_saveexec_b32 s13, s13
                                        ; implicit-def: $sgpr14
	s_delay_alu instid0(SALU_CYCLE_1)
	s_xor_b32 exec_lo, exec_lo, s13
	s_cbranch_execz .LBB37_72
.LBB37_163:                             ;   in Loop: Header=BB37_63 Depth=1
	v_add_f32_e64 v2, 0x46000000, |v3|
	s_and_not1_b32 s12, s12, exec_lo
	s_mov_b32 s14, 0
	s_delay_alu instid0(VALU_DEP_1) | instskip(NEXT) | instid1(VALU_DEP_1)
	v_and_b32_e32 v7, 0xff, v2
	v_cmp_ne_u32_e32 vcc_lo, 0, v7
	s_and_b32 s15, vcc_lo, exec_lo
	s_delay_alu instid0(SALU_CYCLE_1)
	s_or_b32 s12, s12, s15
	s_or_b32 exec_lo, exec_lo, s13
	v_mov_b32_e32 v2, s14
	s_and_saveexec_b32 s13, s12
	s_cbranch_execnz .LBB37_73
	s_branch .LBB37_74
.LBB37_164:                             ;   in Loop: Header=BB37_63 Depth=1
	v_bfe_u32 v4, v7, 20, 1
	s_mov_b32 s12, exec_lo
	s_delay_alu instid0(VALU_DEP_1) | instskip(NEXT) | instid1(VALU_DEP_1)
	v_add3_u32 v4, v7, v4, 0x487ffff
	v_lshrrev_b32_e32 v8, 20, v4
	s_or_saveexec_b32 s13, s13
                                        ; implicit-def: $sgpr14
	s_delay_alu instid0(SALU_CYCLE_1)
	s_xor_b32 exec_lo, exec_lo, s13
	s_cbranch_execz .LBB37_78
.LBB37_165:                             ;   in Loop: Header=BB37_63 Depth=1
	v_add_f32_e64 v4, 0x46000000, |v7|
	s_and_not1_b32 s12, s12, exec_lo
	s_mov_b32 s14, 0
	s_delay_alu instid0(VALU_DEP_1) | instskip(NEXT) | instid1(VALU_DEP_1)
	v_and_b32_e32 v8, 0xff, v4
	v_cmp_ne_u32_e32 vcc_lo, 0, v8
	s_and_b32 s15, vcc_lo, exec_lo
	s_delay_alu instid0(SALU_CYCLE_1)
	s_or_b32 s12, s12, s15
	s_or_b32 exec_lo, exec_lo, s13
	v_mov_b32_e32 v4, s14
	s_and_saveexec_b32 s13, s12
	s_cbranch_execnz .LBB37_79
	s_branch .LBB37_80
.LBB37_166:                             ;   in Loop: Header=BB37_63 Depth=1
	v_bfe_u32 v3, v5, 20, 1
	s_mov_b32 s12, exec_lo
	s_delay_alu instid0(VALU_DEP_1) | instskip(NEXT) | instid1(VALU_DEP_1)
	v_add3_u32 v3, v5, v3, 0x487ffff
	v_lshrrev_b32_e32 v7, 20, v3
	s_or_saveexec_b32 s13, s13
                                        ; implicit-def: $sgpr14
	s_delay_alu instid0(SALU_CYCLE_1)
	s_xor_b32 exec_lo, exec_lo, s13
	s_cbranch_execz .LBB37_84
.LBB37_167:                             ;   in Loop: Header=BB37_63 Depth=1
	v_add_f32_e64 v3, 0x46000000, |v5|
	s_and_not1_b32 s12, s12, exec_lo
	s_mov_b32 s14, 0
	s_delay_alu instid0(VALU_DEP_1) | instskip(NEXT) | instid1(VALU_DEP_1)
	v_and_b32_e32 v7, 0xff, v3
	v_cmp_ne_u32_e32 vcc_lo, 0, v7
	s_and_b32 s15, vcc_lo, exec_lo
	s_delay_alu instid0(SALU_CYCLE_1)
	s_or_b32 s12, s12, s15
	s_or_b32 exec_lo, exec_lo, s13
	v_mov_b32_e32 v3, s14
	s_and_saveexec_b32 s13, s12
	s_cbranch_execnz .LBB37_85
	s_branch .LBB37_86
.LBB37_168:                             ;   in Loop: Header=BB37_63 Depth=1
	v_bfe_u32 v2, v15, 20, 1
	s_mov_b32 s13, exec_lo
	s_delay_alu instid0(VALU_DEP_1) | instskip(NEXT) | instid1(VALU_DEP_1)
	v_add3_u32 v2, v15, v2, 0x487ffff
	v_lshrrev_b32_e32 v16, 20, v2
	s_or_saveexec_b32 s14, s14
                                        ; implicit-def: $sgpr15
	s_delay_alu instid0(SALU_CYCLE_1)
	s_xor_b32 exec_lo, exec_lo, s14
	s_cbranch_execz .LBB37_91
.LBB37_169:                             ;   in Loop: Header=BB37_63 Depth=1
	v_add_f32_e64 v2, 0x46000000, |v15|
	s_and_not1_b32 s13, s13, exec_lo
	s_mov_b32 s15, 0
	s_delay_alu instid0(VALU_DEP_1) | instskip(NEXT) | instid1(VALU_DEP_1)
	v_and_b32_e32 v16, 0xff, v2
	v_cmp_ne_u32_e32 vcc_lo, 0, v16
	s_and_b32 s16, vcc_lo, exec_lo
	s_delay_alu instid0(SALU_CYCLE_1)
	s_or_b32 s13, s13, s16
	s_or_b32 exec_lo, exec_lo, s14
	v_mov_b32_e32 v2, s15
	s_and_saveexec_b32 s14, s13
	s_cbranch_execnz .LBB37_92
	s_branch .LBB37_93
.LBB37_170:                             ;   in Loop: Header=BB37_63 Depth=1
	v_bfe_u32 v6, v3, 20, 1
	s_mov_b32 s13, exec_lo
	s_delay_alu instid0(VALU_DEP_1) | instskip(NEXT) | instid1(VALU_DEP_1)
	v_add3_u32 v6, v3, v6, 0x487ffff
	v_lshrrev_b32_e32 v7, 20, v6
	s_or_saveexec_b32 s14, s14
                                        ; implicit-def: $sgpr15
	s_delay_alu instid0(SALU_CYCLE_1)
	s_xor_b32 exec_lo, exec_lo, s14
	s_cbranch_execz .LBB37_97
.LBB37_171:                             ;   in Loop: Header=BB37_63 Depth=1
	v_add_f32_e64 v6, 0x46000000, |v3|
	s_and_not1_b32 s13, s13, exec_lo
	s_mov_b32 s15, 0
	s_delay_alu instid0(VALU_DEP_1) | instskip(NEXT) | instid1(VALU_DEP_1)
	v_and_b32_e32 v7, 0xff, v6
	v_cmp_ne_u32_e32 vcc_lo, 0, v7
	s_and_b32 s16, vcc_lo, exec_lo
	s_delay_alu instid0(SALU_CYCLE_1)
	s_or_b32 s13, s13, s16
	s_or_b32 exec_lo, exec_lo, s14
	v_mov_b32_e32 v6, s15
	s_and_saveexec_b32 s14, s13
	s_cbranch_execnz .LBB37_98
	s_branch .LBB37_99
.LBB37_172:                             ;   in Loop: Header=BB37_63 Depth=1
	v_bfe_u32 v4, v7, 20, 1
	s_mov_b32 s13, exec_lo
	s_delay_alu instid0(VALU_DEP_1) | instskip(NEXT) | instid1(VALU_DEP_1)
	v_add3_u32 v4, v7, v4, 0x487ffff
	v_lshrrev_b32_e32 v8, 20, v4
	s_or_saveexec_b32 s14, s14
                                        ; implicit-def: $sgpr15
	s_delay_alu instid0(SALU_CYCLE_1)
	s_xor_b32 exec_lo, exec_lo, s14
	s_cbranch_execz .LBB37_103
.LBB37_173:                             ;   in Loop: Header=BB37_63 Depth=1
	v_add_f32_e64 v4, 0x46000000, |v7|
	s_and_not1_b32 s13, s13, exec_lo
	s_mov_b32 s15, 0
	s_delay_alu instid0(VALU_DEP_1) | instskip(NEXT) | instid1(VALU_DEP_1)
	v_and_b32_e32 v8, 0xff, v4
	v_cmp_ne_u32_e32 vcc_lo, 0, v8
	s_and_b32 s16, vcc_lo, exec_lo
	s_delay_alu instid0(SALU_CYCLE_1)
	s_or_b32 s13, s13, s16
	s_or_b32 exec_lo, exec_lo, s14
	v_mov_b32_e32 v4, s15
	s_and_saveexec_b32 s14, s13
	s_cbranch_execnz .LBB37_104
	s_branch .LBB37_105
.LBB37_174:                             ;   in Loop: Header=BB37_63 Depth=1
	v_bfe_u32 v3, v5, 20, 1
	s_mov_b32 s13, exec_lo
	s_delay_alu instid0(VALU_DEP_1) | instskip(NEXT) | instid1(VALU_DEP_1)
	v_add3_u32 v3, v5, v3, 0x487ffff
	v_lshrrev_b32_e32 v7, 20, v3
	s_or_saveexec_b32 s14, s14
                                        ; implicit-def: $sgpr15
	s_delay_alu instid0(SALU_CYCLE_1)
	s_xor_b32 exec_lo, exec_lo, s14
	s_cbranch_execz .LBB37_109
.LBB37_175:                             ;   in Loop: Header=BB37_63 Depth=1
	v_add_f32_e64 v3, 0x46000000, |v5|
	s_and_not1_b32 s13, s13, exec_lo
	s_mov_b32 s15, 0
	s_delay_alu instid0(VALU_DEP_1) | instskip(NEXT) | instid1(VALU_DEP_1)
	v_and_b32_e32 v7, 0xff, v3
	v_cmp_ne_u32_e32 vcc_lo, 0, v7
	s_and_b32 s16, vcc_lo, exec_lo
	s_delay_alu instid0(SALU_CYCLE_1)
	s_or_b32 s13, s13, s16
	s_or_b32 exec_lo, exec_lo, s14
	v_mov_b32_e32 v3, s15
	s_and_saveexec_b32 s14, s13
	s_cbranch_execnz .LBB37_110
	s_branch .LBB37_111
.LBB37_176:                             ;   in Loop: Header=BB37_63 Depth=1
	v_bfe_u32 v2, v16, 20, 1
	s_mov_b32 s14, exec_lo
	s_delay_alu instid0(VALU_DEP_1) | instskip(NEXT) | instid1(VALU_DEP_1)
	v_add3_u32 v2, v16, v2, 0x487ffff
	v_lshrrev_b32_e32 v17, 20, v2
	s_or_saveexec_b32 s15, s15
                                        ; implicit-def: $sgpr16
	s_delay_alu instid0(SALU_CYCLE_1)
	s_xor_b32 exec_lo, exec_lo, s15
	s_cbranch_execz .LBB37_116
.LBB37_177:                             ;   in Loop: Header=BB37_63 Depth=1
	v_add_f32_e64 v2, 0x46000000, |v16|
	s_and_not1_b32 s14, s14, exec_lo
	s_mov_b32 s16, 0
	s_delay_alu instid0(VALU_DEP_1) | instskip(NEXT) | instid1(VALU_DEP_1)
	v_and_b32_e32 v17, 0xff, v2
	v_cmp_ne_u32_e32 vcc_lo, 0, v17
	s_and_b32 s17, vcc_lo, exec_lo
	s_delay_alu instid0(SALU_CYCLE_1)
	s_or_b32 s14, s14, s17
	s_or_b32 exec_lo, exec_lo, s15
	v_mov_b32_e32 v2, s16
	s_and_saveexec_b32 s15, s14
	s_cbranch_execnz .LBB37_117
	s_branch .LBB37_118
.LBB37_178:                             ;   in Loop: Header=BB37_63 Depth=1
	v_bfe_u32 v6, v3, 20, 1
	s_mov_b32 s14, exec_lo
	s_delay_alu instid0(VALU_DEP_1) | instskip(NEXT) | instid1(VALU_DEP_1)
	v_add3_u32 v6, v3, v6, 0x487ffff
	v_lshrrev_b32_e32 v7, 20, v6
	s_or_saveexec_b32 s15, s15
                                        ; implicit-def: $sgpr16
	s_delay_alu instid0(SALU_CYCLE_1)
	s_xor_b32 exec_lo, exec_lo, s15
	s_cbranch_execz .LBB37_122
.LBB37_179:                             ;   in Loop: Header=BB37_63 Depth=1
	v_add_f32_e64 v6, 0x46000000, |v3|
	s_and_not1_b32 s14, s14, exec_lo
	s_mov_b32 s16, 0
	s_delay_alu instid0(VALU_DEP_1) | instskip(NEXT) | instid1(VALU_DEP_1)
	v_and_b32_e32 v7, 0xff, v6
	v_cmp_ne_u32_e32 vcc_lo, 0, v7
	s_and_b32 s17, vcc_lo, exec_lo
	s_delay_alu instid0(SALU_CYCLE_1)
	s_or_b32 s14, s14, s17
	s_or_b32 exec_lo, exec_lo, s15
	v_mov_b32_e32 v6, s16
	s_and_saveexec_b32 s15, s14
	s_cbranch_execnz .LBB37_123
	s_branch .LBB37_124
.LBB37_180:                             ;   in Loop: Header=BB37_63 Depth=1
	v_bfe_u32 v4, v7, 20, 1
	s_mov_b32 s14, exec_lo
	s_delay_alu instid0(VALU_DEP_1) | instskip(NEXT) | instid1(VALU_DEP_1)
	v_add3_u32 v4, v7, v4, 0x487ffff
	v_lshrrev_b32_e32 v8, 20, v4
	s_or_saveexec_b32 s15, s15
                                        ; implicit-def: $sgpr16
	s_delay_alu instid0(SALU_CYCLE_1)
	s_xor_b32 exec_lo, exec_lo, s15
	s_cbranch_execz .LBB37_128
.LBB37_181:                             ;   in Loop: Header=BB37_63 Depth=1
	v_add_f32_e64 v4, 0x46000000, |v7|
	s_and_not1_b32 s14, s14, exec_lo
	s_mov_b32 s16, 0
	s_delay_alu instid0(VALU_DEP_1) | instskip(NEXT) | instid1(VALU_DEP_1)
	v_and_b32_e32 v8, 0xff, v4
	v_cmp_ne_u32_e32 vcc_lo, 0, v8
	s_and_b32 s17, vcc_lo, exec_lo
	s_delay_alu instid0(SALU_CYCLE_1)
	s_or_b32 s14, s14, s17
	s_or_b32 exec_lo, exec_lo, s15
	v_mov_b32_e32 v4, s16
	s_and_saveexec_b32 s15, s14
	s_cbranch_execnz .LBB37_129
	s_branch .LBB37_130
.LBB37_182:                             ;   in Loop: Header=BB37_63 Depth=1
	v_bfe_u32 v3, v5, 20, 1
	s_mov_b32 s14, exec_lo
	s_delay_alu instid0(VALU_DEP_1) | instskip(NEXT) | instid1(VALU_DEP_1)
	v_add3_u32 v3, v5, v3, 0x487ffff
	v_lshrrev_b32_e32 v7, 20, v3
	s_or_saveexec_b32 s15, s15
                                        ; implicit-def: $sgpr16
	s_delay_alu instid0(SALU_CYCLE_1)
	s_xor_b32 exec_lo, exec_lo, s15
	s_cbranch_execz .LBB37_134
.LBB37_183:                             ;   in Loop: Header=BB37_63 Depth=1
	v_add_f32_e64 v3, 0x46000000, |v5|
	s_and_not1_b32 s14, s14, exec_lo
	s_mov_b32 s16, 0
	s_delay_alu instid0(VALU_DEP_1) | instskip(NEXT) | instid1(VALU_DEP_1)
	v_and_b32_e32 v7, 0xff, v3
	v_cmp_ne_u32_e32 vcc_lo, 0, v7
	s_and_b32 s17, vcc_lo, exec_lo
	s_delay_alu instid0(SALU_CYCLE_1)
	s_or_b32 s14, s14, s17
	s_or_b32 exec_lo, exec_lo, s15
	v_mov_b32_e32 v3, s16
	s_and_saveexec_b32 s15, s14
	s_cbranch_execnz .LBB37_135
	s_branch .LBB37_136
.LBB37_184:                             ;   in Loop: Header=BB37_63 Depth=1
	v_bfe_u32 v2, v12, 20, 1
	s_mov_b32 s15, exec_lo
	s_delay_alu instid0(VALU_DEP_1) | instskip(NEXT) | instid1(VALU_DEP_1)
	v_add3_u32 v2, v12, v2, 0x487ffff
	v_lshrrev_b32_e32 v15, 20, v2
	s_or_saveexec_b32 s16, s16
                                        ; implicit-def: $sgpr17
	s_delay_alu instid0(SALU_CYCLE_1)
	s_xor_b32 exec_lo, exec_lo, s16
	s_cbranch_execz .LBB37_141
.LBB37_185:                             ;   in Loop: Header=BB37_63 Depth=1
	v_add_f32_e64 v2, 0x46000000, |v12|
	s_and_not1_b32 s15, s15, exec_lo
	s_mov_b32 s17, 0
	s_delay_alu instid0(VALU_DEP_1) | instskip(NEXT) | instid1(VALU_DEP_1)
	v_and_b32_e32 v15, 0xff, v2
	v_cmp_ne_u32_e32 vcc_lo, 0, v15
	s_and_b32 s18, vcc_lo, exec_lo
	s_delay_alu instid0(SALU_CYCLE_1)
	s_or_b32 s15, s15, s18
	s_or_b32 exec_lo, exec_lo, s16
	v_mov_b32_e32 v2, s17
	s_and_saveexec_b32 s16, s15
	s_cbranch_execnz .LBB37_142
	s_branch .LBB37_143
.LBB37_186:                             ;   in Loop: Header=BB37_63 Depth=1
	v_bfe_u32 v6, v3, 20, 1
	s_mov_b32 s15, exec_lo
	s_delay_alu instid0(VALU_DEP_1) | instskip(NEXT) | instid1(VALU_DEP_1)
	v_add3_u32 v6, v3, v6, 0x487ffff
	v_lshrrev_b32_e32 v7, 20, v6
	s_or_saveexec_b32 s16, s16
                                        ; implicit-def: $sgpr17
	s_delay_alu instid0(SALU_CYCLE_1)
	s_xor_b32 exec_lo, exec_lo, s16
	s_cbranch_execz .LBB37_147
.LBB37_187:                             ;   in Loop: Header=BB37_63 Depth=1
	v_add_f32_e64 v6, 0x46000000, |v3|
	s_and_not1_b32 s15, s15, exec_lo
	s_mov_b32 s17, 0
	s_delay_alu instid0(VALU_DEP_1) | instskip(NEXT) | instid1(VALU_DEP_1)
	v_and_b32_e32 v7, 0xff, v6
	v_cmp_ne_u32_e32 vcc_lo, 0, v7
	s_and_b32 s18, vcc_lo, exec_lo
	s_delay_alu instid0(SALU_CYCLE_1)
	s_or_b32 s15, s15, s18
	s_or_b32 exec_lo, exec_lo, s16
	v_mov_b32_e32 v6, s17
	s_and_saveexec_b32 s16, s15
	s_cbranch_execnz .LBB37_148
	s_branch .LBB37_149
.LBB37_188:                             ;   in Loop: Header=BB37_63 Depth=1
	v_bfe_u32 v4, v7, 20, 1
	s_mov_b32 s15, exec_lo
	s_delay_alu instid0(VALU_DEP_1) | instskip(NEXT) | instid1(VALU_DEP_1)
	v_add3_u32 v4, v7, v4, 0x487ffff
	v_lshrrev_b32_e32 v8, 20, v4
	s_or_saveexec_b32 s16, s16
                                        ; implicit-def: $sgpr17
	s_delay_alu instid0(SALU_CYCLE_1)
	s_xor_b32 exec_lo, exec_lo, s16
	s_cbranch_execz .LBB37_153
.LBB37_189:                             ;   in Loop: Header=BB37_63 Depth=1
	v_add_f32_e64 v4, 0x46000000, |v7|
	s_and_not1_b32 s15, s15, exec_lo
	s_mov_b32 s17, 0
	s_delay_alu instid0(VALU_DEP_1) | instskip(NEXT) | instid1(VALU_DEP_1)
	v_and_b32_e32 v8, 0xff, v4
	v_cmp_ne_u32_e32 vcc_lo, 0, v8
	s_and_b32 s18, vcc_lo, exec_lo
	s_delay_alu instid0(SALU_CYCLE_1)
	s_or_b32 s15, s15, s18
	s_or_b32 exec_lo, exec_lo, s16
	v_mov_b32_e32 v4, s17
	s_and_saveexec_b32 s16, s15
	s_cbranch_execnz .LBB37_154
	s_branch .LBB37_155
.LBB37_190:                             ;   in Loop: Header=BB37_63 Depth=1
	v_bfe_u32 v3, v5, 20, 1
	s_mov_b32 s15, exec_lo
	s_delay_alu instid0(VALU_DEP_1) | instskip(NEXT) | instid1(VALU_DEP_1)
	v_add3_u32 v3, v5, v3, 0x487ffff
	v_lshrrev_b32_e32 v7, 20, v3
	s_or_saveexec_b32 s16, s16
                                        ; implicit-def: $sgpr17
	s_delay_alu instid0(SALU_CYCLE_1)
	s_xor_b32 exec_lo, exec_lo, s16
	s_cbranch_execz .LBB37_159
.LBB37_191:                             ;   in Loop: Header=BB37_63 Depth=1
	v_add_f32_e64 v3, 0x46000000, |v5|
	s_and_not1_b32 s15, s15, exec_lo
	s_mov_b32 s17, 0
	s_delay_alu instid0(VALU_DEP_1) | instskip(NEXT) | instid1(VALU_DEP_1)
	v_and_b32_e32 v7, 0xff, v3
	v_cmp_ne_u32_e32 vcc_lo, 0, v7
	s_and_b32 s18, vcc_lo, exec_lo
	s_delay_alu instid0(SALU_CYCLE_1)
	s_or_b32 s15, s15, s18
	s_or_b32 exec_lo, exec_lo, s16
	v_mov_b32_e32 v3, s17
	s_and_saveexec_b32 s16, s15
	s_cbranch_execz .LBB37_58
.LBB37_192:                             ;   in Loop: Header=BB37_63 Depth=1
	v_lshrrev_b32_e32 v3, 24, v5
	s_delay_alu instid0(VALU_DEP_1)
	v_and_or_b32 v3, 0x80, v3, v7
	s_branch .LBB37_58
.LBB37_193:
	s_nop 0
	s_sendmsg sendmsg(MSG_DEALLOC_VGPRS)
	s_endpgm
.LBB37_194:
                                        ; implicit-def: $vgpr3_vgpr4
	s_branch .LBB37_51
.LBB37_195:
                                        ; implicit-def: $vgpr1_vgpr2
	s_branch .LBB37_56
	.section	.rodata,"a",@progbits
	.p2align	6, 0x0
	.amdhsa_kernel _ZN4vllm31rms_norm_per_block_quant_kernelIfN3c1015Float8_e4m3fnuzELb0ELb1ELi64EEEvPT0_PfPKT_S8_PKffiiPS6_l
		.amdhsa_group_segment_fixed_size 4228
		.amdhsa_private_segment_fixed_size 0
		.amdhsa_kernarg_size 328
		.amdhsa_user_sgpr_count 15
		.amdhsa_user_sgpr_dispatch_ptr 0
		.amdhsa_user_sgpr_queue_ptr 0
		.amdhsa_user_sgpr_kernarg_segment_ptr 1
		.amdhsa_user_sgpr_dispatch_id 0
		.amdhsa_user_sgpr_private_segment_size 0
		.amdhsa_wavefront_size32 1
		.amdhsa_uses_dynamic_stack 0
		.amdhsa_enable_private_segment 0
		.amdhsa_system_sgpr_workgroup_id_x 1
		.amdhsa_system_sgpr_workgroup_id_y 0
		.amdhsa_system_sgpr_workgroup_id_z 0
		.amdhsa_system_sgpr_workgroup_info 0
		.amdhsa_system_vgpr_workitem_id 0
		.amdhsa_next_free_vgpr 35
		.amdhsa_next_free_sgpr 38
		.amdhsa_reserve_vcc 1
		.amdhsa_float_round_mode_32 0
		.amdhsa_float_round_mode_16_64 0
		.amdhsa_float_denorm_mode_32 3
		.amdhsa_float_denorm_mode_16_64 3
		.amdhsa_dx10_clamp 1
		.amdhsa_ieee_mode 1
		.amdhsa_fp16_overflow 0
		.amdhsa_workgroup_processor_mode 1
		.amdhsa_memory_ordered 1
		.amdhsa_forward_progress 0
		.amdhsa_shared_vgpr_count 0
		.amdhsa_exception_fp_ieee_invalid_op 0
		.amdhsa_exception_fp_denorm_src 0
		.amdhsa_exception_fp_ieee_div_zero 0
		.amdhsa_exception_fp_ieee_overflow 0
		.amdhsa_exception_fp_ieee_underflow 0
		.amdhsa_exception_fp_ieee_inexact 0
		.amdhsa_exception_int_div_zero 0
	.end_amdhsa_kernel
	.section	.text._ZN4vllm31rms_norm_per_block_quant_kernelIfN3c1015Float8_e4m3fnuzELb0ELb1ELi64EEEvPT0_PfPKT_S8_PKffiiPS6_l,"axG",@progbits,_ZN4vllm31rms_norm_per_block_quant_kernelIfN3c1015Float8_e4m3fnuzELb0ELb1ELi64EEEvPT0_PfPKT_S8_PKffiiPS6_l,comdat
.Lfunc_end37:
	.size	_ZN4vllm31rms_norm_per_block_quant_kernelIfN3c1015Float8_e4m3fnuzELb0ELb1ELi64EEEvPT0_PfPKT_S8_PKffiiPS6_l, .Lfunc_end37-_ZN4vllm31rms_norm_per_block_quant_kernelIfN3c1015Float8_e4m3fnuzELb0ELb1ELi64EEEvPT0_PfPKT_S8_PKffiiPS6_l
                                        ; -- End function
	.section	.AMDGPU.csdata,"",@progbits
; Kernel info:
; codeLenInByte = 12436
; NumSgprs: 40
; NumVgprs: 35
; ScratchSize: 0
; MemoryBound: 0
; FloatMode: 240
; IeeeMode: 1
; LDSByteSize: 4228 bytes/workgroup (compile time only)
; SGPRBlocks: 4
; VGPRBlocks: 4
; NumSGPRsForWavesPerEU: 40
; NumVGPRsForWavesPerEU: 35
; Occupancy: 16
; WaveLimiterHint : 0
; COMPUTE_PGM_RSRC2:SCRATCH_EN: 0
; COMPUTE_PGM_RSRC2:USER_SGPR: 15
; COMPUTE_PGM_RSRC2:TRAP_HANDLER: 0
; COMPUTE_PGM_RSRC2:TGID_X_EN: 1
; COMPUTE_PGM_RSRC2:TGID_Y_EN: 0
; COMPUTE_PGM_RSRC2:TGID_Z_EN: 0
; COMPUTE_PGM_RSRC2:TIDIG_COMP_CNT: 0
	.section	.text._ZN4vllm31rms_norm_per_block_quant_kernelIfaLb0ELb1ELi64EEEvPT0_PfPKT_S6_PKffiiPS4_l,"axG",@progbits,_ZN4vllm31rms_norm_per_block_quant_kernelIfaLb0ELb1ELi64EEEvPT0_PfPKT_S6_PKffiiPS4_l,comdat
	.protected	_ZN4vllm31rms_norm_per_block_quant_kernelIfaLb0ELb1ELi64EEEvPT0_PfPKT_S6_PKffiiPS4_l ; -- Begin function _ZN4vllm31rms_norm_per_block_quant_kernelIfaLb0ELb1ELi64EEEvPT0_PfPKT_S6_PKffiiPS4_l
	.globl	_ZN4vllm31rms_norm_per_block_quant_kernelIfaLb0ELb1ELi64EEEvPT0_PfPKT_S6_PKffiiPS4_l
	.p2align	8
	.type	_ZN4vllm31rms_norm_per_block_quant_kernelIfaLb0ELb1ELi64EEEvPT0_PfPKT_S6_PKffiiPS4_l,@function
_ZN4vllm31rms_norm_per_block_quant_kernelIfaLb0ELb1ELi64EEEvPT0_PfPKT_S6_PKffiiPS4_l: ; @_ZN4vllm31rms_norm_per_block_quant_kernelIfaLb0ELb1ELi64EEEvPT0_PfPKT_S6_PKffiiPS4_l
; %bb.0:
	s_mov_b32 s16, s15
	s_clause 0x2
	s_load_b128 s[12:15], s[0:1], 0x28
	s_load_b256 s[4:11], s[0:1], 0x0
	s_load_b32 s29, s[0:1], 0x48
	v_mov_b32_e32 v6, 0
	s_mov_b32 s17, 0
	s_waitcnt lgkmcnt(0)
	s_ashr_i32 s2, s14, 31
	s_mul_hi_u32 s3, s14, s16
	s_mul_i32 s15, s2, s16
	s_mul_i32 s2, s14, s16
	s_add_i32 s3, s3, s15
	s_mov_b32 s14, s13
	s_lshl_b64 s[2:3], s[2:3], 2
	s_delay_alu instid0(SALU_CYCLE_1)
	s_add_u32 s26, s8, s2
	s_addc_u32 s27, s9, s3
	s_ashr_i32 s8, s13, 2
	s_add_u32 s18, s0, 0x48
	v_cmp_gt_u32_e64 s2, s8, v0
	s_addc_u32 s19, s1, 0
	s_delay_alu instid0(VALU_DEP_1)
	s_and_saveexec_b32 s3, s2
	s_cbranch_execz .LBB38_10
; %bb.1:
	s_cmp_lt_u32 s16, s29
	v_mov_b32_e32 v2, 0
	s_cselect_b32 s9, 12, 18
                                        ; implicit-def: $sgpr15
	v_mov_b32_e32 v1, v0
	s_add_u32 s20, s18, s9
	s_addc_u32 s21, s19, 0
	s_mov_b32 s9, s17
	global_load_u16 v7, v2, s[20:21]
	s_waitcnt vmcnt(0)
	v_lshlrev_b32_e32 v9, 1, v7
	v_mul_lo_u32 v8, v7, 3
	v_add_nc_u32_e32 v10, v7, v7
	v_mov_b32_e32 v6, v2
	s_branch .LBB38_5
.LBB38_2:                               ;   in Loop: Header=BB38_5 Depth=1
	s_or_b32 exec_lo, exec_lo, s22
	s_delay_alu instid0(SALU_CYCLE_1)
	s_or_not1_b32 s22, s23, exec_lo
.LBB38_3:                               ;   in Loop: Header=BB38_5 Depth=1
	s_or_b32 exec_lo, exec_lo, s21
	s_delay_alu instid0(SALU_CYCLE_1) | instskip(SKIP_1) | instid1(SALU_CYCLE_1)
	s_and_not1_b32 s15, s15, exec_lo
	s_and_b32 s21, s22, exec_lo
	s_or_b32 s15, s15, s21
.LBB38_4:                               ;   in Loop: Header=BB38_5 Depth=1
	s_or_b32 exec_lo, exec_lo, s20
	s_delay_alu instid0(SALU_CYCLE_1) | instskip(NEXT) | instid1(SALU_CYCLE_1)
	s_and_b32 s20, exec_lo, s15
	s_or_b32 s9, s20, s9
	s_delay_alu instid0(SALU_CYCLE_1)
	s_and_not1_b32 exec_lo, exec_lo, s9
	s_cbranch_execz .LBB38_9
.LBB38_5:                               ; =>This Inner Loop Header: Depth=1
	v_lshlrev_b64 v[3:4], 4, v[1:2]
	s_or_b32 s15, s15, exec_lo
	s_mov_b32 s20, exec_lo
	s_delay_alu instid0(VALU_DEP_1) | instskip(NEXT) | instid1(VALU_DEP_2)
	v_add_co_u32 v3, vcc_lo, s26, v3
	v_add_co_ci_u32_e32 v4, vcc_lo, s27, v4, vcc_lo
	global_load_b128 v[11:14], v[3:4], off
	v_add_nc_u32_e32 v3, v1, v7
	s_waitcnt vmcnt(0)
	v_fmac_f32_e32 v6, v11, v11
	s_delay_alu instid0(VALU_DEP_1) | instskip(NEXT) | instid1(VALU_DEP_1)
	v_fmac_f32_e32 v6, v12, v12
	v_fmac_f32_e32 v6, v13, v13
	s_delay_alu instid0(VALU_DEP_1)
	v_fmac_f32_e32 v6, v14, v14
	v_cmpx_gt_u32_e64 s8, v3
	s_cbranch_execz .LBB38_4
; %bb.6:                                ;   in Loop: Header=BB38_5 Depth=1
	v_mov_b32_e32 v4, v2
	s_mov_b32 s22, -1
	s_mov_b32 s21, exec_lo
	s_delay_alu instid0(VALU_DEP_1) | instskip(NEXT) | instid1(VALU_DEP_1)
	v_lshlrev_b64 v[4:5], 4, v[3:4]
	v_add_co_u32 v4, vcc_lo, s26, v4
	s_delay_alu instid0(VALU_DEP_2) | instskip(SKIP_4) | instid1(VALU_DEP_1)
	v_add_co_ci_u32_e32 v5, vcc_lo, s27, v5, vcc_lo
	global_load_b128 v[11:14], v[4:5], off
	v_add_nc_u32_e32 v4, v9, v1
	s_waitcnt vmcnt(0)
	v_fmac_f32_e32 v6, v11, v11
	v_fmac_f32_e32 v6, v12, v12
	s_delay_alu instid0(VALU_DEP_1) | instskip(NEXT) | instid1(VALU_DEP_1)
	v_fmac_f32_e32 v6, v13, v13
	v_fmac_f32_e32 v6, v14, v14
	v_cmpx_gt_u32_e64 s8, v4
	s_cbranch_execz .LBB38_3
; %bb.7:                                ;   in Loop: Header=BB38_5 Depth=1
	v_mov_b32_e32 v5, v2
	s_mov_b32 s23, -1
	s_mov_b32 s22, exec_lo
	s_delay_alu instid0(VALU_DEP_1) | instskip(NEXT) | instid1(VALU_DEP_1)
	v_lshlrev_b64 v[4:5], 4, v[4:5]
	v_add_co_u32 v4, vcc_lo, s26, v4
	s_delay_alu instid0(VALU_DEP_2) | instskip(SKIP_3) | instid1(VALU_DEP_1)
	v_add_co_ci_u32_e32 v5, vcc_lo, s27, v5, vcc_lo
	global_load_b128 v[11:14], v[4:5], off
	s_waitcnt vmcnt(0)
	v_fmac_f32_e32 v6, v11, v11
	v_fmac_f32_e32 v6, v12, v12
	s_delay_alu instid0(VALU_DEP_1) | instskip(NEXT) | instid1(VALU_DEP_1)
	v_fmac_f32_e32 v6, v13, v13
	v_dual_fmac_f32 v6, v14, v14 :: v_dual_add_nc_u32 v1, v8, v1
	s_delay_alu instid0(VALU_DEP_1)
	v_cmpx_gt_u32_e64 s8, v1
	s_xor_b32 s22, exec_lo, s22
	s_cbranch_execz .LBB38_2
; %bb.8:                                ;   in Loop: Header=BB38_5 Depth=1
	v_lshlrev_b64 v[4:5], 4, v[1:2]
	v_add3_u32 v1, v10, v7, v3
	s_delay_alu instid0(VALU_DEP_2) | instskip(NEXT) | instid1(VALU_DEP_3)
	v_add_co_u32 v4, vcc_lo, s26, v4
	v_add_co_ci_u32_e32 v5, vcc_lo, s27, v5, vcc_lo
	s_delay_alu instid0(VALU_DEP_3) | instskip(SKIP_4) | instid1(VALU_DEP_1)
	v_cmp_le_u32_e32 vcc_lo, s8, v1
	global_load_b128 v[11:14], v[4:5], off
	s_or_not1_b32 s23, vcc_lo, exec_lo
	s_waitcnt vmcnt(0)
	v_fmac_f32_e32 v6, v11, v11
	v_fmac_f32_e32 v6, v12, v12
	s_delay_alu instid0(VALU_DEP_1) | instskip(NEXT) | instid1(VALU_DEP_1)
	v_fmac_f32_e32 v6, v13, v13
	v_fmac_f32_e32 v6, v14, v14
	s_branch .LBB38_2
.LBB38_9:
	s_or_b32 exec_lo, exec_lo, s9
.LBB38_10:
	s_delay_alu instid0(SALU_CYCLE_1) | instskip(SKIP_4) | instid1(VALU_DEP_2)
	s_or_b32 exec_lo, exec_lo, s3
	v_mbcnt_lo_u32_b32 v1, -1, 0
	s_load_b32 s3, s[18:19], 0xc
	v_and_b32_e32 v7, 0x3e0, v0
	s_mov_b32 s9, exec_lo
	v_cmp_ne_u32_e32 vcc_lo, 31, v1
	v_add_nc_u32_e32 v3, 1, v1
	v_add_co_ci_u32_e32 v2, vcc_lo, 0, v1, vcc_lo
	v_cmp_gt_u32_e32 vcc_lo, 30, v1
	s_delay_alu instid0(VALU_DEP_2)
	v_lshlrev_b32_e32 v2, 2, v2
	v_cndmask_b32_e64 v5, 0, 1, vcc_lo
	ds_bpermute_b32 v4, v2, v6
	s_waitcnt lgkmcnt(0)
	s_and_b32 s3, s3, 0xffff
	v_lshlrev_b32_e32 v5, 1, v5
	v_sub_nc_u32_e64 v12, s3, v7 clamp
	s_delay_alu instid0(VALU_DEP_1) | instskip(SKIP_1) | instid1(VALU_DEP_4)
	v_cmp_lt_u32_e32 vcc_lo, v3, v12
	v_add_f32_e32 v7, v6, v4
	v_add_lshl_u32 v4, v5, v1, 2
	s_delay_alu instid0(VALU_DEP_2) | instskip(SKIP_2) | instid1(VALU_DEP_1)
	v_cndmask_b32_e32 v7, v6, v7, vcc_lo
	v_cmp_gt_u32_e32 vcc_lo, 28, v1
	v_cndmask_b32_e64 v5, 0, 1, vcc_lo
	v_lshlrev_b32_e32 v8, 2, v5
	ds_bpermute_b32 v6, v4, v7
	v_add_nc_u32_e32 v5, 2, v1
	s_delay_alu instid0(VALU_DEP_1) | instskip(SKIP_3) | instid1(VALU_DEP_2)
	v_cmp_lt_u32_e32 vcc_lo, v5, v12
	s_waitcnt lgkmcnt(0)
	v_add_f32_e32 v9, v7, v6
	v_add_lshl_u32 v6, v8, v1, 2
	v_cndmask_b32_e32 v9, v7, v9, vcc_lo
	v_cmp_gt_u32_e32 vcc_lo, 24, v1
	ds_bpermute_b32 v8, v6, v9
	v_cndmask_b32_e64 v7, 0, 1, vcc_lo
	s_delay_alu instid0(VALU_DEP_1) | instskip(SKIP_1) | instid1(VALU_DEP_1)
	v_lshlrev_b32_e32 v10, 3, v7
	v_add_nc_u32_e32 v7, 4, v1
	v_cmp_lt_u32_e32 vcc_lo, v7, v12
	s_waitcnt lgkmcnt(0)
	v_add_f32_e32 v11, v9, v8
	v_add_lshl_u32 v8, v10, v1, 2
	s_delay_alu instid0(VALU_DEP_2) | instskip(SKIP_3) | instid1(VALU_DEP_1)
	v_cndmask_b32_e32 v11, v9, v11, vcc_lo
	v_cmp_gt_u32_e32 vcc_lo, 16, v1
	ds_bpermute_b32 v10, v8, v11
	v_cndmask_b32_e64 v9, 0, 1, vcc_lo
	v_lshlrev_b32_e32 v13, 4, v9
	v_add_nc_u32_e32 v9, 8, v1
	s_delay_alu instid0(VALU_DEP_1) | instskip(SKIP_3) | instid1(VALU_DEP_2)
	v_cmp_lt_u32_e32 vcc_lo, v9, v12
	s_waitcnt lgkmcnt(0)
	v_add_f32_e32 v14, v11, v10
	v_add_lshl_u32 v10, v13, v1, 2
	v_cndmask_b32_e32 v13, v11, v14, vcc_lo
	v_add_nc_u32_e32 v11, 16, v1
	ds_bpermute_b32 v14, v10, v13
	v_cmp_lt_u32_e32 vcc_lo, v11, v12
	s_waitcnt lgkmcnt(0)
	v_add_f32_e32 v14, v13, v14
	s_delay_alu instid0(VALU_DEP_1)
	v_cndmask_b32_e32 v12, v13, v14, vcc_lo
	v_cmpx_eq_u32_e32 0, v1
	s_cbranch_execz .LBB38_12
; %bb.11:
	v_lshrrev_b32_e32 v13, 3, v0
	s_delay_alu instid0(VALU_DEP_1)
	v_and_b32_e32 v13, 0x7c, v13
	ds_store_b32 v13, v12 offset:4096
.LBB38_12:
	s_or_b32 exec_lo, exec_lo, s9
	s_delay_alu instid0(SALU_CYCLE_1)
	s_mov_b32 s9, exec_lo
	s_waitcnt lgkmcnt(0)
	s_barrier
	buffer_gl0_inv
	v_cmpx_gt_u32_e32 32, v0
	s_cbranch_execz .LBB38_14
; %bb.13:
	v_lshlrev_b32_e32 v1, 2, v1
	s_add_i32 s3, s3, 31
	s_delay_alu instid0(SALU_CYCLE_1) | instskip(NEXT) | instid1(SALU_CYCLE_1)
	s_lshr_b32 s3, s3, 5
	v_cmp_gt_u32_e32 vcc_lo, s3, v3
	ds_load_b32 v1, v1 offset:4096
	s_waitcnt lgkmcnt(0)
	ds_bpermute_b32 v2, v2, v1
	s_waitcnt lgkmcnt(0)
	v_add_f32_e32 v2, v1, v2
	s_delay_alu instid0(VALU_DEP_1) | instskip(SKIP_4) | instid1(VALU_DEP_1)
	v_cndmask_b32_e32 v1, v1, v2, vcc_lo
	v_cmp_gt_u32_e32 vcc_lo, s3, v5
	ds_bpermute_b32 v2, v4, v1
	s_waitcnt lgkmcnt(0)
	v_add_f32_e32 v2, v1, v2
	v_cndmask_b32_e32 v1, v1, v2, vcc_lo
	v_cmp_gt_u32_e32 vcc_lo, s3, v7
	ds_bpermute_b32 v2, v6, v1
	s_waitcnt lgkmcnt(0)
	v_add_f32_e32 v2, v1, v2
	s_delay_alu instid0(VALU_DEP_1) | instskip(SKIP_4) | instid1(VALU_DEP_1)
	v_cndmask_b32_e32 v1, v1, v2, vcc_lo
	v_cmp_gt_u32_e32 vcc_lo, s3, v9
	ds_bpermute_b32 v2, v8, v1
	s_waitcnt lgkmcnt(0)
	v_add_f32_e32 v2, v1, v2
	v_cndmask_b32_e32 v1, v1, v2, vcc_lo
	v_cmp_gt_u32_e32 vcc_lo, s3, v11
	ds_bpermute_b32 v2, v10, v1
	s_waitcnt lgkmcnt(0)
	v_add_f32_e32 v2, v1, v2
	s_delay_alu instid0(VALU_DEP_1)
	v_cndmask_b32_e32 v12, v1, v2, vcc_lo
.LBB38_14:
	s_or_b32 exec_lo, exec_lo, s9
	s_delay_alu instid0(SALU_CYCLE_1)
	s_mov_b32 s3, exec_lo
	v_cmpx_eq_u32_e32 0, v0
	s_cbranch_execz .LBB38_16
; %bb.15:
	v_cvt_f32_i32_e32 v1, s13
	s_delay_alu instid0(VALU_DEP_1) | instskip(SKIP_1) | instid1(VALU_DEP_2)
	v_div_scale_f32 v2, null, v1, v1, v12
	v_div_scale_f32 v5, vcc_lo, v12, v1, v12
	v_rcp_f32_e32 v3, v2
	s_waitcnt_depctr 0xfff
	v_fma_f32 v4, -v2, v3, 1.0
	s_delay_alu instid0(VALU_DEP_1) | instskip(NEXT) | instid1(VALU_DEP_1)
	v_fmac_f32_e32 v3, v4, v3
	v_mul_f32_e32 v4, v5, v3
	s_delay_alu instid0(VALU_DEP_1) | instskip(NEXT) | instid1(VALU_DEP_1)
	v_fma_f32 v6, -v2, v4, v5
	v_fmac_f32_e32 v4, v6, v3
	s_delay_alu instid0(VALU_DEP_1) | instskip(NEXT) | instid1(VALU_DEP_1)
	v_fma_f32 v2, -v2, v4, v5
	v_div_fmas_f32 v2, v2, v3, v4
	s_delay_alu instid0(VALU_DEP_1) | instskip(NEXT) | instid1(VALU_DEP_1)
	v_div_fixup_f32 v1, v2, v1, v12
	v_add_f32_e32 v1, s12, v1
	s_delay_alu instid0(VALU_DEP_1) | instskip(SKIP_1) | instid1(VALU_DEP_2)
	v_mul_f32_e32 v2, 0x4b800000, v1
	v_cmp_gt_f32_e32 vcc_lo, 0x800000, v1
	v_cndmask_b32_e32 v1, v1, v2, vcc_lo
	s_delay_alu instid0(VALU_DEP_1) | instskip(SKIP_2) | instid1(VALU_DEP_1)
	v_rsq_f32_e32 v1, v1
	s_waitcnt_depctr 0xfff
	v_mul_f32_e32 v2, 0x45800000, v1
	v_dual_cndmask_b32 v1, v1, v2 :: v_dual_mov_b32 v2, 0
	ds_store_b32 v2, v1 offset:4224
.LBB38_16:
	s_or_b32 exec_lo, exec_lo, s3
	s_ashr_i32 s15, s13, 31
	v_mov_b32_e32 v4, 0
	s_lshr_b32 s3, s15, 26
	s_waitcnt lgkmcnt(0)
	s_add_i32 s3, s13, s3
	s_barrier
	s_ashr_i32 s12, s3, 6
	s_cmp_lt_u32 s16, s29
	buffer_gl0_inv
	s_cselect_b32 s9, 12, 18
	ds_load_b32 v28, v4 offset:4224
	s_add_u32 s18, s18, s9
	s_addc_u32 s19, s19, 0
	s_abs_i32 s9, s12
	global_load_u16 v1, v4, s[18:19]
	v_cvt_f32_u32_e32 v2, s9
	s_sub_i32 s18, 0, s9
	s_ashr_i32 s3, s3, 31
	s_delay_alu instid0(VALU_DEP_1) | instskip(SKIP_2) | instid1(VALU_DEP_1)
	v_rcp_iflag_f32_e32 v2, v2
	s_waitcnt_depctr 0xfff
	v_mul_f32_e32 v2, 0x4f7ffffe, v2
	v_cvt_u32_f32_e32 v2, v2
	s_delay_alu instid0(VALU_DEP_1) | instskip(NEXT) | instid1(VALU_DEP_1)
	v_readfirstlane_b32 s13, v2
	s_mul_i32 s18, s18, s13
	s_delay_alu instid0(SALU_CYCLE_1) | instskip(NEXT) | instid1(SALU_CYCLE_1)
	s_mul_hi_u32 s18, s13, s18
	s_add_i32 s13, s13, s18
	s_waitcnt vmcnt(0)
	v_readfirstlane_b32 s28, v1
	s_delay_alu instid0(VALU_DEP_1) | instskip(NEXT) | instid1(SALU_CYCLE_1)
	s_mul_hi_u32 s13, s28, s13
	s_mul_i32 s18, s13, s9
	s_add_i32 s19, s13, 1
	s_sub_i32 s18, s28, s18
	s_delay_alu instid0(SALU_CYCLE_1)
	s_sub_i32 s20, s18, s9
	s_cmp_ge_u32 s18, s9
	s_cselect_b32 s13, s19, s13
	s_cselect_b32 s18, s20, s18
	s_add_i32 s19, s13, 1
	s_cmp_ge_u32 s18, s9
	s_cselect_b32 s9, s19, s13
	s_delay_alu instid0(SALU_CYCLE_1) | instskip(NEXT) | instid1(SALU_CYCLE_1)
	s_xor_b32 s9, s9, s3
	s_sub_i32 s18, s9, s3
	s_delay_alu instid0(SALU_CYCLE_1) | instskip(SKIP_3) | instid1(VALU_DEP_1)
	s_abs_i32 s3, s18
	s_ashr_i32 s19, s18, 31
	v_cvt_f32_u32_e32 v1, s3
	s_sub_i32 s9, 0, s3
	v_rcp_iflag_f32_e32 v1, v1
	s_waitcnt_depctr 0xfff
	v_mul_f32_e32 v1, 0x4f7ffffe, v1
	s_delay_alu instid0(VALU_DEP_1) | instskip(NEXT) | instid1(VALU_DEP_1)
	v_cvt_u32_f32_e32 v1, v1
	v_mul_lo_u32 v2, s9, v1
	s_ashr_i32 s9, s8, 31
	s_delay_alu instid0(VALU_DEP_1) | instskip(NEXT) | instid1(VALU_DEP_1)
	v_mul_hi_u32 v2, v1, v2
	v_add_nc_u32_e32 v1, v1, v2
	s_delay_alu instid0(VALU_DEP_1) | instskip(NEXT) | instid1(VALU_DEP_1)
	v_mul_hi_u32 v1, v0, v1
	v_mul_lo_u32 v2, v1, s3
	v_add_nc_u32_e32 v3, 1, v1
	s_delay_alu instid0(VALU_DEP_2) | instskip(NEXT) | instid1(VALU_DEP_1)
	v_sub_nc_u32_e32 v2, v0, v2
	v_subrev_nc_u32_e32 v5, s3, v2
	v_cmp_le_u32_e32 vcc_lo, s3, v2
	s_delay_alu instid0(VALU_DEP_2) | instskip(NEXT) | instid1(VALU_DEP_1)
	v_dual_cndmask_b32 v2, v2, v5 :: v_dual_cndmask_b32 v1, v1, v3
	v_cmp_le_u32_e32 vcc_lo, s3, v2
	s_delay_alu instid0(VALU_DEP_2) | instskip(NEXT) | instid1(VALU_DEP_1)
	v_add_nc_u32_e32 v3, 1, v1
	v_cndmask_b32_e32 v1, v1, v3, vcc_lo
	s_delay_alu instid0(VALU_DEP_1) | instskip(NEXT) | instid1(VALU_DEP_1)
	v_xor_b32_e32 v1, s19, v1
	v_subrev_nc_u32_e32 v1, s19, v1
	s_delay_alu instid0(VALU_DEP_1) | instskip(SKIP_1) | instid1(VALU_DEP_2)
	v_ashrrev_i32_e32 v2, 31, v1
	v_mul_lo_u32 v3, v1, s18
	v_lshlrev_b64 v[7:8], 4, v[1:2]
	s_delay_alu instid0(VALU_DEP_2) | instskip(NEXT) | instid1(VALU_DEP_2)
	v_sub_nc_u32_e32 v3, v0, v3
	v_add_co_u32 v5, vcc_lo, v7, 16
	s_delay_alu instid0(VALU_DEP_3) | instskip(NEXT) | instid1(VALU_DEP_1)
	v_add_co_ci_u32_e32 v6, vcc_lo, 0, v8, vcc_lo
	v_cmp_gt_i64_e32 vcc_lo, s[8:9], v[5:6]
	v_cndmask_b32_e32 v6, s9, v6, vcc_lo
	v_cndmask_b32_e32 v5, s8, v5, vcc_lo
	v_add_co_u32 v7, vcc_lo, v7, v3
	v_add_co_ci_u32_e32 v8, vcc_lo, 0, v8, vcc_lo
	s_delay_alu instid0(VALU_DEP_3) | instskip(SKIP_2) | instid1(VALU_DEP_1)
	v_ashrrev_i32_e32 v10, 31, v5
	v_mov_b32_e32 v9, v5
	s_mov_b32 s9, exec_lo
	v_cmpx_lt_i64_e64 v[7:8], v[9:10]
	s_cbranch_execz .LBB38_26
; %bb.17:
	v_lshlrev_b64 v[11:12], 8, v[1:2]
	v_lshlrev_b64 v[13:14], 4, v[3:4]
	v_mov_b32_e32 v4, 0
	s_lshl_b64 s[20:21], s[18:19], 6
	s_mul_hi_i32 s13, s18, 3
	s_mul_i32 s30, s18, 3
	s_lshl_b64 s[22:23], s[18:19], 1
	v_add_co_u32 v19, vcc_lo, v11, v13
	v_add_co_ci_u32_e32 v20, vcc_lo, v12, v14, vcc_lo
	v_dual_mov_b32 v12, v8 :: v_dual_mov_b32 v11, v7
	s_lshl_b64 s[24:25], s[18:19], 4
	s_mov_b32 s31, 0
                                        ; implicit-def: $sgpr33
	s_branch .LBB38_21
.LBB38_18:                              ;   in Loop: Header=BB38_21 Depth=1
	s_or_b32 exec_lo, exec_lo, s36
	s_delay_alu instid0(SALU_CYCLE_1)
	s_or_not1_b32 s3, s3, exec_lo
.LBB38_19:                              ;   in Loop: Header=BB38_21 Depth=1
	s_or_b32 exec_lo, exec_lo, s35
	s_delay_alu instid0(SALU_CYCLE_1) | instskip(SKIP_1) | instid1(SALU_CYCLE_1)
	s_and_not1_b32 s33, s33, exec_lo
	s_and_b32 s3, s3, exec_lo
	s_or_b32 s33, s33, s3
.LBB38_20:                              ;   in Loop: Header=BB38_21 Depth=1
	s_or_b32 exec_lo, exec_lo, s34
	s_delay_alu instid0(SALU_CYCLE_1) | instskip(NEXT) | instid1(SALU_CYCLE_1)
	s_and_b32 s3, exec_lo, s33
	s_or_b32 s31, s3, s31
	s_delay_alu instid0(SALU_CYCLE_1)
	s_and_not1_b32 exec_lo, exec_lo, s31
	s_cbranch_execz .LBB38_25
.LBB38_21:                              ; =>This Inner Loop Header: Depth=1
	v_add_co_u32 v15, vcc_lo, s26, v19
	v_add_co_ci_u32_e32 v16, vcc_lo, s27, v20, vcc_lo
	v_add_co_u32 v17, vcc_lo, s10, v19
	v_add_co_ci_u32_e32 v18, vcc_lo, s11, v20, vcc_lo
	s_or_b32 s33, s33, exec_lo
	global_load_b128 v[21:24], v[15:16], off
	global_load_b128 v[29:32], v[17:18], off
	s_mov_b32 s34, exec_lo
	s_waitcnt vmcnt(1) lgkmcnt(0)
	v_mul_f32_e32 v14, v28, v22
	v_mul_f32_e32 v13, v28, v21
	;; [unrolled: 1-line block ×3, first 2 shown]
	s_waitcnt vmcnt(0)
	s_delay_alu instid0(VALU_DEP_3) | instskip(NEXT) | instid1(VALU_DEP_2)
	v_dual_mul_f32 v21, v28, v23 :: v_dual_mul_f32 v24, v14, v30
	v_dual_mul_f32 v23, v13, v29 :: v_dual_mul_f32 v22, v22, v32
	s_delay_alu instid0(VALU_DEP_2) | instskip(SKIP_1) | instid1(VALU_DEP_3)
	v_mul_f32_e32 v21, v21, v31
	v_add_co_u32 v13, vcc_lo, v11, s18
	v_max3_f32 v4, v4, |v23|, |v24|
	v_add_co_ci_u32_e32 v14, vcc_lo, s19, v12, vcc_lo
	s_delay_alu instid0(VALU_DEP_2) | instskip(NEXT) | instid1(VALU_DEP_2)
	v_max3_f32 v4, v4, |v21|, |v22|
	v_cmpx_lt_i64_e64 v[13:14], v[9:10]
	s_cbranch_execz .LBB38_20
; %bb.22:                               ;   in Loop: Header=BB38_21 Depth=1
	v_add_co_u32 v15, vcc_lo, v15, s24
	v_add_co_ci_u32_e32 v16, vcc_lo, s25, v16, vcc_lo
	v_add_co_u32 v17, vcc_lo, v17, s24
	v_add_co_ci_u32_e32 v18, vcc_lo, s25, v18, vcc_lo
	s_mov_b32 s3, -1
	global_load_b128 v[21:24], v[15:16], off
	global_load_b128 v[29:32], v[17:18], off
	s_mov_b32 s35, exec_lo
	s_waitcnt vmcnt(1)
	v_mul_f32_e32 v22, v28, v22
	v_mul_f32_e32 v21, v28, v21
	v_mul_f32_e32 v23, v28, v23
	v_mul_f32_e32 v24, v28, v24
	s_waitcnt vmcnt(0)
	s_delay_alu instid0(VALU_DEP_3) | instskip(NEXT) | instid1(VALU_DEP_2)
	v_dual_mul_f32 v26, v22, v30 :: v_dual_mul_f32 v25, v21, v29
	v_dual_mul_f32 v23, v23, v31 :: v_dual_mul_f32 v24, v24, v32
	v_add_co_u32 v21, vcc_lo, s22, v11
	s_delay_alu instid0(VALU_DEP_3) | instskip(SKIP_1) | instid1(VALU_DEP_2)
	v_max3_f32 v4, v4, |v25|, |v26|
	v_add_co_ci_u32_e32 v22, vcc_lo, s23, v12, vcc_lo
	v_max3_f32 v4, v4, |v23|, |v24|
	s_delay_alu instid0(VALU_DEP_2)
	v_cmpx_lt_i64_e64 v[21:22], v[9:10]
	s_cbranch_execz .LBB38_19
; %bb.23:                               ;   in Loop: Header=BB38_21 Depth=1
	v_add_co_u32 v15, vcc_lo, v15, s24
	v_add_co_ci_u32_e32 v16, vcc_lo, s25, v16, vcc_lo
	v_add_co_u32 v17, vcc_lo, v17, s24
	v_add_co_ci_u32_e32 v18, vcc_lo, s25, v18, vcc_lo
	v_add_co_u32 v11, vcc_lo, s30, v11
	global_load_b128 v[21:24], v[15:16], off
	global_load_b128 v[29:32], v[17:18], off
	v_add_co_ci_u32_e32 v12, vcc_lo, s13, v12, vcc_lo
	s_delay_alu instid0(VALU_DEP_1)
	v_cmp_lt_i64_e32 vcc_lo, v[11:12], v[9:10]
                                        ; implicit-def: $vgpr11_vgpr12
	s_waitcnt vmcnt(1)
	v_mul_f32_e32 v22, v28, v22
	v_mul_f32_e32 v21, v28, v21
	;; [unrolled: 1-line block ×4, first 2 shown]
	s_waitcnt vmcnt(0)
	s_delay_alu instid0(VALU_DEP_3) | instskip(NEXT) | instid1(VALU_DEP_3)
	v_dual_mul_f32 v22, v22, v30 :: v_dual_mul_f32 v21, v21, v29
	v_mul_f32_e32 v23, v23, v31
	s_delay_alu instid0(VALU_DEP_2) | instskip(SKIP_1) | instid1(VALU_DEP_1)
	v_max3_f32 v4, v4, |v21|, |v22|
	v_mul_f32_e32 v21, v24, v32
	v_max3_f32 v4, v4, |v23|, |v21|
	s_and_saveexec_b32 s36, vcc_lo
	s_delay_alu instid0(SALU_CYCLE_1)
	s_xor_b32 s36, exec_lo, s36
	s_cbranch_execz .LBB38_18
; %bb.24:                               ;   in Loop: Header=BB38_21 Depth=1
	v_add_co_u32 v11, vcc_lo, v15, s24
	v_add_co_ci_u32_e32 v12, vcc_lo, s25, v16, vcc_lo
	v_add_co_u32 v21, vcc_lo, v17, s24
	v_add_co_ci_u32_e32 v22, vcc_lo, s25, v18, vcc_lo
	s_add_u32 s3, s18, s18
	global_load_b128 v[15:18], v[11:12], off
	global_load_b128 v[21:24], v[21:22], off
	s_addc_u32 s37, s19, s19
	s_add_u32 s3, s3, s18
	s_addc_u32 s37, s37, s19
	s_waitcnt vmcnt(1)
	v_mul_f32_e32 v11, v28, v15
	v_mul_f32_e32 v12, v28, v16
	;; [unrolled: 1-line block ×3, first 2 shown]
	s_waitcnt vmcnt(0)
	s_delay_alu instid0(VALU_DEP_3) | instskip(NEXT) | instid1(VALU_DEP_3)
	v_dual_mul_f32 v16, v28, v18 :: v_dual_mul_f32 v17, v11, v21
	v_mul_f32_e32 v18, v12, v22
	v_add_co_u32 v11, vcc_lo, s3, v13
	v_mul_f32_e32 v13, v15, v23
	v_add_co_ci_u32_e32 v12, vcc_lo, s37, v14, vcc_lo
	v_mul_f32_e32 v14, v16, v24
	v_max3_f32 v4, v4, |v17|, |v18|
	v_add_co_u32 v19, s3, v19, s20
	s_delay_alu instid0(VALU_DEP_4) | instskip(SKIP_1) | instid1(VALU_DEP_4)
	v_cmp_ge_i64_e32 vcc_lo, v[11:12], v[9:10]
	v_add_co_ci_u32_e64 v20, s3, s21, v20, s3
	v_max3_f32 v4, v4, |v13|, |v14|
	s_or_not1_b32 s3, vcc_lo, exec_lo
	s_branch .LBB38_18
.LBB38_25:
	s_or_b32 exec_lo, exec_lo, s31
.LBB38_26:
	s_delay_alu instid0(SALU_CYCLE_1)
	s_or_b32 exec_lo, exec_lo, s9
	s_lshr_b32 s9, s28, 5
	v_lshlrev_b32_e32 v29, 2, v0
	v_cvt_f32_u32_e32 v9, s9
	s_sub_i32 s13, 0, s9
	s_add_i32 s20, s12, s9
	s_delay_alu instid0(SALU_CYCLE_1) | instskip(NEXT) | instid1(VALU_DEP_1)
	s_add_i32 s20, s20, -1
	v_rcp_iflag_f32_e32 v9, v9
	s_abs_i32 s21, s20
	s_ashr_i32 s20, s20, 31
	ds_store_b32 v29, v4
	s_waitcnt lgkmcnt(0)
	s_barrier
	buffer_gl0_inv
	v_mul_f32_e32 v9, 0x4f7ffffe, v9
	s_delay_alu instid0(VALU_DEP_1) | instskip(NEXT) | instid1(VALU_DEP_1)
	v_cvt_u32_f32_e32 v9, v9
	v_readfirstlane_b32 s3, v9
	s_delay_alu instid0(VALU_DEP_1) | instskip(NEXT) | instid1(SALU_CYCLE_1)
	s_mul_i32 s13, s13, s3
	s_mul_hi_u32 s13, s3, s13
	s_delay_alu instid0(SALU_CYCLE_1) | instskip(NEXT) | instid1(SALU_CYCLE_1)
	s_add_i32 s3, s3, s13
	s_mul_hi_u32 s3, s21, s3
	s_delay_alu instid0(SALU_CYCLE_1) | instskip(NEXT) | instid1(SALU_CYCLE_1)
	s_mul_i32 s13, s3, s9
	s_sub_i32 s13, s21, s13
	s_add_i32 s21, s3, 1
	s_sub_i32 s22, s13, s9
	s_cmp_ge_u32 s13, s9
	s_cselect_b32 s3, s21, s3
	s_cselect_b32 s13, s22, s13
	s_add_i32 s21, s3, 1
	s_cmp_ge_u32 s13, s9
	s_cselect_b32 s3, s21, s3
	s_delay_alu instid0(SALU_CYCLE_1) | instskip(NEXT) | instid1(SALU_CYCLE_1)
	s_xor_b32 s3, s3, s20
	s_sub_i32 s20, s3, s20
	s_delay_alu instid0(SALU_CYCLE_1) | instskip(NEXT) | instid1(SALU_CYCLE_1)
	s_ashr_i32 s21, s20, 31
	v_cmp_lt_i64_e64 s3, s[20:21], 1
	s_delay_alu instid0(VALU_DEP_1)
	s_and_b32 vcc_lo, exec_lo, s3
	s_cbranch_vccnz .LBB38_46
; %bb.27:
	v_lshrrev_b32_e32 v9, 5, v0
	v_and_b32_e32 v4, 31, v0
	s_ashr_i32 s13, s12, 31
	s_mov_b64 s[22:23], 0
	s_mov_b64 s[24:25], src_shared_base
	v_mul_lo_u32 v19, s18, v9
	v_add_co_u32 v11, s3, v4, 16
	s_delay_alu instid0(VALU_DEP_1) | instskip(SKIP_1) | instid1(VALU_DEP_1)
	v_add_co_ci_u32_e64 v12, null, 0, 0, s3
	v_add_co_u32 v13, s3, v4, 8
	v_add_co_ci_u32_e64 v14, null, 0, 0, s3
	v_add_co_u32 v15, s3, v4, 4
	v_dual_mov_b32 v10, 0 :: v_dual_lshlrev_b32 v21, 2, v19
	v_lshlrev_b32_e32 v22, 2, v4
	v_add_co_ci_u32_e64 v16, null, 0, 0, s3
	v_add_co_u32 v17, s3, v4, 2
	s_delay_alu instid0(VALU_DEP_1) | instskip(SKIP_1) | instid1(VALU_DEP_1)
	v_add_co_ci_u32_e64 v18, null, 0, 0, s3
	v_add_co_u32 v19, s3, v4, 1
	v_add_co_ci_u32_e64 v20, null, 0, 0, s3
	v_add3_u32 v30, v21, v22, 0x80
	s_mul_i32 s3, s18, s9
	s_delay_alu instid0(SALU_CYCLE_1)
	s_lshl_b32 s30, s3, 2
	s_branch .LBB38_30
.LBB38_28:                              ;   in Loop: Header=BB38_30 Depth=1
	s_or_b32 exec_lo, exec_lo, s3
	v_mov_b32_e32 v22, s25
	flat_load_b32 v21, v[21:22] glc dlc
	s_waitcnt vmcnt(0)
.LBB38_29:                              ;   in Loop: Header=BB38_30 Depth=1
	s_or_b32 exec_lo, exec_lo, s24
	s_add_u32 s22, s22, 1
	v_add_nc_u32_e32 v30, s30, v30
	s_addc_u32 s23, s23, 0
	s_delay_alu instid0(SALU_CYCLE_1)
	s_cmp_eq_u64 s[22:23], s[20:21]
	s_cbranch_scc1 .LBB38_46
.LBB38_30:                              ; =>This Loop Header: Depth=1
                                        ;     Child Loop BB38_33 Depth 2
	s_waitcnt lgkmcnt(0)
	v_mad_u64_u32 v[21:22], null, s22, s9, v[9:10]
	s_mov_b32 s24, exec_lo
	s_delay_alu instid0(VALU_DEP_1) | instskip(NEXT) | instid1(VALU_DEP_1)
	v_mad_u64_u32 v[23:24], null, s23, s9, v[22:23]
	v_mov_b32_e32 v22, v23
	s_delay_alu instid0(VALU_DEP_1)
	v_cmpx_gt_i64_e64 s[12:13], v[21:22]
	s_cbranch_execz .LBB38_29
; %bb.31:                               ;   in Loop: Header=BB38_30 Depth=1
	v_mul_lo_u32 v24, v22, s18
	v_mul_lo_u32 v25, v21, s19
	v_mad_u64_u32 v[22:23], null, v21, s18, 0
	s_delay_alu instid0(VALU_DEP_1) | instskip(NEXT) | instid1(VALU_DEP_2)
	v_add3_u32 v23, v23, v25, v24
	v_add_co_u32 v24, vcc_lo, v22, s18
	v_add_co_u32 v31, s3, v22, v4
	s_delay_alu instid0(VALU_DEP_3) | instskip(SKIP_2) | instid1(VALU_DEP_2)
	v_add_co_ci_u32_e32 v25, vcc_lo, s19, v23, vcc_lo
	v_add_co_ci_u32_e64 v21, s3, 0, v23, s3
	s_mov_b32 s3, exec_lo
	v_cmp_gt_i64_e32 vcc_lo, s[14:15], v[24:25]
	v_cndmask_b32_e32 v25, s15, v25, vcc_lo
	v_cndmask_b32_e32 v24, s14, v24, vcc_lo
	v_add_co_u32 v26, vcc_lo, v31, 32
	v_add_co_ci_u32_e32 v27, vcc_lo, 0, v21, vcc_lo
	v_lshlrev_b32_e32 v21, 2, v31
	s_delay_alu instid0(VALU_DEP_2)
	v_cmpx_lt_i64_e64 v[26:27], v[24:25]
	s_cbranch_execz .LBB38_34
; %bb.32:                               ;   in Loop: Header=BB38_30 Depth=1
	ds_load_b32 v33, v21
	v_mov_b32_e32 v32, v30
	s_mov_b32 s31, 0
.LBB38_33:                              ;   Parent Loop BB38_30 Depth=1
                                        ; =>  This Inner Loop Header: Depth=2
	ds_load_b32 v34, v32
	v_add_co_u32 v26, vcc_lo, v26, 32
	v_add_co_ci_u32_e32 v27, vcc_lo, 0, v27, vcc_lo
	s_waitcnt lgkmcnt(1)
	v_dual_max_f32 v33, v33, v33 :: v_dual_add_nc_u32 v32, 0x80, v32
	s_delay_alu instid0(VALU_DEP_2) | instskip(SKIP_3) | instid1(VALU_DEP_1)
	v_cmp_ge_i64_e32 vcc_lo, v[26:27], v[24:25]
	s_or_b32 s31, vcc_lo, s31
	s_waitcnt lgkmcnt(0)
	v_max_f32_e32 v34, v34, v34
	v_max_f32_e32 v33, v33, v34
	ds_store_b32 v21, v33
	s_and_not1_b32 exec_lo, exec_lo, s31
	s_cbranch_execnz .LBB38_33
.LBB38_34:                              ;   in Loop: Header=BB38_30 Depth=1
	s_or_b32 exec_lo, exec_lo, s3
	v_sub_co_u32 v22, vcc_lo, v24, v22
	v_sub_co_ci_u32_e32 v23, vcc_lo, v25, v23, vcc_lo
	s_mov_b32 s3, exec_lo
	s_delay_alu instid0(VALU_DEP_1) | instskip(SKIP_1) | instid1(VALU_DEP_1)
	v_cmp_gt_i64_e32 vcc_lo, 32, v[22:23]
	v_dual_cndmask_b32 v24, 0, v23 :: v_dual_cndmask_b32 v23, 32, v22
	v_cmpx_lt_i64_e64 v[11:12], v[23:24]
	s_cbranch_execz .LBB38_36
; %bb.35:                               ;   in Loop: Header=BB38_30 Depth=1
	v_dual_mov_b32 v22, s25 :: v_dual_add_nc_u32 v25, 64, v21
	v_mov_b32_e32 v26, s25
	flat_load_b32 v27, v[21:22] glc dlc
	s_waitcnt vmcnt(0)
	flat_load_b32 v25, v[25:26] glc dlc
	s_waitcnt vmcnt(0) lgkmcnt(0)
	v_dual_max_f32 v26, v27, v27 :: v_dual_max_f32 v25, v25, v25
	s_delay_alu instid0(VALU_DEP_1)
	v_max_f32_e32 v25, v26, v25
	flat_store_b32 v[21:22], v25 dlc
	s_waitcnt_vscnt null, 0x0
.LBB38_36:                              ;   in Loop: Header=BB38_30 Depth=1
	s_or_b32 exec_lo, exec_lo, s3
	s_delay_alu instid0(SALU_CYCLE_1)
	s_mov_b32 s3, exec_lo
	v_cmpx_lt_i64_e64 v[13:14], v[23:24]
	s_cbranch_execz .LBB38_38
; %bb.37:                               ;   in Loop: Header=BB38_30 Depth=1
	v_dual_mov_b32 v22, s25 :: v_dual_add_nc_u32 v25, 32, v21
	v_mov_b32_e32 v26, s25
	flat_load_b32 v27, v[21:22] glc dlc
	s_waitcnt vmcnt(0)
	flat_load_b32 v25, v[25:26] glc dlc
	s_waitcnt vmcnt(0) lgkmcnt(0)
	v_dual_max_f32 v26, v27, v27 :: v_dual_max_f32 v25, v25, v25
	s_delay_alu instid0(VALU_DEP_1)
	v_max_f32_e32 v25, v26, v25
	flat_store_b32 v[21:22], v25 dlc
	s_waitcnt_vscnt null, 0x0
.LBB38_38:                              ;   in Loop: Header=BB38_30 Depth=1
	s_or_b32 exec_lo, exec_lo, s3
	s_delay_alu instid0(SALU_CYCLE_1)
	s_mov_b32 s3, exec_lo
	v_cmpx_ge_i64_e64 v[15:16], v[23:24]
	s_xor_b32 s3, exec_lo, s3
; %bb.39:                               ;   in Loop: Header=BB38_30 Depth=1
                                        ; implicit-def: $vgpr21
; %bb.40:                               ;   in Loop: Header=BB38_30 Depth=1
	s_delay_alu instid0(SALU_CYCLE_1)
	s_and_not1_saveexec_b32 s3, s3
	s_cbranch_execz .LBB38_42
; %bb.41:                               ;   in Loop: Header=BB38_30 Depth=1
	v_dual_mov_b32 v22, s25 :: v_dual_add_nc_u32 v25, 16, v21
	v_mov_b32_e32 v26, s25
	flat_load_b32 v27, v[21:22] glc dlc
	s_waitcnt vmcnt(0)
	flat_load_b32 v25, v[25:26] glc dlc
	s_waitcnt vmcnt(0) lgkmcnt(0)
	v_dual_max_f32 v26, v27, v27 :: v_dual_max_f32 v25, v25, v25
	s_delay_alu instid0(VALU_DEP_1)
	v_max_f32_e32 v25, v26, v25
	flat_store_b32 v[21:22], v25 dlc
	s_waitcnt_vscnt null, 0x0
.LBB38_42:                              ;   in Loop: Header=BB38_30 Depth=1
	s_or_b32 exec_lo, exec_lo, s3
	v_lshlrev_b32_e32 v21, 2, v31
	s_mov_b32 s3, exec_lo
	v_cmpx_lt_i64_e64 v[17:18], v[23:24]
	s_cbranch_execz .LBB38_44
; %bb.43:                               ;   in Loop: Header=BB38_30 Depth=1
	s_delay_alu instid0(VALU_DEP_2)
	v_dual_mov_b32 v22, s25 :: v_dual_add_nc_u32 v25, 8, v21
	v_mov_b32_e32 v26, s25
	flat_load_b32 v27, v[21:22] glc dlc
	s_waitcnt vmcnt(0)
	flat_load_b32 v25, v[25:26] glc dlc
	s_waitcnt vmcnt(0) lgkmcnt(0)
	v_dual_max_f32 v26, v27, v27 :: v_dual_max_f32 v25, v25, v25
	s_delay_alu instid0(VALU_DEP_1)
	v_max_f32_e32 v25, v26, v25
	flat_store_b32 v[21:22], v25 dlc
	s_waitcnt_vscnt null, 0x0
.LBB38_44:                              ;   in Loop: Header=BB38_30 Depth=1
	s_or_b32 exec_lo, exec_lo, s3
	s_delay_alu instid0(SALU_CYCLE_1)
	s_mov_b32 s3, exec_lo
	v_cmpx_lt_i64_e64 v[19:20], v[23:24]
	s_cbranch_execz .LBB38_28
; %bb.45:                               ;   in Loop: Header=BB38_30 Depth=1
	v_dual_mov_b32 v22, s25 :: v_dual_add_nc_u32 v23, 4, v21
	v_mov_b32_e32 v24, s25
	flat_load_b32 v25, v[21:22] glc dlc
	s_waitcnt vmcnt(0)
	flat_load_b32 v23, v[23:24] glc dlc
	s_waitcnt vmcnt(0) lgkmcnt(0)
	v_dual_max_f32 v24, v25, v25 :: v_dual_max_f32 v23, v23, v23
	s_delay_alu instid0(VALU_DEP_1)
	v_max_f32_e32 v23, v24, v23
	flat_store_b32 v[21:22], v23 dlc
	s_waitcnt_vscnt null, 0x0
	s_branch .LBB38_28
.LBB38_46:
	s_load_b64 s[12:13], s[0:1], 0x40
	v_cmp_lt_i64_e32 vcc_lo, v[7:8], v[5:6]
	v_cmp_eq_u32_e64 s3, 0, v3
	s_waitcnt lgkmcnt(0)
	s_barrier
	buffer_gl0_inv
	s_and_b32 s9, s3, vcc_lo
	s_delay_alu instid0(SALU_CYCLE_1)
	s_and_saveexec_b32 s3, s9
	s_cbranch_execz .LBB38_53
; %bb.47:
	s_load_b64 s[0:1], s[0:1], 0x20
	ds_load_b32 v5, v29
	s_waitcnt lgkmcnt(0)
	s_cmp_eq_u64 s[0:1], 0
	s_cbranch_scc1 .LBB38_49
; %bb.48:
	s_load_b32 s0, s[0:1], 0x0
	v_max_f32_e32 v3, v5, v5
	s_waitcnt lgkmcnt(0)
	v_max_f32_e64 v4, s0, s0
	s_delay_alu instid0(VALU_DEP_1)
	v_min_f32_e32 v5, v3, v4
.LBB38_49:
	s_add_u32 s0, s12, s29
	s_addc_u32 s1, s13, 0
	s_add_u32 s18, s0, -1
	s_addc_u32 s19, s1, -1
	s_delay_alu instid0(SALU_CYCLE_1) | instskip(SKIP_1) | instid1(SALU_CYCLE_1)
	s_or_b64 s[20:21], s[18:19], s[12:13]
	s_mov_b32 s20, 0
	s_cmp_lg_u64 s[20:21], 0
	s_cbranch_scc0 .LBB38_66
; %bb.50:
	s_ashr_i32 s0, s13, 31
	s_delay_alu instid0(SALU_CYCLE_1) | instskip(SKIP_2) | instid1(SALU_CYCLE_1)
	s_add_u32 s22, s12, s0
	s_mov_b32 s1, s0
	s_addc_u32 s23, s13, s0
	s_xor_b64 s[0:1], s[22:23], s[0:1]
	s_delay_alu instid0(SALU_CYCLE_1) | instskip(SKIP_3) | instid1(VALU_DEP_1)
	v_cvt_f32_u32_e32 v3, s0
	v_cvt_f32_u32_e32 v4, s1
	s_sub_u32 s22, 0, s0
	s_subb_u32 s23, 0, s1
	v_fmamk_f32 v3, v4, 0x4f800000, v3
	s_delay_alu instid0(VALU_DEP_1) | instskip(SKIP_2) | instid1(VALU_DEP_1)
	v_rcp_f32_e32 v3, v3
	s_waitcnt_depctr 0xfff
	v_mul_f32_e32 v3, 0x5f7ffffc, v3
	v_mul_f32_e32 v4, 0x2f800000, v3
	s_delay_alu instid0(VALU_DEP_1) | instskip(NEXT) | instid1(VALU_DEP_1)
	v_trunc_f32_e32 v4, v4
	v_fmamk_f32 v3, v4, 0xcf800000, v3
	v_cvt_u32_f32_e32 v4, v4
	s_delay_alu instid0(VALU_DEP_2) | instskip(NEXT) | instid1(VALU_DEP_2)
	v_cvt_u32_f32_e32 v3, v3
	v_readfirstlane_b32 s9, v4
	s_delay_alu instid0(VALU_DEP_2) | instskip(NEXT) | instid1(VALU_DEP_2)
	v_readfirstlane_b32 s21, v3
	s_mul_i32 s24, s22, s9
	s_delay_alu instid0(VALU_DEP_1)
	s_mul_hi_u32 s30, s22, s21
	s_mul_i32 s25, s23, s21
	s_add_i32 s24, s30, s24
	s_mul_i32 s31, s22, s21
	s_add_i32 s24, s24, s25
	s_mul_hi_u32 s30, s21, s31
	s_mul_hi_u32 s33, s9, s31
	s_mul_i32 s25, s9, s31
	s_mul_hi_u32 s31, s21, s24
	s_mul_i32 s21, s21, s24
	s_mul_hi_u32 s34, s9, s24
	s_add_u32 s21, s30, s21
	s_addc_u32 s30, 0, s31
	s_add_u32 s21, s21, s25
	s_mul_i32 s24, s9, s24
	s_addc_u32 s21, s30, s33
	s_addc_u32 s25, s34, 0
	s_add_u32 s21, s21, s24
	s_addc_u32 s24, 0, s25
	v_add_co_u32 v3, s21, v3, s21
	s_delay_alu instid0(VALU_DEP_1) | instskip(SKIP_1) | instid1(VALU_DEP_1)
	s_cmp_lg_u32 s21, 0
	s_addc_u32 s9, s9, s24
	v_readfirstlane_b32 s21, v3
	s_mul_i32 s24, s22, s9
	s_delay_alu instid0(VALU_DEP_1)
	s_mul_hi_u32 s25, s22, s21
	s_mul_i32 s23, s23, s21
	s_add_i32 s24, s25, s24
	s_mul_i32 s22, s22, s21
	s_add_i32 s24, s24, s23
	s_mul_hi_u32 s25, s9, s22
	s_mul_i32 s30, s9, s22
	s_mul_hi_u32 s22, s21, s22
	s_mul_hi_u32 s31, s21, s24
	s_mul_i32 s21, s21, s24
	s_mul_hi_u32 s23, s9, s24
	s_add_u32 s21, s22, s21
	s_addc_u32 s22, 0, s31
	s_add_u32 s21, s21, s30
	s_mul_i32 s24, s9, s24
	s_addc_u32 s21, s22, s25
	s_addc_u32 s22, s23, 0
	s_add_u32 s21, s21, s24
	s_addc_u32 s22, 0, s22
	v_add_co_u32 v3, s21, v3, s21
	s_delay_alu instid0(VALU_DEP_1) | instskip(SKIP_2) | instid1(VALU_DEP_1)
	s_cmp_lg_u32 s21, 0
	s_addc_u32 s9, s9, s22
	s_ashr_i32 s22, s19, 31
	v_readfirstlane_b32 s21, v3
	s_add_u32 s24, s18, s22
	s_mov_b32 s23, s22
	s_addc_u32 s25, s19, s22
	s_delay_alu instid0(SALU_CYCLE_1) | instskip(NEXT) | instid1(SALU_CYCLE_1)
	s_xor_b64 s[24:25], s[24:25], s[22:23]
	s_mul_i32 s30, s24, s9
	s_mul_hi_u32 s31, s24, s21
	s_mul_hi_u32 s23, s24, s9
	;; [unrolled: 1-line block ×3, first 2 shown]
	s_mul_i32 s21, s25, s21
	s_add_u32 s30, s31, s30
	s_addc_u32 s23, 0, s23
	s_mul_hi_u32 s33, s25, s9
	s_add_u32 s21, s30, s21
	s_mul_i32 s9, s25, s9
	s_addc_u32 s21, s23, s34
	s_addc_u32 s23, s33, 0
	s_add_u32 s9, s21, s9
	s_addc_u32 s21, 0, s23
	s_mul_hi_u32 s23, s0, s9
	s_mul_i32 s21, s0, s21
	s_mul_i32 s30, s1, s9
	;; [unrolled: 1-line block ×3, first 2 shown]
	s_add_i32 s21, s23, s21
	v_sub_co_u32 v3, s9, s24, s9
	s_add_i32 s21, s21, s30
	s_delay_alu instid0(SALU_CYCLE_1) | instskip(SKIP_1) | instid1(VALU_DEP_1)
	s_sub_i32 s23, s25, s21
	s_cmp_lg_u32 s9, 0
	v_sub_co_u32 v4, s24, v3, s0
	s_subb_u32 s23, s23, s1
	s_cmp_lg_u32 s24, 0
	s_subb_u32 s30, s23, 0
	s_delay_alu instid0(VALU_DEP_1)
	v_cmp_le_u32_e32 vcc_lo, s0, v4
	s_cmp_ge_u32 s30, s1
	s_cselect_b32 s31, -1, 0
	s_cmp_eq_u32 s30, s1
	v_cndmask_b32_e64 v6, 0, -1, vcc_lo
	s_cselect_b32 vcc_lo, -1, 0
	s_cmp_lg_u32 s24, 0
	v_sub_co_u32 v7, s24, v4, s0
	s_subb_u32 s23, s23, s1
	s_cmp_lg_u32 s24, 0
	v_cndmask_b32_e32 v6, s31, v6, vcc_lo
	s_subb_u32 s23, s23, 0
	s_cmp_lg_u32 s9, 0
	v_cmp_le_u32_e32 vcc_lo, s0, v3
	s_subb_u32 s9, s25, s21
	s_delay_alu instid0(SALU_CYCLE_1)
	s_cmp_ge_u32 s9, s1
	v_cndmask_b32_e64 v8, 0, -1, vcc_lo
	s_cselect_b32 s21, -1, 0
	s_cmp_eq_u32 s9, s1
	v_cmp_ne_u32_e32 vcc_lo, 0, v6
	v_mov_b32_e32 v6, s23
	s_cselect_b32 s0, -1, 0
	s_delay_alu instid0(SALU_CYCLE_1) | instskip(SKIP_1) | instid1(VALU_DEP_3)
	v_cndmask_b32_e64 v8, s21, v8, s0
	v_cndmask_b32_e32 v4, v4, v7, vcc_lo
	v_cndmask_b32_e32 v6, s30, v6, vcc_lo
	s_delay_alu instid0(VALU_DEP_3) | instskip(NEXT) | instid1(VALU_DEP_3)
	v_cmp_ne_u32_e32 vcc_lo, 0, v8
	v_cndmask_b32_e32 v3, v3, v4, vcc_lo
	s_delay_alu instid0(VALU_DEP_3) | instskip(NEXT) | instid1(VALU_DEP_2)
	v_cndmask_b32_e32 v6, s9, v6, vcc_lo
	v_xor_b32_e32 v3, s22, v3
	s_delay_alu instid0(VALU_DEP_2) | instskip(NEXT) | instid1(VALU_DEP_2)
	v_xor_b32_e32 v4, s22, v6
	v_sub_co_u32 v3, vcc_lo, v3, s22
	s_delay_alu instid0(VALU_DEP_2)
	v_subrev_co_ci_u32_e32 v4, vcc_lo, s22, v4, vcc_lo
	s_and_not1_b32 vcc_lo, exec_lo, s20
	s_cbranch_vccnz .LBB38_52
.LBB38_51:
	v_cvt_f32_u32_e32 v3, s12
	s_sub_i32 s0, 0, s12
	s_delay_alu instid0(VALU_DEP_1) | instskip(SKIP_2) | instid1(VALU_DEP_1)
	v_rcp_iflag_f32_e32 v3, v3
	s_waitcnt_depctr 0xfff
	v_mul_f32_e32 v3, 0x4f7ffffe, v3
	v_cvt_u32_f32_e32 v3, v3
	s_delay_alu instid0(VALU_DEP_1) | instskip(NEXT) | instid1(VALU_DEP_1)
	v_mul_lo_u32 v4, s0, v3
	v_mul_hi_u32 v4, v3, v4
	s_delay_alu instid0(VALU_DEP_1) | instskip(NEXT) | instid1(VALU_DEP_1)
	v_add_nc_u32_e32 v3, v3, v4
	v_mul_hi_u32 v3, s18, v3
	s_delay_alu instid0(VALU_DEP_1) | instskip(NEXT) | instid1(VALU_DEP_1)
	v_mul_lo_u32 v3, v3, s12
	v_sub_nc_u32_e32 v3, s18, v3
	s_delay_alu instid0(VALU_DEP_1) | instskip(SKIP_1) | instid1(VALU_DEP_2)
	v_subrev_nc_u32_e32 v4, s12, v3
	v_cmp_le_u32_e32 vcc_lo, s12, v3
	v_cndmask_b32_e32 v3, v3, v4, vcc_lo
	s_delay_alu instid0(VALU_DEP_1) | instskip(SKIP_1) | instid1(VALU_DEP_2)
	v_subrev_nc_u32_e32 v4, s12, v3
	v_cmp_le_u32_e32 vcc_lo, s12, v3
	v_dual_cndmask_b32 v3, v3, v4 :: v_dual_mov_b32 v4, 0
.LBB38_52:
	v_div_scale_f32 v6, null, 0x42fe0000, 0x42fe0000, v5
	v_div_scale_f32 v9, vcc_lo, v5, 0x42fe0000, v5
	s_delay_alu instid0(VALU_DEP_3) | instskip(NEXT) | instid1(VALU_DEP_3)
	v_sub_co_u32 v10, s0, s18, v3
	v_rcp_f32_e32 v7, v6
	v_sub_co_ci_u32_e64 v3, s0, s19, v4, s0
	s_lshl_b64 s[0:1], s[16:17], 2
	s_delay_alu instid0(SALU_CYCLE_1) | instskip(NEXT) | instid1(VALU_DEP_1)
	s_add_u32 s0, s0, s6
	v_mul_lo_u32 v11, v3, v1
	s_addc_u32 s1, s1, s7
	s_waitcnt_depctr 0xfff
	v_fma_f32 v8, -v6, v7, 1.0
	s_delay_alu instid0(VALU_DEP_1) | instskip(NEXT) | instid1(VALU_DEP_1)
	v_fmac_f32_e32 v7, v8, v7
	v_mul_f32_e32 v8, v9, v7
	s_delay_alu instid0(VALU_DEP_1) | instskip(NEXT) | instid1(VALU_DEP_1)
	v_fma_f32 v4, -v6, v8, v9
	v_fmac_f32_e32 v8, v4, v7
	v_mul_lo_u32 v4, v10, v2
	v_mad_u64_u32 v[2:3], null, v10, v1, 0
	s_delay_alu instid0(VALU_DEP_3) | instskip(NEXT) | instid1(VALU_DEP_2)
	v_fma_f32 v1, -v6, v8, v9
	v_add3_u32 v3, v3, v4, v11
	s_delay_alu instid0(VALU_DEP_2) | instskip(NEXT) | instid1(VALU_DEP_1)
	v_div_fmas_f32 v1, v1, v7, v8
	v_div_fixup_f32 v4, v1, 0x42fe0000, v5
	s_delay_alu instid0(VALU_DEP_3) | instskip(NEXT) | instid1(VALU_DEP_2)
	v_lshlrev_b64 v[1:2], 2, v[2:3]
	v_max_f32_e32 v3, 0x34000000, v4
	s_delay_alu instid0(VALU_DEP_2) | instskip(NEXT) | instid1(VALU_DEP_3)
	v_add_co_u32 v1, vcc_lo, s0, v1
	v_add_co_ci_u32_e32 v2, vcc_lo, s1, v2, vcc_lo
	global_store_b32 v[1:2], v3, off
.LBB38_53:
	s_or_b32 exec_lo, exec_lo, s3
	s_waitcnt_vscnt null, 0x0
	s_barrier
	buffer_gl0_inv
	s_and_saveexec_b32 s0, s2
	s_cbranch_execz .LBB38_65
; %bb.54:
	s_add_u32 s0, s12, s29
	s_addc_u32 s1, s13, 0
	s_add_u32 s2, s0, -1
	s_addc_u32 s3, s1, -1
	s_delay_alu instid0(SALU_CYCLE_1) | instskip(SKIP_1) | instid1(SALU_CYCLE_1)
	s_or_b64 s[18:19], s[2:3], s[12:13]
	s_mov_b32 s18, 0
	s_cmp_lg_u64 s[18:19], 0
	s_cbranch_scc0 .LBB38_67
; %bb.55:
	s_ashr_i32 s0, s13, 31
	s_delay_alu instid0(SALU_CYCLE_1) | instskip(SKIP_2) | instid1(SALU_CYCLE_1)
	s_add_u32 s20, s12, s0
	s_mov_b32 s1, s0
	s_addc_u32 s21, s13, s0
	s_xor_b64 s[0:1], s[20:21], s[0:1]
	s_delay_alu instid0(SALU_CYCLE_1) | instskip(SKIP_3) | instid1(VALU_DEP_1)
	v_cvt_f32_u32_e32 v1, s0
	v_cvt_f32_u32_e32 v2, s1
	s_sub_u32 s19, 0, s0
	s_subb_u32 s20, 0, s1
	v_fmamk_f32 v1, v2, 0x4f800000, v1
	s_delay_alu instid0(VALU_DEP_1) | instskip(SKIP_2) | instid1(VALU_DEP_1)
	v_rcp_f32_e32 v1, v1
	s_waitcnt_depctr 0xfff
	v_mul_f32_e32 v1, 0x5f7ffffc, v1
	v_mul_f32_e32 v2, 0x2f800000, v1
	s_delay_alu instid0(VALU_DEP_1) | instskip(NEXT) | instid1(VALU_DEP_1)
	v_trunc_f32_e32 v2, v2
	v_fmamk_f32 v1, v2, 0xcf800000, v1
	v_cvt_u32_f32_e32 v2, v2
	s_delay_alu instid0(VALU_DEP_2) | instskip(NEXT) | instid1(VALU_DEP_2)
	v_cvt_u32_f32_e32 v1, v1
	v_readfirstlane_b32 s9, v2
	s_delay_alu instid0(VALU_DEP_2) | instskip(NEXT) | instid1(VALU_DEP_2)
	v_readfirstlane_b32 s13, v1
	s_mul_i32 s21, s19, s9
	s_delay_alu instid0(VALU_DEP_1)
	s_mul_hi_u32 s23, s19, s13
	s_mul_i32 s22, s20, s13
	s_add_i32 s21, s23, s21
	s_mul_i32 s24, s19, s13
	s_add_i32 s21, s21, s22
	s_mul_hi_u32 s23, s13, s24
	s_mul_hi_u32 s25, s9, s24
	s_mul_i32 s22, s9, s24
	s_mul_hi_u32 s24, s13, s21
	s_mul_i32 s13, s13, s21
	s_mul_hi_u32 s29, s9, s21
	s_add_u32 s13, s23, s13
	s_addc_u32 s23, 0, s24
	s_add_u32 s13, s13, s22
	s_mul_i32 s21, s9, s21
	s_addc_u32 s13, s23, s25
	s_addc_u32 s22, s29, 0
	s_add_u32 s13, s13, s21
	s_addc_u32 s21, 0, s22
	v_add_co_u32 v1, s13, v1, s13
	s_delay_alu instid0(VALU_DEP_1) | instskip(SKIP_1) | instid1(VALU_DEP_1)
	s_cmp_lg_u32 s13, 0
	s_addc_u32 s9, s9, s21
	v_readfirstlane_b32 s13, v1
	s_mul_i32 s21, s19, s9
	s_delay_alu instid0(VALU_DEP_1)
	s_mul_hi_u32 s22, s19, s13
	s_mul_i32 s20, s20, s13
	s_add_i32 s21, s22, s21
	s_mul_i32 s19, s19, s13
	s_add_i32 s21, s21, s20
	s_mul_hi_u32 s22, s9, s19
	s_mul_i32 s23, s9, s19
	s_mul_hi_u32 s19, s13, s19
	s_mul_hi_u32 s24, s13, s21
	s_mul_i32 s13, s13, s21
	s_mul_hi_u32 s20, s9, s21
	s_add_u32 s13, s19, s13
	s_addc_u32 s19, 0, s24
	s_add_u32 s13, s13, s23
	s_mul_i32 s21, s9, s21
	s_addc_u32 s13, s19, s22
	s_addc_u32 s19, s20, 0
	s_add_u32 s13, s13, s21
	s_addc_u32 s19, 0, s19
	v_add_co_u32 v1, s13, v1, s13
	s_delay_alu instid0(VALU_DEP_1) | instskip(SKIP_2) | instid1(VALU_DEP_1)
	s_cmp_lg_u32 s13, 0
	s_addc_u32 s9, s9, s19
	s_ashr_i32 s20, s3, 31
	v_readfirstlane_b32 s13, v1
	s_add_u32 s22, s2, s20
	s_mov_b32 s21, s20
	s_addc_u32 s23, s3, s20
	s_delay_alu instid0(SALU_CYCLE_1) | instskip(NEXT) | instid1(SALU_CYCLE_1)
	s_xor_b64 s[22:23], s[22:23], s[20:21]
	s_mul_i32 s21, s22, s9
	s_mul_hi_u32 s24, s22, s13
	s_mul_hi_u32 s19, s22, s9
	;; [unrolled: 1-line block ×3, first 2 shown]
	s_mul_i32 s13, s23, s13
	s_add_u32 s21, s24, s21
	s_addc_u32 s19, 0, s19
	s_mul_hi_u32 s25, s23, s9
	s_add_u32 s13, s21, s13
	s_mul_i32 s9, s23, s9
	s_addc_u32 s13, s19, s29
	s_addc_u32 s19, s25, 0
	s_add_u32 s9, s13, s9
	s_addc_u32 s13, 0, s19
	s_mul_hi_u32 s19, s0, s9
	s_mul_i32 s13, s0, s13
	s_mul_i32 s21, s1, s9
	;; [unrolled: 1-line block ×3, first 2 shown]
	s_add_i32 s13, s19, s13
	v_sub_co_u32 v1, s9, s22, s9
	s_add_i32 s13, s13, s21
	s_delay_alu instid0(SALU_CYCLE_1) | instskip(SKIP_1) | instid1(VALU_DEP_1)
	s_sub_i32 s19, s23, s13
	s_cmp_lg_u32 s9, 0
	v_sub_co_u32 v2, s21, v1, s0
	s_subb_u32 s19, s19, s1
	s_cmp_lg_u32 s21, 0
	s_subb_u32 s22, s19, 0
	s_delay_alu instid0(VALU_DEP_1)
	v_cmp_le_u32_e32 vcc_lo, s0, v2
	s_cmp_ge_u32 s22, s1
	s_cselect_b32 s24, -1, 0
	s_cmp_eq_u32 s22, s1
	v_cndmask_b32_e64 v3, 0, -1, vcc_lo
	s_cselect_b32 vcc_lo, -1, 0
	s_cmp_lg_u32 s21, 0
	v_sub_co_u32 v4, s21, v2, s0
	s_subb_u32 s19, s19, s1
	s_cmp_lg_u32 s21, 0
	v_cndmask_b32_e32 v3, s24, v3, vcc_lo
	s_subb_u32 s19, s19, 0
	s_cmp_lg_u32 s9, 0
	v_cmp_le_u32_e32 vcc_lo, s0, v1
	s_subb_u32 s9, s23, s13
	s_delay_alu instid0(SALU_CYCLE_1)
	s_cmp_ge_u32 s9, s1
	v_cndmask_b32_e64 v5, 0, -1, vcc_lo
	s_cselect_b32 s13, -1, 0
	s_cmp_eq_u32 s9, s1
	v_cmp_ne_u32_e32 vcc_lo, 0, v3
	v_mov_b32_e32 v3, s19
	s_cselect_b32 s0, -1, 0
	s_delay_alu instid0(SALU_CYCLE_1) | instskip(SKIP_1) | instid1(VALU_DEP_3)
	v_cndmask_b32_e64 v5, s13, v5, s0
	v_cndmask_b32_e32 v2, v2, v4, vcc_lo
	v_cndmask_b32_e32 v3, s22, v3, vcc_lo
	s_delay_alu instid0(VALU_DEP_3) | instskip(NEXT) | instid1(VALU_DEP_3)
	v_cmp_ne_u32_e32 vcc_lo, 0, v5
	v_cndmask_b32_e32 v1, v1, v2, vcc_lo
	s_delay_alu instid0(VALU_DEP_3) | instskip(NEXT) | instid1(VALU_DEP_2)
	v_cndmask_b32_e32 v3, s9, v3, vcc_lo
	v_xor_b32_e32 v1, s20, v1
	s_delay_alu instid0(VALU_DEP_2) | instskip(NEXT) | instid1(VALU_DEP_2)
	v_xor_b32_e32 v2, s20, v3
	v_sub_co_u32 v1, vcc_lo, v1, s20
	s_delay_alu instid0(VALU_DEP_2)
	v_subrev_co_ci_u32_e32 v2, vcc_lo, s20, v2, vcc_lo
	s_and_not1_b32 vcc_lo, exec_lo, s18
	s_cbranch_vccnz .LBB38_57
.LBB38_56:
	v_cvt_f32_u32_e32 v1, s12
	s_sub_i32 s0, 0, s12
	s_delay_alu instid0(VALU_DEP_1) | instskip(SKIP_2) | instid1(VALU_DEP_1)
	v_rcp_iflag_f32_e32 v1, v1
	s_waitcnt_depctr 0xfff
	v_mul_f32_e32 v1, 0x4f7ffffe, v1
	v_cvt_u32_f32_e32 v1, v1
	s_delay_alu instid0(VALU_DEP_1) | instskip(NEXT) | instid1(VALU_DEP_1)
	v_mul_lo_u32 v2, s0, v1
	v_mul_hi_u32 v2, v1, v2
	s_delay_alu instid0(VALU_DEP_1) | instskip(NEXT) | instid1(VALU_DEP_1)
	v_add_nc_u32_e32 v1, v1, v2
	v_mul_hi_u32 v1, s2, v1
	s_delay_alu instid0(VALU_DEP_1) | instskip(NEXT) | instid1(VALU_DEP_1)
	v_mul_lo_u32 v1, v1, s12
	v_sub_nc_u32_e32 v1, s2, v1
	s_delay_alu instid0(VALU_DEP_1) | instskip(SKIP_1) | instid1(VALU_DEP_2)
	v_subrev_nc_u32_e32 v2, s12, v1
	v_cmp_le_u32_e32 vcc_lo, s12, v1
	v_cndmask_b32_e32 v1, v1, v2, vcc_lo
	s_delay_alu instid0(VALU_DEP_1) | instskip(SKIP_1) | instid1(VALU_DEP_2)
	v_subrev_nc_u32_e32 v2, s12, v1
	v_cmp_le_u32_e32 vcc_lo, s12, v1
	v_dual_cndmask_b32 v1, v1, v2 :: v_dual_mov_b32 v2, 0
.LBB38_57:
	s_mul_i32 s0, s15, s16
	s_mul_hi_u32 s1, s14, s16
	s_mul_i32 s9, s14, s16
	s_add_i32 s1, s1, s0
	v_sub_co_u32 v5, vcc_lo, s2, v1
	s_add_u32 s0, s4, s9
	s_addc_u32 s1, s5, s1
	s_lshl_b64 s[4:5], s[16:17], 2
	v_sub_co_ci_u32_e32 v6, vcc_lo, s3, v2, vcc_lo
	v_mov_b32_e32 v1, 0
	s_add_u32 s4, s6, s4
	s_addc_u32 s5, s7, s5
	s_mul_i32 s2, s28, 3
	s_lshl_b32 s3, s28, 1
	s_mov_b32 s6, 0
	s_add_i32 s7, s28, s28
                                        ; implicit-def: $sgpr9
	s_branch .LBB38_61
.LBB38_58:                              ;   in Loop: Header=BB38_61 Depth=1
	s_or_b32 exec_lo, exec_lo, s14
	s_delay_alu instid0(SALU_CYCLE_1)
	s_or_not1_b32 s14, s15, exec_lo
.LBB38_59:                              ;   in Loop: Header=BB38_61 Depth=1
	s_or_b32 exec_lo, exec_lo, s13
	s_delay_alu instid0(SALU_CYCLE_1) | instskip(SKIP_1) | instid1(SALU_CYCLE_1)
	s_and_not1_b32 s9, s9, exec_lo
	s_and_b32 s13, s14, exec_lo
	s_or_b32 s9, s9, s13
.LBB38_60:                              ;   in Loop: Header=BB38_61 Depth=1
	s_or_b32 exec_lo, exec_lo, s12
	s_delay_alu instid0(SALU_CYCLE_1) | instskip(NEXT) | instid1(SALU_CYCLE_1)
	s_and_b32 s12, exec_lo, s9
	s_or_b32 s6, s12, s6
	s_delay_alu instid0(SALU_CYCLE_1)
	s_and_not1_b32 exec_lo, exec_lo, s6
	s_cbranch_execz .LBB38_65
.LBB38_61:                              ; =>This Inner Loop Header: Depth=1
	v_bfe_u32 v4, v0, 4, 26
	s_or_b32 s9, s9, exec_lo
	s_mov_b32 s12, exec_lo
	s_delay_alu instid0(VALU_DEP_1) | instskip(NEXT) | instid1(VALU_DEP_1)
	v_mad_u64_u32 v[2:3], null, v5, v4, 0
	v_mad_u64_u32 v[7:8], null, v6, v4, v[3:4]
	s_delay_alu instid0(VALU_DEP_1) | instskip(NEXT) | instid1(VALU_DEP_1)
	v_mov_b32_e32 v3, v7
	v_lshlrev_b64 v[2:3], 2, v[2:3]
	s_delay_alu instid0(VALU_DEP_1) | instskip(NEXT) | instid1(VALU_DEP_2)
	v_add_co_u32 v2, vcc_lo, s4, v2
	v_add_co_ci_u32_e32 v3, vcc_lo, s5, v3, vcc_lo
	global_load_b32 v4, v[2:3], off
	v_lshlrev_b64 v[2:3], 4, v[0:1]
	s_delay_alu instid0(VALU_DEP_1) | instskip(NEXT) | instid1(VALU_DEP_2)
	v_add_co_u32 v7, vcc_lo, s26, v2
	v_add_co_ci_u32_e32 v8, vcc_lo, s27, v3, vcc_lo
	v_add_co_u32 v2, vcc_lo, s10, v2
	v_add_co_ci_u32_e32 v3, vcc_lo, s11, v3, vcc_lo
	global_load_b128 v[7:10], v[7:8], off
	global_load_b128 v[11:14], v[2:3], off
	s_waitcnt vmcnt(2)
	v_div_scale_f32 v2, null, v4, v4, 1.0
	v_div_scale_f32 v16, vcc_lo, 1.0, v4, 1.0
	s_delay_alu instid0(VALU_DEP_2)
	v_rcp_f32_e32 v3, v2
	s_waitcnt vmcnt(1)
	v_mul_f32_e32 v9, v28, v9
	s_waitcnt_depctr 0xfff
	v_fma_f32 v15, -v2, v3, 1.0
	s_waitcnt vmcnt(0)
	v_mul_f32_e32 v9, v9, v13
	s_delay_alu instid0(VALU_DEP_2) | instskip(NEXT) | instid1(VALU_DEP_1)
	v_fmac_f32_e32 v3, v15, v3
	v_mul_f32_e32 v15, v16, v3
	s_delay_alu instid0(VALU_DEP_1) | instskip(NEXT) | instid1(VALU_DEP_1)
	v_fma_f32 v17, -v2, v15, v16
	v_fmac_f32_e32 v15, v17, v3
	s_delay_alu instid0(VALU_DEP_1) | instskip(NEXT) | instid1(VALU_DEP_1)
	v_fma_f32 v2, -v2, v15, v16
	v_div_fmas_f32 v2, v2, v3, v15
	v_mul_f32_e32 v3, v28, v7
	v_mul_f32_e32 v7, v28, v8
	;; [unrolled: 1-line block ×3, first 2 shown]
	s_delay_alu instid0(VALU_DEP_4) | instskip(NEXT) | instid1(VALU_DEP_4)
	v_div_fixup_f32 v2, v2, v4, 1.0
	v_mul_f32_e32 v3, v3, v11
	s_delay_alu instid0(VALU_DEP_3) | instskip(NEXT) | instid1(VALU_DEP_3)
	v_dual_mul_f32 v4, v7, v12 :: v_dual_mul_f32 v7, v8, v14
	v_mul_f32_e32 v8, v9, v2
	s_delay_alu instid0(VALU_DEP_3) | instskip(NEXT) | instid1(VALU_DEP_3)
	v_mul_f32_e32 v3, v3, v2
	v_mul_f32_e32 v4, v4, v2
	s_delay_alu instid0(VALU_DEP_4) | instskip(NEXT) | instid1(VALU_DEP_4)
	v_mul_f32_e32 v2, v7, v2
	v_rndne_f32_e32 v7, v8
	s_delay_alu instid0(VALU_DEP_4) | instskip(NEXT) | instid1(VALU_DEP_4)
	v_rndne_f32_e32 v3, v3
	v_rndne_f32_e32 v4, v4
	s_delay_alu instid0(VALU_DEP_4) | instskip(NEXT) | instid1(VALU_DEP_4)
	v_rndne_f32_e32 v2, v2
	v_cmp_nlt_f32_e32 vcc_lo, 0x42fe0000, v7
	v_cndmask_b32_e32 v8, 0x42fe0000, v7, vcc_lo
	v_cmp_nlt_f32_e32 vcc_lo, 0x42fe0000, v3
	v_cndmask_b32_e32 v9, 0x42fe0000, v3, vcc_lo
	;; [unrolled: 2-line block ×3, first 2 shown]
	v_cmp_ngt_f32_e32 vcc_lo, 0xc3000000, v7
	v_cndmask_b32_e32 v7, 0xc3000000, v8, vcc_lo
	v_cmp_nlt_f32_e32 vcc_lo, 0x42fe0000, v2
	s_delay_alu instid0(VALU_DEP_2) | instskip(SKIP_2) | instid1(VALU_DEP_3)
	v_cvt_i32_f32_e32 v7, v7
	v_cndmask_b32_e32 v8, 0x42fe0000, v2, vcc_lo
	v_cmp_ngt_f32_e32 vcc_lo, 0xc3000000, v4
	v_and_b32_e32 v7, 0xff, v7
	v_cndmask_b32_e32 v4, 0xc3000000, v10, vcc_lo
	v_cmp_ngt_f32_e32 vcc_lo, 0xc3000000, v3
	s_delay_alu instid0(VALU_DEP_3) | instskip(NEXT) | instid1(VALU_DEP_3)
	v_lshlrev_b32_e32 v7, 16, v7
	v_cvt_i32_f32_e32 v4, v4
	v_cndmask_b32_e32 v3, 0xc3000000, v9, vcc_lo
	v_cmp_ngt_f32_e32 vcc_lo, 0xc3000000, v2
	s_delay_alu instid0(VALU_DEP_3) | instskip(SKIP_1) | instid1(VALU_DEP_4)
	v_and_b32_e32 v9, 0xff, v4
	v_cndmask_b32_e32 v2, 0xc3000000, v8, vcc_lo
	v_cvt_i32_f32_e32 v8, v3
	v_lshlrev_b64 v[3:4], 2, v[0:1]
	s_delay_alu instid0(VALU_DEP_4) | instskip(NEXT) | instid1(VALU_DEP_4)
	v_lshlrev_b32_e32 v9, 8, v9
	v_cvt_i32_f32_e32 v2, v2
	s_delay_alu instid0(VALU_DEP_4) | instskip(NEXT) | instid1(VALU_DEP_4)
	v_and_b32_e32 v8, 0xff, v8
	v_add_co_u32 v3, vcc_lo, s0, v3
	s_delay_alu instid0(VALU_DEP_3) | instskip(SKIP_2) | instid1(VALU_DEP_3)
	v_lshl_or_b32 v7, v2, 24, v7
	v_add_nc_u32_e32 v2, s28, v0
	v_add_co_ci_u32_e32 v4, vcc_lo, s1, v4, vcc_lo
	v_or3_b32 v7, v7, v9, v8
	global_store_b32 v[3:4], v7, off
	v_cmpx_gt_u32_e64 s8, v2
	s_cbranch_execz .LBB38_60
; %bb.62:                               ;   in Loop: Header=BB38_61 Depth=1
	v_bfe_u32 v9, v2, 4, 26
	s_mov_b32 s14, -1
	s_mov_b32 s13, exec_lo
	s_delay_alu instid0(VALU_DEP_1) | instskip(NEXT) | instid1(VALU_DEP_1)
	v_mad_u64_u32 v[3:4], null, v5, v9, 0
	v_mad_u64_u32 v[7:8], null, v6, v9, v[4:5]
	s_delay_alu instid0(VALU_DEP_1) | instskip(NEXT) | instid1(VALU_DEP_1)
	v_mov_b32_e32 v4, v7
	v_lshlrev_b64 v[3:4], 2, v[3:4]
	s_delay_alu instid0(VALU_DEP_1) | instskip(NEXT) | instid1(VALU_DEP_2)
	v_add_co_u32 v3, vcc_lo, s4, v3
	v_add_co_ci_u32_e32 v4, vcc_lo, s5, v4, vcc_lo
	global_load_b32 v4, v[3:4], off
	v_mov_b32_e32 v3, v1
	s_delay_alu instid0(VALU_DEP_1) | instskip(NEXT) | instid1(VALU_DEP_1)
	v_lshlrev_b64 v[11:12], 4, v[2:3]
	v_add_co_u32 v7, vcc_lo, s26, v11
	s_delay_alu instid0(VALU_DEP_2)
	v_add_co_ci_u32_e32 v8, vcc_lo, s27, v12, vcc_lo
	v_add_co_u32 v11, vcc_lo, s10, v11
	v_add_co_ci_u32_e32 v12, vcc_lo, s11, v12, vcc_lo
	global_load_b128 v[7:10], v[7:8], off
	global_load_b128 v[11:14], v[11:12], off
	s_waitcnt vmcnt(2)
	v_div_scale_f32 v15, null, v4, v4, 1.0
	v_div_scale_f32 v18, vcc_lo, 1.0, v4, 1.0
	s_delay_alu instid0(VALU_DEP_2) | instskip(SKIP_3) | instid1(VALU_DEP_1)
	v_rcp_f32_e32 v16, v15
	s_waitcnt_depctr 0xfff
	v_fma_f32 v17, -v15, v16, 1.0
	s_waitcnt vmcnt(1)
	v_dual_fmac_f32 v16, v17, v16 :: v_dual_mul_f32 v9, v28, v9
	v_mul_f32_e32 v8, v28, v8
	s_delay_alu instid0(VALU_DEP_2) | instskip(SKIP_1) | instid1(VALU_DEP_2)
	v_dual_mul_f32 v10, v28, v10 :: v_dual_mul_f32 v17, v18, v16
	s_waitcnt vmcnt(0)
	v_dual_mul_f32 v9, v9, v13 :: v_dual_mul_f32 v8, v8, v12
	s_delay_alu instid0(VALU_DEP_2) | instskip(NEXT) | instid1(VALU_DEP_3)
	v_mul_f32_e32 v10, v10, v14
	v_fma_f32 v19, -v15, v17, v18
	s_delay_alu instid0(VALU_DEP_1) | instskip(NEXT) | instid1(VALU_DEP_1)
	v_fmac_f32_e32 v17, v19, v16
	v_fma_f32 v15, -v15, v17, v18
	s_delay_alu instid0(VALU_DEP_1) | instskip(NEXT) | instid1(VALU_DEP_1)
	v_div_fmas_f32 v15, v15, v16, v17
	v_div_fixup_f32 v4, v15, v4, 1.0
	v_mul_f32_e32 v7, v28, v7
	s_delay_alu instid0(VALU_DEP_2) | instskip(NEXT) | instid1(VALU_DEP_2)
	v_mul_f32_e32 v9, v9, v4
	v_dual_mul_f32 v7, v7, v11 :: v_dual_mul_f32 v8, v8, v4
	s_delay_alu instid0(VALU_DEP_2) | instskip(NEXT) | instid1(VALU_DEP_1)
	v_rndne_f32_e32 v9, v9
	v_cmp_nlt_f32_e32 vcc_lo, 0x42fe0000, v9
	s_delay_alu instid0(VALU_DEP_3) | instskip(SKIP_2) | instid1(VALU_DEP_3)
	v_mul_f32_e32 v7, v7, v4
	v_mul_f32_e32 v4, v10, v4
	v_cndmask_b32_e32 v10, 0x42fe0000, v9, vcc_lo
	v_rndne_f32_e32 v7, v7
	s_delay_alu instid0(VALU_DEP_3) | instskip(NEXT) | instid1(VALU_DEP_2)
	v_rndne_f32_e32 v4, v4
	v_cmp_nlt_f32_e32 vcc_lo, 0x42fe0000, v7
	v_cndmask_b32_e32 v11, 0x42fe0000, v7, vcc_lo
	v_rndne_f32_e32 v8, v8
	s_delay_alu instid0(VALU_DEP_1) | instskip(SKIP_4) | instid1(VALU_DEP_2)
	v_cmp_nlt_f32_e32 vcc_lo, 0x42fe0000, v8
	v_cndmask_b32_e32 v12, 0x42fe0000, v8, vcc_lo
	v_cmp_ngt_f32_e32 vcc_lo, 0xc3000000, v9
	v_cndmask_b32_e32 v9, 0xc3000000, v10, vcc_lo
	v_cmp_nlt_f32_e32 vcc_lo, 0x42fe0000, v4
	v_cvt_i32_f32_e32 v9, v9
	v_cndmask_b32_e32 v10, 0x42fe0000, v4, vcc_lo
	v_cmp_ngt_f32_e32 vcc_lo, 0xc3000000, v8
	s_delay_alu instid0(VALU_DEP_3) | instskip(NEXT) | instid1(VALU_DEP_1)
	v_and_b32_e32 v9, 0xff, v9
	v_dual_cndmask_b32 v8, 0xc3000000, v12 :: v_dual_lshlrev_b32 v9, 16, v9
	v_cmp_ngt_f32_e32 vcc_lo, 0xc3000000, v7
	s_delay_alu instid0(VALU_DEP_2) | instskip(SKIP_2) | instid1(VALU_DEP_3)
	v_cvt_i32_f32_e32 v8, v8
	v_cndmask_b32_e32 v7, 0xc3000000, v11, vcc_lo
	v_cmp_ngt_f32_e32 vcc_lo, 0xc3000000, v4
	v_and_b32_e32 v11, 0xff, v8
	s_delay_alu instid0(VALU_DEP_1) | instskip(NEXT) | instid1(VALU_DEP_4)
	v_dual_cndmask_b32 v4, 0xc3000000, v10 :: v_dual_lshlrev_b32 v11, 8, v11
	v_cvt_i32_f32_e32 v10, v7
	v_lshlrev_b64 v[7:8], 2, v[2:3]
	v_add_nc_u32_e32 v3, s3, v0
	s_delay_alu instid0(VALU_DEP_4) | instskip(NEXT) | instid1(VALU_DEP_4)
	v_cvt_i32_f32_e32 v4, v4
	v_and_b32_e32 v10, 0xff, v10
	s_delay_alu instid0(VALU_DEP_4) | instskip(NEXT) | instid1(VALU_DEP_3)
	v_add_co_u32 v7, vcc_lo, s0, v7
	v_lshl_or_b32 v4, v4, 24, v9
	v_add_co_ci_u32_e32 v8, vcc_lo, s1, v8, vcc_lo
	s_delay_alu instid0(VALU_DEP_2)
	v_or3_b32 v4, v4, v11, v10
	global_store_b32 v[7:8], v4, off
	v_cmpx_gt_u32_e64 s8, v3
	s_cbranch_execz .LBB38_59
; %bb.63:                               ;   in Loop: Header=BB38_61 Depth=1
	v_bfe_u32 v10, v3, 4, 26
	v_add_nc_u32_e32 v0, s2, v0
	s_mov_b32 s15, -1
	s_mov_b32 s14, exec_lo
	s_delay_alu instid0(VALU_DEP_2) | instskip(NEXT) | instid1(VALU_DEP_1)
	v_mad_u64_u32 v[7:8], null, v5, v10, 0
	v_mov_b32_e32 v4, v8
	s_delay_alu instid0(VALU_DEP_1) | instskip(SKIP_1) | instid1(VALU_DEP_1)
	v_mad_u64_u32 v[8:9], null, v6, v10, v[4:5]
	v_mov_b32_e32 v4, v1
	v_lshlrev_b64 v[11:12], 4, v[3:4]
	s_delay_alu instid0(VALU_DEP_3) | instskip(NEXT) | instid1(VALU_DEP_1)
	v_lshlrev_b64 v[7:8], 2, v[7:8]
	v_add_co_u32 v7, vcc_lo, s4, v7
	s_delay_alu instid0(VALU_DEP_2)
	v_add_co_ci_u32_e32 v8, vcc_lo, s5, v8, vcc_lo
	global_load_b32 v15, v[7:8], off
	v_add_co_u32 v7, vcc_lo, s26, v11
	v_add_co_ci_u32_e32 v8, vcc_lo, s27, v12, vcc_lo
	v_add_co_u32 v11, vcc_lo, s10, v11
	v_add_co_ci_u32_e32 v12, vcc_lo, s11, v12, vcc_lo
	global_load_b128 v[7:10], v[7:8], off
	global_load_b128 v[11:14], v[11:12], off
	s_waitcnt vmcnt(2)
	v_div_scale_f32 v16, null, v15, v15, 1.0
	v_div_scale_f32 v19, vcc_lo, 1.0, v15, 1.0
	s_delay_alu instid0(VALU_DEP_2)
	v_rcp_f32_e32 v17, v16
	s_waitcnt vmcnt(1)
	v_mul_f32_e32 v9, v28, v9
	v_mul_f32_e32 v8, v28, v8
	v_lshlrev_b64 v[3:4], 2, v[3:4]
	v_mul_f32_e32 v7, v28, v7
	s_waitcnt vmcnt(0)
	v_mul_f32_e32 v9, v9, v13
	s_waitcnt_depctr 0xfff
	v_fma_f32 v18, -v16, v17, 1.0
	v_mul_f32_e32 v7, v7, v11
	s_delay_alu instid0(VALU_DEP_2) | instskip(NEXT) | instid1(VALU_DEP_1)
	v_fmac_f32_e32 v17, v18, v17
	v_mul_f32_e32 v18, v19, v17
	s_delay_alu instid0(VALU_DEP_1) | instskip(NEXT) | instid1(VALU_DEP_1)
	v_fma_f32 v20, -v16, v18, v19
	v_fmac_f32_e32 v18, v20, v17
	s_delay_alu instid0(VALU_DEP_1) | instskip(NEXT) | instid1(VALU_DEP_1)
	v_fma_f32 v16, -v16, v18, v19
	v_div_fmas_f32 v16, v16, v17, v18
	s_delay_alu instid0(VALU_DEP_1) | instskip(SKIP_1) | instid1(VALU_DEP_2)
	v_div_fixup_f32 v13, v16, v15, 1.0
	v_mul_f32_e32 v10, v28, v10
	v_dual_mul_f32 v8, v8, v12 :: v_dual_mul_f32 v7, v7, v13
	v_mul_f32_e32 v9, v9, v13
	s_delay_alu instid0(VALU_DEP_2) | instskip(NEXT) | instid1(VALU_DEP_2)
	v_rndne_f32_e32 v7, v7
	v_rndne_f32_e32 v9, v9
	s_delay_alu instid0(VALU_DEP_1) | instskip(SKIP_3) | instid1(VALU_DEP_2)
	v_cmp_nlt_f32_e32 vcc_lo, 0x42fe0000, v9
	v_dual_mul_f32 v10, v10, v14 :: v_dual_cndmask_b32 v11, 0x42fe0000, v9
	v_mul_f32_e32 v8, v8, v13
	v_cmp_nlt_f32_e32 vcc_lo, 0x42fe0000, v7
	v_rndne_f32_e32 v8, v8
	v_cndmask_b32_e32 v12, 0x42fe0000, v7, vcc_lo
	s_delay_alu instid0(VALU_DEP_2) | instskip(SKIP_1) | instid1(VALU_DEP_1)
	v_cmp_nlt_f32_e32 vcc_lo, 0x42fe0000, v8
	v_dual_mul_f32 v10, v10, v13 :: v_dual_cndmask_b32 v13, 0x42fe0000, v8
	v_rndne_f32_e32 v10, v10
	v_cmp_ngt_f32_e32 vcc_lo, 0xc3000000, v9
	v_cndmask_b32_e32 v9, 0xc3000000, v11, vcc_lo
	s_delay_alu instid0(VALU_DEP_3) | instskip(NEXT) | instid1(VALU_DEP_2)
	v_cmp_nlt_f32_e32 vcc_lo, 0x42fe0000, v10
	v_cvt_i32_f32_e32 v9, v9
	v_cndmask_b32_e32 v11, 0x42fe0000, v10, vcc_lo
	v_cmp_ngt_f32_e32 vcc_lo, 0xc3000000, v8
	s_delay_alu instid0(VALU_DEP_3) | instskip(SKIP_2) | instid1(VALU_DEP_3)
	v_and_b32_e32 v9, 0xff, v9
	v_cndmask_b32_e32 v8, 0xc3000000, v13, vcc_lo
	v_cmp_ngt_f32_e32 vcc_lo, 0xc3000000, v7
	v_lshlrev_b32_e32 v9, 16, v9
	s_delay_alu instid0(VALU_DEP_3) | instskip(SKIP_2) | instid1(VALU_DEP_3)
	v_cvt_i32_f32_e32 v8, v8
	v_cndmask_b32_e32 v7, 0xc3000000, v12, vcc_lo
	v_cmp_ngt_f32_e32 vcc_lo, 0xc3000000, v10
	v_and_b32_e32 v8, 0xff, v8
	s_delay_alu instid0(VALU_DEP_3) | instskip(NEXT) | instid1(VALU_DEP_2)
	v_cvt_i32_f32_e32 v7, v7
	v_lshlrev_b32_e32 v8, 8, v8
	v_cndmask_b32_e32 v10, 0xc3000000, v11, vcc_lo
	s_delay_alu instid0(VALU_DEP_3) | instskip(SKIP_2) | instid1(VALU_DEP_4)
	v_and_b32_e32 v7, 0xff, v7
	v_add_co_u32 v3, vcc_lo, s0, v3
	v_add_co_ci_u32_e32 v4, vcc_lo, s1, v4, vcc_lo
	v_cvt_i32_f32_e32 v10, v10
	s_delay_alu instid0(VALU_DEP_1) | instskip(NEXT) | instid1(VALU_DEP_1)
	v_lshl_or_b32 v9, v10, 24, v9
	v_or3_b32 v7, v9, v8, v7
	global_store_b32 v[3:4], v7, off
	v_cmpx_gt_u32_e64 s8, v0
	s_cbranch_execz .LBB38_58
; %bb.64:                               ;   in Loop: Header=BB38_61 Depth=1
	v_bfe_u32 v9, v0, 4, 26
	s_delay_alu instid0(VALU_DEP_1) | instskip(NEXT) | instid1(VALU_DEP_1)
	v_mad_u64_u32 v[3:4], null, v5, v9, 0
	v_mad_u64_u32 v[7:8], null, v6, v9, v[4:5]
	s_delay_alu instid0(VALU_DEP_1) | instskip(NEXT) | instid1(VALU_DEP_1)
	v_mov_b32_e32 v4, v7
	v_lshlrev_b64 v[3:4], 2, v[3:4]
	s_delay_alu instid0(VALU_DEP_1) | instskip(NEXT) | instid1(VALU_DEP_2)
	v_add_co_u32 v3, vcc_lo, s4, v3
	v_add_co_ci_u32_e32 v4, vcc_lo, s5, v4, vcc_lo
	global_load_b32 v15, v[3:4], off
	v_lshlrev_b64 v[3:4], 4, v[0:1]
	s_delay_alu instid0(VALU_DEP_1) | instskip(NEXT) | instid1(VALU_DEP_2)
	v_add_co_u32 v7, vcc_lo, s26, v3
	v_add_co_ci_u32_e32 v8, vcc_lo, s27, v4, vcc_lo
	v_add_co_u32 v3, vcc_lo, s10, v3
	v_add_co_ci_u32_e32 v4, vcc_lo, s11, v4, vcc_lo
	global_load_b128 v[7:10], v[7:8], off
	global_load_b128 v[11:14], v[3:4], off
	s_waitcnt vmcnt(2)
	v_div_scale_f32 v3, null, v15, v15, 1.0
	v_div_scale_f32 v17, vcc_lo, 1.0, v15, 1.0
	s_delay_alu instid0(VALU_DEP_2)
	v_rcp_f32_e32 v4, v3
	s_waitcnt vmcnt(1)
	v_mul_f32_e32 v9, v28, v9
	s_waitcnt_depctr 0xfff
	v_fma_f32 v16, -v3, v4, 1.0
	s_waitcnt vmcnt(0)
	s_delay_alu instid0(VALU_DEP_1) | instskip(NEXT) | instid1(VALU_DEP_1)
	v_dual_mul_f32 v9, v9, v13 :: v_dual_fmac_f32 v4, v16, v4
	v_mul_f32_e32 v16, v17, v4
	s_delay_alu instid0(VALU_DEP_1) | instskip(NEXT) | instid1(VALU_DEP_1)
	v_fma_f32 v18, -v3, v16, v17
	v_fmac_f32_e32 v16, v18, v4
	s_delay_alu instid0(VALU_DEP_1) | instskip(NEXT) | instid1(VALU_DEP_1)
	v_fma_f32 v3, -v3, v16, v17
	v_div_fmas_f32 v3, v3, v4, v16
	v_mul_f32_e32 v4, v28, v7
	v_mul_f32_e32 v7, v28, v8
	s_delay_alu instid0(VALU_DEP_3) | instskip(NEXT) | instid1(VALU_DEP_2)
	v_div_fixup_f32 v3, v3, v15, 1.0
	v_dual_mul_f32 v7, v7, v12 :: v_dual_mul_f32 v4, v4, v11
	s_delay_alu instid0(VALU_DEP_2) | instskip(NEXT) | instid1(VALU_DEP_2)
	v_mul_f32_e32 v9, v9, v3
	v_mul_f32_e32 v7, v7, v3
	s_delay_alu instid0(VALU_DEP_3) | instskip(NEXT) | instid1(VALU_DEP_2)
	v_mul_f32_e32 v4, v4, v3
	v_rndne_f32_e32 v7, v7
	v_mul_f32_e32 v8, v28, v10
	s_delay_alu instid0(VALU_DEP_3) | instskip(NEXT) | instid1(VALU_DEP_2)
	v_rndne_f32_e32 v4, v4
	v_mul_f32_e32 v8, v8, v14
	s_delay_alu instid0(VALU_DEP_1) | instskip(SKIP_1) | instid1(VALU_DEP_1)
	v_mul_f32_e32 v3, v8, v3
	v_rndne_f32_e32 v8, v9
	v_cmp_nlt_f32_e32 vcc_lo, 0x42fe0000, v8
	v_cndmask_b32_e32 v9, 0x42fe0000, v8, vcc_lo
	v_cmp_nlt_f32_e32 vcc_lo, 0x42fe0000, v4
	v_cndmask_b32_e32 v10, 0x42fe0000, v4, vcc_lo
	v_cmp_nlt_f32_e32 vcc_lo, 0x42fe0000, v7
	v_rndne_f32_e32 v3, v3
	v_cndmask_b32_e32 v11, 0x42fe0000, v7, vcc_lo
	v_cmp_ngt_f32_e32 vcc_lo, 0xc3000000, v8
	v_cndmask_b32_e32 v8, 0xc3000000, v9, vcc_lo
	s_delay_alu instid0(VALU_DEP_4) | instskip(NEXT) | instid1(VALU_DEP_2)
	v_cmp_nlt_f32_e32 vcc_lo, 0x42fe0000, v3
	v_cvt_i32_f32_e32 v8, v8
	v_cndmask_b32_e32 v9, 0x42fe0000, v3, vcc_lo
	v_cmp_ngt_f32_e32 vcc_lo, 0xc3000000, v7
	s_delay_alu instid0(VALU_DEP_3) | instskip(SKIP_2) | instid1(VALU_DEP_3)
	v_and_b32_e32 v8, 0xff, v8
	v_cndmask_b32_e32 v7, 0xc3000000, v11, vcc_lo
	v_cmp_ngt_f32_e32 vcc_lo, 0xc3000000, v4
	v_lshlrev_b32_e32 v8, 16, v8
	s_delay_alu instid0(VALU_DEP_3) | instskip(NEXT) | instid1(VALU_DEP_1)
	v_cvt_i32_f32_e32 v7, v7
	v_and_b32_e32 v7, 0xff, v7
	v_cndmask_b32_e32 v4, 0xc3000000, v10, vcc_lo
	v_cmp_ngt_f32_e32 vcc_lo, 0xc3000000, v3
	s_delay_alu instid0(VALU_DEP_3) | instskip(SKIP_1) | instid1(VALU_DEP_4)
	v_lshlrev_b32_e32 v7, 8, v7
	v_cndmask_b32_e32 v3, 0xc3000000, v9, vcc_lo
	v_cvt_i32_f32_e32 v9, v4
	s_delay_alu instid0(VALU_DEP_2) | instskip(SKIP_2) | instid1(VALU_DEP_4)
	v_cvt_i32_f32_e32 v10, v3
	v_lshlrev_b64 v[3:4], 2, v[0:1]
	v_add3_u32 v0, s7, s28, v2
	v_and_b32_e32 v9, 0xff, v9
	s_delay_alu instid0(VALU_DEP_4) | instskip(NEXT) | instid1(VALU_DEP_4)
	v_lshl_or_b32 v8, v10, 24, v8
	v_add_co_u32 v2, vcc_lo, s0, v3
	v_add_co_ci_u32_e32 v3, vcc_lo, s1, v4, vcc_lo
	v_cmp_le_u32_e32 vcc_lo, s8, v0
	s_delay_alu instid0(VALU_DEP_4)
	v_or3_b32 v4, v8, v7, v9
	s_or_not1_b32 s15, vcc_lo, exec_lo
	global_store_b32 v[2:3], v4, off
	s_branch .LBB38_58
.LBB38_65:
	s_nop 0
	s_sendmsg sendmsg(MSG_DEALLOC_VGPRS)
	s_endpgm
.LBB38_66:
                                        ; implicit-def: $vgpr3_vgpr4
	s_branch .LBB38_51
.LBB38_67:
                                        ; implicit-def: $vgpr1_vgpr2
	s_branch .LBB38_56
	.section	.rodata,"a",@progbits
	.p2align	6, 0x0
	.amdhsa_kernel _ZN4vllm31rms_norm_per_block_quant_kernelIfaLb0ELb1ELi64EEEvPT0_PfPKT_S6_PKffiiPS4_l
		.amdhsa_group_segment_fixed_size 4228
		.amdhsa_private_segment_fixed_size 0
		.amdhsa_kernarg_size 328
		.amdhsa_user_sgpr_count 15
		.amdhsa_user_sgpr_dispatch_ptr 0
		.amdhsa_user_sgpr_queue_ptr 0
		.amdhsa_user_sgpr_kernarg_segment_ptr 1
		.amdhsa_user_sgpr_dispatch_id 0
		.amdhsa_user_sgpr_private_segment_size 0
		.amdhsa_wavefront_size32 1
		.amdhsa_uses_dynamic_stack 0
		.amdhsa_enable_private_segment 0
		.amdhsa_system_sgpr_workgroup_id_x 1
		.amdhsa_system_sgpr_workgroup_id_y 0
		.amdhsa_system_sgpr_workgroup_id_z 0
		.amdhsa_system_sgpr_workgroup_info 0
		.amdhsa_system_vgpr_workitem_id 0
		.amdhsa_next_free_vgpr 35
		.amdhsa_next_free_sgpr 38
		.amdhsa_reserve_vcc 1
		.amdhsa_float_round_mode_32 0
		.amdhsa_float_round_mode_16_64 0
		.amdhsa_float_denorm_mode_32 3
		.amdhsa_float_denorm_mode_16_64 3
		.amdhsa_dx10_clamp 1
		.amdhsa_ieee_mode 1
		.amdhsa_fp16_overflow 0
		.amdhsa_workgroup_processor_mode 1
		.amdhsa_memory_ordered 1
		.amdhsa_forward_progress 0
		.amdhsa_shared_vgpr_count 0
		.amdhsa_exception_fp_ieee_invalid_op 0
		.amdhsa_exception_fp_denorm_src 0
		.amdhsa_exception_fp_ieee_div_zero 0
		.amdhsa_exception_fp_ieee_overflow 0
		.amdhsa_exception_fp_ieee_underflow 0
		.amdhsa_exception_fp_ieee_inexact 0
		.amdhsa_exception_int_div_zero 0
	.end_amdhsa_kernel
	.section	.text._ZN4vllm31rms_norm_per_block_quant_kernelIfaLb0ELb1ELi64EEEvPT0_PfPKT_S6_PKffiiPS4_l,"axG",@progbits,_ZN4vllm31rms_norm_per_block_quant_kernelIfaLb0ELb1ELi64EEEvPT0_PfPKT_S6_PKffiiPS4_l,comdat
.Lfunc_end38:
	.size	_ZN4vllm31rms_norm_per_block_quant_kernelIfaLb0ELb1ELi64EEEvPT0_PfPKT_S6_PKffiiPS4_l, .Lfunc_end38-_ZN4vllm31rms_norm_per_block_quant_kernelIfaLb0ELb1ELi64EEEvPT0_PfPKT_S6_PKffiiPS4_l
                                        ; -- End function
	.section	.AMDGPU.csdata,"",@progbits
; Kernel info:
; codeLenInByte = 8124
; NumSgprs: 40
; NumVgprs: 35
; ScratchSize: 0
; MemoryBound: 0
; FloatMode: 240
; IeeeMode: 1
; LDSByteSize: 4228 bytes/workgroup (compile time only)
; SGPRBlocks: 4
; VGPRBlocks: 4
; NumSGPRsForWavesPerEU: 40
; NumVGPRsForWavesPerEU: 35
; Occupancy: 16
; WaveLimiterHint : 0
; COMPUTE_PGM_RSRC2:SCRATCH_EN: 0
; COMPUTE_PGM_RSRC2:USER_SGPR: 15
; COMPUTE_PGM_RSRC2:TRAP_HANDLER: 0
; COMPUTE_PGM_RSRC2:TGID_X_EN: 1
; COMPUTE_PGM_RSRC2:TGID_Y_EN: 0
; COMPUTE_PGM_RSRC2:TGID_Z_EN: 0
; COMPUTE_PGM_RSRC2:TIDIG_COMP_CNT: 0
	.section	.text._ZN4vllm31rms_norm_per_block_quant_kernelIfN3c1013Float8_e4m3fnELb0ELb0ELi64EEEvPT0_PfPKT_S8_PKffiiPS6_l,"axG",@progbits,_ZN4vllm31rms_norm_per_block_quant_kernelIfN3c1013Float8_e4m3fnELb0ELb0ELi64EEEvPT0_PfPKT_S8_PKffiiPS6_l,comdat
	.protected	_ZN4vllm31rms_norm_per_block_quant_kernelIfN3c1013Float8_e4m3fnELb0ELb0ELi64EEEvPT0_PfPKT_S8_PKffiiPS6_l ; -- Begin function _ZN4vllm31rms_norm_per_block_quant_kernelIfN3c1013Float8_e4m3fnELb0ELb0ELi64EEEvPT0_PfPKT_S8_PKffiiPS6_l
	.globl	_ZN4vllm31rms_norm_per_block_quant_kernelIfN3c1013Float8_e4m3fnELb0ELb0ELi64EEEvPT0_PfPKT_S8_PKffiiPS6_l
	.p2align	8
	.type	_ZN4vllm31rms_norm_per_block_quant_kernelIfN3c1013Float8_e4m3fnELb0ELb0ELi64EEEvPT0_PfPKT_S8_PKffiiPS6_l,@function
_ZN4vllm31rms_norm_per_block_quant_kernelIfN3c1013Float8_e4m3fnELb0ELb0ELi64EEEvPT0_PfPKT_S8_PKffiiPS6_l: ; @_ZN4vllm31rms_norm_per_block_quant_kernelIfN3c1013Float8_e4m3fnELb0ELb0ELi64EEEvPT0_PfPKT_S8_PKffiiPS6_l
; %bb.0:
	s_clause 0x1
	s_load_b128 s[16:19], s[0:1], 0x28
	s_load_b256 s[4:11], s[0:1], 0x0
	v_mov_b32_e32 v6, 0
	s_waitcnt lgkmcnt(0)
	s_ashr_i32 s2, s18, 31
	s_mul_hi_u32 s3, s18, s15
	s_mul_i32 s12, s2, s15
	s_mul_i32 s2, s18, s15
	s_add_i32 s3, s3, s12
	s_mov_b32 s12, s17
	s_lshl_b64 s[2:3], s[2:3], 2
	s_delay_alu instid0(SALU_CYCLE_1)
	s_add_u32 s14, s8, s2
	s_addc_u32 s26, s9, s3
	s_ashr_i32 s8, s17, 2
	s_add_u32 s18, s0, 0x48
	v_cmp_gt_u32_e64 s2, s8, v0
	s_mov_b32 s9, 0
	s_addc_u32 s19, s1, 0
	s_delay_alu instid0(VALU_DEP_1)
	s_and_saveexec_b32 s3, s2
	s_cbranch_execz .LBB39_10
; %bb.1:
	s_load_b32 s13, s[18:19], 0x0
	v_dual_mov_b32 v2, 0 :: v_dual_mov_b32 v1, v0
	s_waitcnt lgkmcnt(0)
	s_cmp_lt_u32 s15, s13
	s_cselect_b32 s13, 12, 18
	s_delay_alu instid0(SALU_CYCLE_1)
	s_add_u32 s20, s18, s13
	s_addc_u32 s21, s19, 0
                                        ; implicit-def: $sgpr13
	global_load_u16 v7, v2, s[20:21]
	s_waitcnt vmcnt(0)
	v_lshlrev_b32_e32 v9, 1, v7
	v_mul_lo_u32 v8, v7, 3
	v_add_nc_u32_e32 v10, v7, v7
	v_mov_b32_e32 v6, v2
	s_branch .LBB39_5
.LBB39_2:                               ;   in Loop: Header=BB39_5 Depth=1
	s_or_b32 exec_lo, exec_lo, s22
	s_delay_alu instid0(SALU_CYCLE_1)
	s_or_not1_b32 s22, s23, exec_lo
.LBB39_3:                               ;   in Loop: Header=BB39_5 Depth=1
	s_or_b32 exec_lo, exec_lo, s21
	s_delay_alu instid0(SALU_CYCLE_1) | instskip(SKIP_1) | instid1(SALU_CYCLE_1)
	s_and_not1_b32 s13, s13, exec_lo
	s_and_b32 s21, s22, exec_lo
	s_or_b32 s13, s13, s21
.LBB39_4:                               ;   in Loop: Header=BB39_5 Depth=1
	s_or_b32 exec_lo, exec_lo, s20
	s_delay_alu instid0(SALU_CYCLE_1) | instskip(NEXT) | instid1(SALU_CYCLE_1)
	s_and_b32 s20, exec_lo, s13
	s_or_b32 s9, s20, s9
	s_delay_alu instid0(SALU_CYCLE_1)
	s_and_not1_b32 exec_lo, exec_lo, s9
	s_cbranch_execz .LBB39_9
.LBB39_5:                               ; =>This Inner Loop Header: Depth=1
	v_lshlrev_b64 v[3:4], 4, v[1:2]
	s_or_b32 s13, s13, exec_lo
	s_mov_b32 s20, exec_lo
	s_delay_alu instid0(VALU_DEP_1) | instskip(NEXT) | instid1(VALU_DEP_2)
	v_add_co_u32 v3, vcc_lo, s14, v3
	v_add_co_ci_u32_e32 v4, vcc_lo, s26, v4, vcc_lo
	global_load_b128 v[11:14], v[3:4], off
	v_add_nc_u32_e32 v3, v1, v7
	s_waitcnt vmcnt(0)
	v_fmac_f32_e32 v6, v11, v11
	s_delay_alu instid0(VALU_DEP_1) | instskip(NEXT) | instid1(VALU_DEP_1)
	v_fmac_f32_e32 v6, v12, v12
	v_fmac_f32_e32 v6, v13, v13
	s_delay_alu instid0(VALU_DEP_1)
	v_fmac_f32_e32 v6, v14, v14
	v_cmpx_gt_u32_e64 s8, v3
	s_cbranch_execz .LBB39_4
; %bb.6:                                ;   in Loop: Header=BB39_5 Depth=1
	v_mov_b32_e32 v4, v2
	s_mov_b32 s22, -1
	s_mov_b32 s21, exec_lo
	s_delay_alu instid0(VALU_DEP_1) | instskip(NEXT) | instid1(VALU_DEP_1)
	v_lshlrev_b64 v[4:5], 4, v[3:4]
	v_add_co_u32 v4, vcc_lo, s14, v4
	s_delay_alu instid0(VALU_DEP_2) | instskip(SKIP_4) | instid1(VALU_DEP_1)
	v_add_co_ci_u32_e32 v5, vcc_lo, s26, v5, vcc_lo
	global_load_b128 v[11:14], v[4:5], off
	v_add_nc_u32_e32 v4, v9, v1
	s_waitcnt vmcnt(0)
	v_fmac_f32_e32 v6, v11, v11
	v_fmac_f32_e32 v6, v12, v12
	s_delay_alu instid0(VALU_DEP_1) | instskip(NEXT) | instid1(VALU_DEP_1)
	v_fmac_f32_e32 v6, v13, v13
	v_fmac_f32_e32 v6, v14, v14
	v_cmpx_gt_u32_e64 s8, v4
	s_cbranch_execz .LBB39_3
; %bb.7:                                ;   in Loop: Header=BB39_5 Depth=1
	v_mov_b32_e32 v5, v2
	s_mov_b32 s23, -1
	s_mov_b32 s22, exec_lo
	s_delay_alu instid0(VALU_DEP_1) | instskip(NEXT) | instid1(VALU_DEP_1)
	v_lshlrev_b64 v[4:5], 4, v[4:5]
	v_add_co_u32 v4, vcc_lo, s14, v4
	s_delay_alu instid0(VALU_DEP_2) | instskip(SKIP_3) | instid1(VALU_DEP_1)
	v_add_co_ci_u32_e32 v5, vcc_lo, s26, v5, vcc_lo
	global_load_b128 v[11:14], v[4:5], off
	s_waitcnt vmcnt(0)
	v_fmac_f32_e32 v6, v11, v11
	v_fmac_f32_e32 v6, v12, v12
	s_delay_alu instid0(VALU_DEP_1) | instskip(NEXT) | instid1(VALU_DEP_1)
	v_fmac_f32_e32 v6, v13, v13
	v_dual_fmac_f32 v6, v14, v14 :: v_dual_add_nc_u32 v1, v8, v1
	s_delay_alu instid0(VALU_DEP_1)
	v_cmpx_gt_u32_e64 s8, v1
	s_xor_b32 s22, exec_lo, s22
	s_cbranch_execz .LBB39_2
; %bb.8:                                ;   in Loop: Header=BB39_5 Depth=1
	v_lshlrev_b64 v[4:5], 4, v[1:2]
	v_add3_u32 v1, v10, v7, v3
	s_delay_alu instid0(VALU_DEP_2) | instskip(NEXT) | instid1(VALU_DEP_3)
	v_add_co_u32 v4, vcc_lo, s14, v4
	v_add_co_ci_u32_e32 v5, vcc_lo, s26, v5, vcc_lo
	s_delay_alu instid0(VALU_DEP_3) | instskip(SKIP_4) | instid1(VALU_DEP_1)
	v_cmp_le_u32_e32 vcc_lo, s8, v1
	global_load_b128 v[11:14], v[4:5], off
	s_or_not1_b32 s23, vcc_lo, exec_lo
	s_waitcnt vmcnt(0)
	v_fmac_f32_e32 v6, v11, v11
	v_fmac_f32_e32 v6, v12, v12
	s_delay_alu instid0(VALU_DEP_1) | instskip(NEXT) | instid1(VALU_DEP_1)
	v_fmac_f32_e32 v6, v13, v13
	v_fmac_f32_e32 v6, v14, v14
	s_branch .LBB39_2
.LBB39_9:
	s_or_b32 exec_lo, exec_lo, s9
.LBB39_10:
	s_delay_alu instid0(SALU_CYCLE_1) | instskip(SKIP_3) | instid1(VALU_DEP_2)
	s_or_b32 exec_lo, exec_lo, s3
	v_mbcnt_lo_u32_b32 v1, -1, 0
	s_load_b32 s3, s[18:19], 0xc
	v_and_b32_e32 v7, 0x3e0, v0
	v_cmp_ne_u32_e32 vcc_lo, 31, v1
	v_add_nc_u32_e32 v3, 1, v1
	v_add_co_ci_u32_e32 v2, vcc_lo, 0, v1, vcc_lo
	v_cmp_gt_u32_e32 vcc_lo, 30, v1
	s_delay_alu instid0(VALU_DEP_2)
	v_lshlrev_b32_e32 v2, 2, v2
	v_cndmask_b32_e64 v5, 0, 1, vcc_lo
	ds_bpermute_b32 v4, v2, v6
	s_waitcnt lgkmcnt(0)
	s_and_b32 s27, s3, 0xffff
	v_lshlrev_b32_e32 v5, 1, v5
	v_sub_nc_u32_e64 v12, s27, v7 clamp
	s_mov_b32 s3, exec_lo
	s_delay_alu instid0(VALU_DEP_1) | instskip(SKIP_2) | instid1(VALU_DEP_2)
	v_cmp_lt_u32_e32 vcc_lo, v3, v12
	v_add_f32_e32 v7, v6, v4
	v_add_lshl_u32 v4, v5, v1, 2
	v_cndmask_b32_e32 v7, v6, v7, vcc_lo
	v_cmp_gt_u32_e32 vcc_lo, 28, v1
	v_cndmask_b32_e64 v5, 0, 1, vcc_lo
	s_delay_alu instid0(VALU_DEP_1) | instskip(SKIP_2) | instid1(VALU_DEP_1)
	v_lshlrev_b32_e32 v8, 2, v5
	ds_bpermute_b32 v6, v4, v7
	v_add_nc_u32_e32 v5, 2, v1
	v_cmp_lt_u32_e32 vcc_lo, v5, v12
	s_waitcnt lgkmcnt(0)
	v_add_f32_e32 v9, v7, v6
	v_add_lshl_u32 v6, v8, v1, 2
	s_delay_alu instid0(VALU_DEP_2) | instskip(SKIP_3) | instid1(VALU_DEP_1)
	v_cndmask_b32_e32 v9, v7, v9, vcc_lo
	v_cmp_gt_u32_e32 vcc_lo, 24, v1
	ds_bpermute_b32 v8, v6, v9
	v_cndmask_b32_e64 v7, 0, 1, vcc_lo
	v_lshlrev_b32_e32 v10, 3, v7
	v_add_nc_u32_e32 v7, 4, v1
	s_delay_alu instid0(VALU_DEP_1) | instskip(SKIP_3) | instid1(VALU_DEP_2)
	v_cmp_lt_u32_e32 vcc_lo, v7, v12
	s_waitcnt lgkmcnt(0)
	v_add_f32_e32 v11, v9, v8
	v_add_lshl_u32 v8, v10, v1, 2
	v_cndmask_b32_e32 v11, v9, v11, vcc_lo
	v_cmp_gt_u32_e32 vcc_lo, 16, v1
	ds_bpermute_b32 v10, v8, v11
	v_cndmask_b32_e64 v9, 0, 1, vcc_lo
	s_delay_alu instid0(VALU_DEP_1) | instskip(SKIP_1) | instid1(VALU_DEP_1)
	v_lshlrev_b32_e32 v13, 4, v9
	v_add_nc_u32_e32 v9, 8, v1
	v_cmp_lt_u32_e32 vcc_lo, v9, v12
	s_waitcnt lgkmcnt(0)
	v_add_f32_e32 v14, v11, v10
	v_add_lshl_u32 v10, v13, v1, 2
	s_delay_alu instid0(VALU_DEP_2)
	v_cndmask_b32_e32 v13, v11, v14, vcc_lo
	v_add_nc_u32_e32 v11, 16, v1
	ds_bpermute_b32 v14, v10, v13
	v_cmp_lt_u32_e32 vcc_lo, v11, v12
	s_waitcnt lgkmcnt(0)
	v_add_f32_e32 v14, v13, v14
	s_delay_alu instid0(VALU_DEP_1)
	v_cndmask_b32_e32 v12, v13, v14, vcc_lo
	v_cmpx_eq_u32_e32 0, v1
	s_cbranch_execz .LBB39_12
; %bb.11:
	v_lshrrev_b32_e32 v13, 3, v0
	s_delay_alu instid0(VALU_DEP_1)
	v_and_b32_e32 v13, 0x7c, v13
	ds_store_b32 v13, v12 offset:4096
.LBB39_12:
	s_or_b32 exec_lo, exec_lo, s3
	s_delay_alu instid0(SALU_CYCLE_1)
	s_mov_b32 s3, exec_lo
	s_waitcnt lgkmcnt(0)
	s_barrier
	buffer_gl0_inv
	v_cmpx_gt_u32_e32 32, v0
	s_cbranch_execz .LBB39_14
; %bb.13:
	v_lshlrev_b32_e32 v1, 2, v1
	s_add_i32 s9, s27, 31
	s_delay_alu instid0(SALU_CYCLE_1) | instskip(NEXT) | instid1(SALU_CYCLE_1)
	s_lshr_b32 s9, s9, 5
	v_cmp_gt_u32_e32 vcc_lo, s9, v3
	ds_load_b32 v1, v1 offset:4096
	s_waitcnt lgkmcnt(0)
	ds_bpermute_b32 v2, v2, v1
	s_waitcnt lgkmcnt(0)
	v_add_f32_e32 v2, v1, v2
	s_delay_alu instid0(VALU_DEP_1) | instskip(SKIP_4) | instid1(VALU_DEP_1)
	v_cndmask_b32_e32 v1, v1, v2, vcc_lo
	v_cmp_gt_u32_e32 vcc_lo, s9, v5
	ds_bpermute_b32 v2, v4, v1
	s_waitcnt lgkmcnt(0)
	v_add_f32_e32 v2, v1, v2
	v_cndmask_b32_e32 v1, v1, v2, vcc_lo
	v_cmp_gt_u32_e32 vcc_lo, s9, v7
	ds_bpermute_b32 v2, v6, v1
	s_waitcnt lgkmcnt(0)
	v_add_f32_e32 v2, v1, v2
	s_delay_alu instid0(VALU_DEP_1) | instskip(SKIP_4) | instid1(VALU_DEP_1)
	v_cndmask_b32_e32 v1, v1, v2, vcc_lo
	v_cmp_gt_u32_e32 vcc_lo, s9, v9
	ds_bpermute_b32 v2, v8, v1
	s_waitcnt lgkmcnt(0)
	v_add_f32_e32 v2, v1, v2
	v_cndmask_b32_e32 v1, v1, v2, vcc_lo
	v_cmp_gt_u32_e32 vcc_lo, s9, v11
	ds_bpermute_b32 v2, v10, v1
	s_waitcnt lgkmcnt(0)
	v_add_f32_e32 v2, v1, v2
	s_delay_alu instid0(VALU_DEP_1)
	v_cndmask_b32_e32 v12, v1, v2, vcc_lo
.LBB39_14:
	s_or_b32 exec_lo, exec_lo, s3
	s_delay_alu instid0(SALU_CYCLE_1)
	s_mov_b32 s3, exec_lo
	v_cmpx_eq_u32_e32 0, v0
	s_cbranch_execz .LBB39_16
; %bb.15:
	v_cvt_f32_i32_e32 v1, s17
	s_delay_alu instid0(VALU_DEP_1) | instskip(SKIP_1) | instid1(VALU_DEP_2)
	v_div_scale_f32 v2, null, v1, v1, v12
	v_div_scale_f32 v5, vcc_lo, v12, v1, v12
	v_rcp_f32_e32 v3, v2
	s_waitcnt_depctr 0xfff
	v_fma_f32 v4, -v2, v3, 1.0
	s_delay_alu instid0(VALU_DEP_1) | instskip(NEXT) | instid1(VALU_DEP_1)
	v_fmac_f32_e32 v3, v4, v3
	v_mul_f32_e32 v4, v5, v3
	s_delay_alu instid0(VALU_DEP_1) | instskip(NEXT) | instid1(VALU_DEP_1)
	v_fma_f32 v6, -v2, v4, v5
	v_fmac_f32_e32 v4, v6, v3
	s_delay_alu instid0(VALU_DEP_1) | instskip(NEXT) | instid1(VALU_DEP_1)
	v_fma_f32 v2, -v2, v4, v5
	v_div_fmas_f32 v2, v2, v3, v4
	s_delay_alu instid0(VALU_DEP_1) | instskip(NEXT) | instid1(VALU_DEP_1)
	v_div_fixup_f32 v1, v2, v1, v12
	v_add_f32_e32 v1, s16, v1
	s_delay_alu instid0(VALU_DEP_1) | instskip(SKIP_1) | instid1(VALU_DEP_2)
	v_mul_f32_e32 v2, 0x4b800000, v1
	v_cmp_gt_f32_e32 vcc_lo, 0x800000, v1
	v_cndmask_b32_e32 v1, v1, v2, vcc_lo
	s_delay_alu instid0(VALU_DEP_1) | instskip(SKIP_2) | instid1(VALU_DEP_1)
	v_rsq_f32_e32 v1, v1
	s_waitcnt_depctr 0xfff
	v_mul_f32_e32 v2, 0x45800000, v1
	v_dual_cndmask_b32 v1, v1, v2 :: v_dual_mov_b32 v2, 0
	ds_store_b32 v2, v1 offset:4224
.LBB39_16:
	s_or_b32 exec_lo, exec_lo, s3
	s_ashr_i32 s13, s17, 31
	s_waitcnt lgkmcnt(0)
	s_lshr_b32 s3, s13, 26
	s_barrier
	s_add_i32 s3, s17, s3
	buffer_gl0_inv
	s_ashr_i32 s16, s3, 6
	s_ashr_i32 s3, s3, 31
	s_abs_i32 s9, s16
	s_delay_alu instid0(SALU_CYCLE_1) | instskip(SKIP_1) | instid1(VALU_DEP_1)
	v_cvt_f32_u32_e32 v1, s9
	s_sub_i32 s18, 0, s9
	v_rcp_iflag_f32_e32 v1, v1
	s_waitcnt_depctr 0xfff
	v_mul_f32_e32 v1, 0x4f7ffffe, v1
	s_delay_alu instid0(VALU_DEP_1) | instskip(NEXT) | instid1(VALU_DEP_1)
	v_cvt_u32_f32_e32 v1, v1
	v_readfirstlane_b32 s17, v1
	s_delay_alu instid0(VALU_DEP_1) | instskip(NEXT) | instid1(SALU_CYCLE_1)
	s_mul_i32 s18, s18, s17
	s_mul_hi_u32 s18, s17, s18
	s_delay_alu instid0(SALU_CYCLE_1) | instskip(NEXT) | instid1(SALU_CYCLE_1)
	s_add_i32 s17, s17, s18
	s_mul_hi_u32 s17, s27, s17
	s_delay_alu instid0(SALU_CYCLE_1) | instskip(SKIP_2) | instid1(SALU_CYCLE_1)
	s_mul_i32 s18, s17, s9
	s_add_i32 s19, s17, 1
	s_sub_i32 s18, s27, s18
	s_sub_i32 s20, s18, s9
	s_cmp_ge_u32 s18, s9
	s_cselect_b32 s17, s19, s17
	s_cselect_b32 s18, s20, s18
	s_add_i32 s19, s17, 1
	s_cmp_ge_u32 s18, s9
	s_cselect_b32 s9, s19, s17
	s_delay_alu instid0(SALU_CYCLE_1) | instskip(NEXT) | instid1(SALU_CYCLE_1)
	s_xor_b32 s9, s9, s3
	s_sub_i32 s18, s9, s3
	s_delay_alu instid0(SALU_CYCLE_1) | instskip(SKIP_3) | instid1(VALU_DEP_1)
	s_abs_i32 s3, s18
	s_ashr_i32 s19, s18, 31
	v_cvt_f32_u32_e32 v1, s3
	s_sub_i32 s9, 0, s3
	v_rcp_iflag_f32_e32 v1, v1
	s_waitcnt_depctr 0xfff
	v_mul_f32_e32 v1, 0x4f7ffffe, v1
	s_delay_alu instid0(VALU_DEP_1) | instskip(NEXT) | instid1(VALU_DEP_1)
	v_cvt_u32_f32_e32 v1, v1
	v_mul_lo_u32 v2, s9, v1
	s_ashr_i32 s9, s8, 31
	s_delay_alu instid0(VALU_DEP_1) | instskip(NEXT) | instid1(VALU_DEP_1)
	v_mul_hi_u32 v2, v1, v2
	v_add_nc_u32_e32 v1, v1, v2
	s_delay_alu instid0(VALU_DEP_1) | instskip(NEXT) | instid1(VALU_DEP_1)
	v_mul_hi_u32 v1, v0, v1
	v_mul_lo_u32 v2, v1, s3
	v_add_nc_u32_e32 v3, 1, v1
	s_delay_alu instid0(VALU_DEP_2) | instskip(NEXT) | instid1(VALU_DEP_1)
	v_sub_nc_u32_e32 v2, v0, v2
	v_subrev_nc_u32_e32 v4, s3, v2
	v_cmp_le_u32_e32 vcc_lo, s3, v2
	s_delay_alu instid0(VALU_DEP_2) | instskip(NEXT) | instid1(VALU_DEP_1)
	v_dual_cndmask_b32 v1, v1, v3 :: v_dual_cndmask_b32 v2, v2, v4
	v_dual_mov_b32 v4, 0 :: v_dual_add_nc_u32 v3, 1, v1
	s_delay_alu instid0(VALU_DEP_2) | instskip(SKIP_2) | instid1(VALU_DEP_1)
	v_cmp_le_u32_e32 vcc_lo, s3, v2
	ds_load_b32 v28, v4 offset:4224
	v_cndmask_b32_e32 v1, v1, v3, vcc_lo
	v_xor_b32_e32 v1, s19, v1
	s_delay_alu instid0(VALU_DEP_1) | instskip(NEXT) | instid1(VALU_DEP_1)
	v_subrev_nc_u32_e32 v1, s19, v1
	v_ashrrev_i32_e32 v2, 31, v1
	v_mul_lo_u32 v3, v1, s18
	s_delay_alu instid0(VALU_DEP_2) | instskip(NEXT) | instid1(VALU_DEP_2)
	v_lshlrev_b64 v[7:8], 4, v[1:2]
	v_sub_nc_u32_e32 v3, v0, v3
	s_delay_alu instid0(VALU_DEP_2) | instskip(NEXT) | instid1(VALU_DEP_3)
	v_add_co_u32 v5, vcc_lo, v7, 16
	v_add_co_ci_u32_e32 v6, vcc_lo, 0, v8, vcc_lo
	s_delay_alu instid0(VALU_DEP_1) | instskip(SKIP_4) | instid1(VALU_DEP_3)
	v_cmp_gt_i64_e32 vcc_lo, s[8:9], v[5:6]
	v_cndmask_b32_e32 v6, s9, v6, vcc_lo
	v_cndmask_b32_e32 v5, s8, v5, vcc_lo
	v_add_co_u32 v7, vcc_lo, v7, v3
	v_add_co_ci_u32_e32 v8, vcc_lo, 0, v8, vcc_lo
	v_ashrrev_i32_e32 v10, 31, v5
	v_mov_b32_e32 v9, v5
	s_mov_b32 s9, exec_lo
	s_delay_alu instid0(VALU_DEP_1)
	v_cmpx_lt_i64_e64 v[7:8], v[9:10]
	s_cbranch_execz .LBB39_26
; %bb.17:
	v_lshlrev_b64 v[11:12], 8, v[1:2]
	v_lshlrev_b64 v[13:14], 4, v[3:4]
	v_mov_b32_e32 v4, 0
	s_lshl_b64 s[20:21], s[18:19], 6
	s_mul_hi_i32 s17, s18, 3
	s_mul_i32 s28, s18, 3
	s_lshl_b64 s[22:23], s[18:19], 1
	v_add_co_u32 v19, vcc_lo, v11, v13
	v_add_co_ci_u32_e32 v20, vcc_lo, v12, v14, vcc_lo
	v_dual_mov_b32 v12, v8 :: v_dual_mov_b32 v11, v7
	s_lshl_b64 s[24:25], s[18:19], 4
	s_mov_b32 s29, 0
                                        ; implicit-def: $sgpr30
	s_branch .LBB39_21
.LBB39_18:                              ;   in Loop: Header=BB39_21 Depth=1
	s_or_b32 exec_lo, exec_lo, s34
	s_delay_alu instid0(SALU_CYCLE_1)
	s_or_not1_b32 s3, s3, exec_lo
.LBB39_19:                              ;   in Loop: Header=BB39_21 Depth=1
	s_or_b32 exec_lo, exec_lo, s33
	s_delay_alu instid0(SALU_CYCLE_1) | instskip(SKIP_1) | instid1(SALU_CYCLE_1)
	s_and_not1_b32 s30, s30, exec_lo
	s_and_b32 s3, s3, exec_lo
	s_or_b32 s30, s30, s3
.LBB39_20:                              ;   in Loop: Header=BB39_21 Depth=1
	s_or_b32 exec_lo, exec_lo, s31
	s_delay_alu instid0(SALU_CYCLE_1) | instskip(NEXT) | instid1(SALU_CYCLE_1)
	s_and_b32 s3, exec_lo, s30
	s_or_b32 s29, s3, s29
	s_delay_alu instid0(SALU_CYCLE_1)
	s_and_not1_b32 exec_lo, exec_lo, s29
	s_cbranch_execz .LBB39_25
.LBB39_21:                              ; =>This Inner Loop Header: Depth=1
	v_add_co_u32 v15, vcc_lo, s14, v19
	v_add_co_ci_u32_e32 v16, vcc_lo, s26, v20, vcc_lo
	v_add_co_u32 v17, vcc_lo, s10, v19
	v_add_co_ci_u32_e32 v18, vcc_lo, s11, v20, vcc_lo
	s_or_b32 s30, s30, exec_lo
	global_load_b128 v[21:24], v[15:16], off
	global_load_b128 v[29:32], v[17:18], off
	s_mov_b32 s31, exec_lo
	s_waitcnt vmcnt(1) lgkmcnt(0)
	v_mul_f32_e32 v14, v28, v22
	v_mul_f32_e32 v13, v28, v21
	;; [unrolled: 1-line block ×3, first 2 shown]
	s_waitcnt vmcnt(0)
	s_delay_alu instid0(VALU_DEP_3) | instskip(NEXT) | instid1(VALU_DEP_2)
	v_dual_mul_f32 v21, v28, v23 :: v_dual_mul_f32 v24, v14, v30
	v_dual_mul_f32 v23, v13, v29 :: v_dual_mul_f32 v22, v22, v32
	s_delay_alu instid0(VALU_DEP_2) | instskip(SKIP_1) | instid1(VALU_DEP_3)
	v_mul_f32_e32 v21, v21, v31
	v_add_co_u32 v13, vcc_lo, v11, s18
	v_max3_f32 v4, v4, |v23|, |v24|
	v_add_co_ci_u32_e32 v14, vcc_lo, s19, v12, vcc_lo
	s_delay_alu instid0(VALU_DEP_2) | instskip(NEXT) | instid1(VALU_DEP_2)
	v_max3_f32 v4, v4, |v21|, |v22|
	v_cmpx_lt_i64_e64 v[13:14], v[9:10]
	s_cbranch_execz .LBB39_20
; %bb.22:                               ;   in Loop: Header=BB39_21 Depth=1
	v_add_co_u32 v15, vcc_lo, v15, s24
	v_add_co_ci_u32_e32 v16, vcc_lo, s25, v16, vcc_lo
	v_add_co_u32 v17, vcc_lo, v17, s24
	v_add_co_ci_u32_e32 v18, vcc_lo, s25, v18, vcc_lo
	s_mov_b32 s3, -1
	global_load_b128 v[21:24], v[15:16], off
	global_load_b128 v[29:32], v[17:18], off
	s_mov_b32 s33, exec_lo
	s_waitcnt vmcnt(1)
	v_mul_f32_e32 v22, v28, v22
	v_mul_f32_e32 v21, v28, v21
	;; [unrolled: 1-line block ×4, first 2 shown]
	s_waitcnt vmcnt(0)
	s_delay_alu instid0(VALU_DEP_3) | instskip(NEXT) | instid1(VALU_DEP_2)
	v_dual_mul_f32 v26, v22, v30 :: v_dual_mul_f32 v25, v21, v29
	v_dual_mul_f32 v23, v23, v31 :: v_dual_mul_f32 v24, v24, v32
	v_add_co_u32 v21, vcc_lo, s22, v11
	s_delay_alu instid0(VALU_DEP_3) | instskip(SKIP_1) | instid1(VALU_DEP_2)
	v_max3_f32 v4, v4, |v25|, |v26|
	v_add_co_ci_u32_e32 v22, vcc_lo, s23, v12, vcc_lo
	v_max3_f32 v4, v4, |v23|, |v24|
	s_delay_alu instid0(VALU_DEP_2)
	v_cmpx_lt_i64_e64 v[21:22], v[9:10]
	s_cbranch_execz .LBB39_19
; %bb.23:                               ;   in Loop: Header=BB39_21 Depth=1
	v_add_co_u32 v15, vcc_lo, v15, s24
	v_add_co_ci_u32_e32 v16, vcc_lo, s25, v16, vcc_lo
	v_add_co_u32 v17, vcc_lo, v17, s24
	v_add_co_ci_u32_e32 v18, vcc_lo, s25, v18, vcc_lo
	v_add_co_u32 v11, vcc_lo, s28, v11
	global_load_b128 v[21:24], v[15:16], off
	global_load_b128 v[29:32], v[17:18], off
	v_add_co_ci_u32_e32 v12, vcc_lo, s17, v12, vcc_lo
	s_delay_alu instid0(VALU_DEP_1)
	v_cmp_lt_i64_e32 vcc_lo, v[11:12], v[9:10]
                                        ; implicit-def: $vgpr11_vgpr12
	s_waitcnt vmcnt(1)
	v_mul_f32_e32 v22, v28, v22
	v_mul_f32_e32 v21, v28, v21
	;; [unrolled: 1-line block ×4, first 2 shown]
	s_waitcnt vmcnt(0)
	s_delay_alu instid0(VALU_DEP_3) | instskip(NEXT) | instid1(VALU_DEP_3)
	v_dual_mul_f32 v22, v22, v30 :: v_dual_mul_f32 v21, v21, v29
	v_mul_f32_e32 v23, v23, v31
	s_delay_alu instid0(VALU_DEP_2) | instskip(SKIP_1) | instid1(VALU_DEP_1)
	v_max3_f32 v4, v4, |v21|, |v22|
	v_mul_f32_e32 v21, v24, v32
	v_max3_f32 v4, v4, |v23|, |v21|
	s_and_saveexec_b32 s34, vcc_lo
	s_delay_alu instid0(SALU_CYCLE_1)
	s_xor_b32 s34, exec_lo, s34
	s_cbranch_execz .LBB39_18
; %bb.24:                               ;   in Loop: Header=BB39_21 Depth=1
	v_add_co_u32 v11, vcc_lo, v15, s24
	v_add_co_ci_u32_e32 v12, vcc_lo, s25, v16, vcc_lo
	v_add_co_u32 v21, vcc_lo, v17, s24
	v_add_co_ci_u32_e32 v22, vcc_lo, s25, v18, vcc_lo
	s_add_u32 s3, s18, s18
	global_load_b128 v[15:18], v[11:12], off
	global_load_b128 v[21:24], v[21:22], off
	s_addc_u32 s35, s19, s19
	s_add_u32 s3, s3, s18
	s_addc_u32 s35, s35, s19
	s_waitcnt vmcnt(1)
	v_mul_f32_e32 v11, v28, v15
	v_mul_f32_e32 v12, v28, v16
	;; [unrolled: 1-line block ×3, first 2 shown]
	s_waitcnt vmcnt(0)
	s_delay_alu instid0(VALU_DEP_3) | instskip(NEXT) | instid1(VALU_DEP_3)
	v_dual_mul_f32 v16, v28, v18 :: v_dual_mul_f32 v17, v11, v21
	v_mul_f32_e32 v18, v12, v22
	v_add_co_u32 v11, vcc_lo, s3, v13
	v_mul_f32_e32 v13, v15, v23
	v_add_co_ci_u32_e32 v12, vcc_lo, s35, v14, vcc_lo
	v_mul_f32_e32 v14, v16, v24
	v_max3_f32 v4, v4, |v17|, |v18|
	v_add_co_u32 v19, s3, v19, s20
	s_delay_alu instid0(VALU_DEP_4) | instskip(SKIP_1) | instid1(VALU_DEP_4)
	v_cmp_ge_i64_e32 vcc_lo, v[11:12], v[9:10]
	v_add_co_ci_u32_e64 v20, s3, s21, v20, s3
	v_max3_f32 v4, v4, |v13|, |v14|
	s_or_not1_b32 s3, vcc_lo, exec_lo
	s_branch .LBB39_18
.LBB39_25:
	s_or_b32 exec_lo, exec_lo, s29
.LBB39_26:
	s_delay_alu instid0(SALU_CYCLE_1)
	s_or_b32 exec_lo, exec_lo, s9
	s_lshr_b32 s9, s27, 5
	v_lshlrev_b32_e32 v29, 2, v0
	v_cvt_f32_u32_e32 v9, s9
	s_sub_i32 s17, 0, s9
	s_add_i32 s20, s16, s9
	s_delay_alu instid0(SALU_CYCLE_1) | instskip(NEXT) | instid1(VALU_DEP_1)
	s_add_i32 s20, s20, -1
	v_rcp_iflag_f32_e32 v9, v9
	s_abs_i32 s21, s20
	s_ashr_i32 s20, s20, 31
	ds_store_b32 v29, v4
	s_waitcnt lgkmcnt(0)
	s_barrier
	buffer_gl0_inv
	v_mul_f32_e32 v9, 0x4f7ffffe, v9
	s_delay_alu instid0(VALU_DEP_1) | instskip(NEXT) | instid1(VALU_DEP_1)
	v_cvt_u32_f32_e32 v9, v9
	v_readfirstlane_b32 s3, v9
	s_delay_alu instid0(VALU_DEP_1) | instskip(NEXT) | instid1(SALU_CYCLE_1)
	s_mul_i32 s17, s17, s3
	s_mul_hi_u32 s17, s3, s17
	s_delay_alu instid0(SALU_CYCLE_1) | instskip(SKIP_2) | instid1(SALU_CYCLE_1)
	s_add_i32 s3, s3, s17
	s_ashr_i32 s17, s16, 31
	s_mul_hi_u32 s3, s21, s3
	s_mul_i32 s22, s3, s9
	s_delay_alu instid0(SALU_CYCLE_1)
	s_sub_i32 s21, s21, s22
	s_add_i32 s22, s3, 1
	s_sub_i32 s23, s21, s9
	s_cmp_ge_u32 s21, s9
	s_cselect_b32 s3, s22, s3
	s_cselect_b32 s21, s23, s21
	s_add_i32 s22, s3, 1
	s_cmp_ge_u32 s21, s9
	s_cselect_b32 s3, s22, s3
	s_delay_alu instid0(SALU_CYCLE_1) | instskip(NEXT) | instid1(SALU_CYCLE_1)
	s_xor_b32 s3, s3, s20
	s_sub_i32 s20, s3, s20
	s_delay_alu instid0(SALU_CYCLE_1) | instskip(NEXT) | instid1(SALU_CYCLE_1)
	s_ashr_i32 s21, s20, 31
	v_cmp_lt_i64_e64 s3, s[20:21], 1
	s_delay_alu instid0(VALU_DEP_1)
	s_and_b32 vcc_lo, exec_lo, s3
	s_cbranch_vccnz .LBB39_46
; %bb.27:
	v_lshrrev_b32_e32 v9, 5, v0
	v_and_b32_e32 v4, 31, v0
	s_mov_b64 s[22:23], 0
	s_mov_b64 s[24:25], src_shared_base
	s_delay_alu instid0(VALU_DEP_2) | instskip(NEXT) | instid1(VALU_DEP_2)
	v_mul_lo_u32 v19, s18, v9
	v_add_co_u32 v11, s3, v4, 16
	s_delay_alu instid0(VALU_DEP_1) | instskip(SKIP_1) | instid1(VALU_DEP_1)
	v_add_co_ci_u32_e64 v12, null, 0, 0, s3
	v_add_co_u32 v13, s3, v4, 8
	v_add_co_ci_u32_e64 v14, null, 0, 0, s3
	v_add_co_u32 v15, s3, v4, 4
	v_dual_mov_b32 v10, 0 :: v_dual_lshlrev_b32 v21, 2, v19
	v_lshlrev_b32_e32 v22, 2, v4
	v_add_co_ci_u32_e64 v16, null, 0, 0, s3
	v_add_co_u32 v17, s3, v4, 2
	s_delay_alu instid0(VALU_DEP_1) | instskip(SKIP_1) | instid1(VALU_DEP_1)
	v_add_co_ci_u32_e64 v18, null, 0, 0, s3
	v_add_co_u32 v19, s3, v4, 1
	v_add_co_ci_u32_e64 v20, null, 0, 0, s3
	v_add3_u32 v30, v21, v22, 0x80
	s_mul_i32 s3, s18, s9
	s_delay_alu instid0(SALU_CYCLE_1)
	s_lshl_b32 s28, s3, 2
	s_branch .LBB39_30
.LBB39_28:                              ;   in Loop: Header=BB39_30 Depth=1
	s_or_b32 exec_lo, exec_lo, s3
	v_mov_b32_e32 v22, s25
	flat_load_b32 v21, v[21:22] glc dlc
	s_waitcnt vmcnt(0)
.LBB39_29:                              ;   in Loop: Header=BB39_30 Depth=1
	s_or_b32 exec_lo, exec_lo, s24
	s_add_u32 s22, s22, 1
	v_add_nc_u32_e32 v30, s28, v30
	s_addc_u32 s23, s23, 0
	s_delay_alu instid0(SALU_CYCLE_1)
	s_cmp_eq_u64 s[22:23], s[20:21]
	s_cbranch_scc1 .LBB39_46
.LBB39_30:                              ; =>This Loop Header: Depth=1
                                        ;     Child Loop BB39_33 Depth 2
	s_waitcnt lgkmcnt(0)
	v_mad_u64_u32 v[21:22], null, s22, s9, v[9:10]
	s_mov_b32 s24, exec_lo
	s_delay_alu instid0(VALU_DEP_1) | instskip(NEXT) | instid1(VALU_DEP_1)
	v_mad_u64_u32 v[23:24], null, s23, s9, v[22:23]
	v_mov_b32_e32 v22, v23
	s_delay_alu instid0(VALU_DEP_1)
	v_cmpx_gt_i64_e64 s[16:17], v[21:22]
	s_cbranch_execz .LBB39_29
; %bb.31:                               ;   in Loop: Header=BB39_30 Depth=1
	v_mul_lo_u32 v24, v22, s18
	v_mul_lo_u32 v25, v21, s19
	v_mad_u64_u32 v[22:23], null, v21, s18, 0
	s_delay_alu instid0(VALU_DEP_1) | instskip(NEXT) | instid1(VALU_DEP_2)
	v_add3_u32 v23, v23, v25, v24
	v_add_co_u32 v24, vcc_lo, v22, s18
	v_add_co_u32 v31, s3, v22, v4
	s_delay_alu instid0(VALU_DEP_3) | instskip(SKIP_2) | instid1(VALU_DEP_2)
	v_add_co_ci_u32_e32 v25, vcc_lo, s19, v23, vcc_lo
	v_add_co_ci_u32_e64 v21, s3, 0, v23, s3
	s_mov_b32 s3, exec_lo
	v_cmp_gt_i64_e32 vcc_lo, s[12:13], v[24:25]
	v_cndmask_b32_e32 v25, s13, v25, vcc_lo
	v_cndmask_b32_e32 v24, s12, v24, vcc_lo
	v_add_co_u32 v26, vcc_lo, v31, 32
	v_add_co_ci_u32_e32 v27, vcc_lo, 0, v21, vcc_lo
	v_lshlrev_b32_e32 v21, 2, v31
	s_delay_alu instid0(VALU_DEP_2)
	v_cmpx_lt_i64_e64 v[26:27], v[24:25]
	s_cbranch_execz .LBB39_34
; %bb.32:                               ;   in Loop: Header=BB39_30 Depth=1
	ds_load_b32 v33, v21
	v_mov_b32_e32 v32, v30
	s_mov_b32 s29, 0
.LBB39_33:                              ;   Parent Loop BB39_30 Depth=1
                                        ; =>  This Inner Loop Header: Depth=2
	ds_load_b32 v34, v32
	v_add_co_u32 v26, vcc_lo, v26, 32
	v_add_co_ci_u32_e32 v27, vcc_lo, 0, v27, vcc_lo
	s_waitcnt lgkmcnt(1)
	v_dual_max_f32 v33, v33, v33 :: v_dual_add_nc_u32 v32, 0x80, v32
	s_delay_alu instid0(VALU_DEP_2) | instskip(SKIP_3) | instid1(VALU_DEP_1)
	v_cmp_ge_i64_e32 vcc_lo, v[26:27], v[24:25]
	s_or_b32 s29, vcc_lo, s29
	s_waitcnt lgkmcnt(0)
	v_max_f32_e32 v34, v34, v34
	v_max_f32_e32 v33, v33, v34
	ds_store_b32 v21, v33
	s_and_not1_b32 exec_lo, exec_lo, s29
	s_cbranch_execnz .LBB39_33
.LBB39_34:                              ;   in Loop: Header=BB39_30 Depth=1
	s_or_b32 exec_lo, exec_lo, s3
	v_sub_co_u32 v22, vcc_lo, v24, v22
	v_sub_co_ci_u32_e32 v23, vcc_lo, v25, v23, vcc_lo
	s_mov_b32 s3, exec_lo
	s_delay_alu instid0(VALU_DEP_1) | instskip(SKIP_1) | instid1(VALU_DEP_1)
	v_cmp_gt_i64_e32 vcc_lo, 32, v[22:23]
	v_dual_cndmask_b32 v24, 0, v23 :: v_dual_cndmask_b32 v23, 32, v22
	v_cmpx_lt_i64_e64 v[11:12], v[23:24]
	s_cbranch_execz .LBB39_36
; %bb.35:                               ;   in Loop: Header=BB39_30 Depth=1
	v_dual_mov_b32 v22, s25 :: v_dual_add_nc_u32 v25, 64, v21
	v_mov_b32_e32 v26, s25
	flat_load_b32 v27, v[21:22] glc dlc
	s_waitcnt vmcnt(0)
	flat_load_b32 v25, v[25:26] glc dlc
	s_waitcnt vmcnt(0) lgkmcnt(0)
	v_dual_max_f32 v26, v27, v27 :: v_dual_max_f32 v25, v25, v25
	s_delay_alu instid0(VALU_DEP_1)
	v_max_f32_e32 v25, v26, v25
	flat_store_b32 v[21:22], v25 dlc
	s_waitcnt_vscnt null, 0x0
.LBB39_36:                              ;   in Loop: Header=BB39_30 Depth=1
	s_or_b32 exec_lo, exec_lo, s3
	s_delay_alu instid0(SALU_CYCLE_1)
	s_mov_b32 s3, exec_lo
	v_cmpx_lt_i64_e64 v[13:14], v[23:24]
	s_cbranch_execz .LBB39_38
; %bb.37:                               ;   in Loop: Header=BB39_30 Depth=1
	v_dual_mov_b32 v22, s25 :: v_dual_add_nc_u32 v25, 32, v21
	v_mov_b32_e32 v26, s25
	flat_load_b32 v27, v[21:22] glc dlc
	s_waitcnt vmcnt(0)
	flat_load_b32 v25, v[25:26] glc dlc
	s_waitcnt vmcnt(0) lgkmcnt(0)
	v_dual_max_f32 v26, v27, v27 :: v_dual_max_f32 v25, v25, v25
	s_delay_alu instid0(VALU_DEP_1)
	v_max_f32_e32 v25, v26, v25
	flat_store_b32 v[21:22], v25 dlc
	s_waitcnt_vscnt null, 0x0
.LBB39_38:                              ;   in Loop: Header=BB39_30 Depth=1
	s_or_b32 exec_lo, exec_lo, s3
	s_delay_alu instid0(SALU_CYCLE_1)
	s_mov_b32 s3, exec_lo
	v_cmpx_ge_i64_e64 v[15:16], v[23:24]
	s_xor_b32 s3, exec_lo, s3
; %bb.39:                               ;   in Loop: Header=BB39_30 Depth=1
                                        ; implicit-def: $vgpr21
; %bb.40:                               ;   in Loop: Header=BB39_30 Depth=1
	s_delay_alu instid0(SALU_CYCLE_1)
	s_and_not1_saveexec_b32 s3, s3
	s_cbranch_execz .LBB39_42
; %bb.41:                               ;   in Loop: Header=BB39_30 Depth=1
	v_dual_mov_b32 v22, s25 :: v_dual_add_nc_u32 v25, 16, v21
	v_mov_b32_e32 v26, s25
	flat_load_b32 v27, v[21:22] glc dlc
	s_waitcnt vmcnt(0)
	flat_load_b32 v25, v[25:26] glc dlc
	s_waitcnt vmcnt(0) lgkmcnt(0)
	v_dual_max_f32 v26, v27, v27 :: v_dual_max_f32 v25, v25, v25
	s_delay_alu instid0(VALU_DEP_1)
	v_max_f32_e32 v25, v26, v25
	flat_store_b32 v[21:22], v25 dlc
	s_waitcnt_vscnt null, 0x0
.LBB39_42:                              ;   in Loop: Header=BB39_30 Depth=1
	s_or_b32 exec_lo, exec_lo, s3
	v_lshlrev_b32_e32 v21, 2, v31
	s_mov_b32 s3, exec_lo
	v_cmpx_lt_i64_e64 v[17:18], v[23:24]
	s_cbranch_execz .LBB39_44
; %bb.43:                               ;   in Loop: Header=BB39_30 Depth=1
	s_delay_alu instid0(VALU_DEP_2)
	v_dual_mov_b32 v22, s25 :: v_dual_add_nc_u32 v25, 8, v21
	v_mov_b32_e32 v26, s25
	flat_load_b32 v27, v[21:22] glc dlc
	s_waitcnt vmcnt(0)
	flat_load_b32 v25, v[25:26] glc dlc
	s_waitcnt vmcnt(0) lgkmcnt(0)
	v_dual_max_f32 v26, v27, v27 :: v_dual_max_f32 v25, v25, v25
	s_delay_alu instid0(VALU_DEP_1)
	v_max_f32_e32 v25, v26, v25
	flat_store_b32 v[21:22], v25 dlc
	s_waitcnt_vscnt null, 0x0
.LBB39_44:                              ;   in Loop: Header=BB39_30 Depth=1
	s_or_b32 exec_lo, exec_lo, s3
	s_delay_alu instid0(SALU_CYCLE_1)
	s_mov_b32 s3, exec_lo
	v_cmpx_lt_i64_e64 v[19:20], v[23:24]
	s_cbranch_execz .LBB39_28
; %bb.45:                               ;   in Loop: Header=BB39_30 Depth=1
	v_dual_mov_b32 v22, s25 :: v_dual_add_nc_u32 v23, 4, v21
	v_mov_b32_e32 v24, s25
	flat_load_b32 v25, v[21:22] glc dlc
	s_waitcnt vmcnt(0)
	flat_load_b32 v23, v[23:24] glc dlc
	s_waitcnt vmcnt(0) lgkmcnt(0)
	v_dual_max_f32 v24, v25, v25 :: v_dual_max_f32 v23, v23, v23
	s_delay_alu instid0(VALU_DEP_1)
	v_max_f32_e32 v23, v24, v23
	flat_store_b32 v[21:22], v23 dlc
	s_waitcnt_vscnt null, 0x0
	s_branch .LBB39_28
.LBB39_46:
	v_cmp_lt_i64_e32 vcc_lo, v[7:8], v[5:6]
	v_cmp_eq_u32_e64 s3, 0, v3
	s_mul_i32 s9, s17, s15
	s_mul_hi_u32 s18, s16, s15
	s_mul_i32 s16, s16, s15
	s_waitcnt lgkmcnt(0)
	s_and_b32 s17, s3, vcc_lo
	s_barrier
	buffer_gl0_inv
	s_and_saveexec_b32 s3, s17
	s_cbranch_execz .LBB39_50
; %bb.47:
	s_load_b64 s[0:1], s[0:1], 0x20
	ds_load_b32 v3, v29
	s_waitcnt lgkmcnt(0)
	s_cmp_eq_u64 s[0:1], 0
	s_cbranch_scc1 .LBB39_49
; %bb.48:
	s_load_b32 s0, s[0:1], 0x0
	v_max_f32_e32 v3, v3, v3
	s_waitcnt lgkmcnt(0)
	v_max_f32_e64 v4, s0, s0
	s_delay_alu instid0(VALU_DEP_1)
	v_min_f32_e32 v3, v3, v4
.LBB39_49:
	s_delay_alu instid0(VALU_DEP_1) | instskip(SKIP_2) | instid1(VALU_DEP_2)
	v_div_scale_f32 v4, null, 0x43e00000, 0x43e00000, v3
	v_div_scale_f32 v7, vcc_lo, v3, 0x43e00000, v3
	s_add_i32 s17, s18, s9
	v_rcp_f32_e32 v5, v4
	v_lshlrev_b64 v[1:2], 2, v[1:2]
	s_lshl_b64 s[0:1], s[16:17], 2
	s_delay_alu instid0(SALU_CYCLE_1) | instskip(SKIP_3) | instid1(VALU_DEP_1)
	s_add_u32 s0, s6, s0
	s_addc_u32 s1, s7, s1
	s_waitcnt_depctr 0xfff
	v_fma_f32 v6, -v4, v5, 1.0
	v_fmac_f32_e32 v5, v6, v5
	s_delay_alu instid0(VALU_DEP_1) | instskip(NEXT) | instid1(VALU_DEP_1)
	v_mul_f32_e32 v6, v7, v5
	v_fma_f32 v8, -v4, v6, v7
	s_delay_alu instid0(VALU_DEP_1) | instskip(NEXT) | instid1(VALU_DEP_1)
	v_fmac_f32_e32 v6, v8, v5
	v_fma_f32 v4, -v4, v6, v7
	s_delay_alu instid0(VALU_DEP_1) | instskip(SKIP_2) | instid1(VALU_DEP_3)
	v_div_fmas_f32 v4, v4, v5, v6
	v_add_co_u32 v1, vcc_lo, s0, v1
	v_add_co_ci_u32_e32 v2, vcc_lo, s1, v2, vcc_lo
	v_div_fixup_f32 v3, v4, 0x43e00000, v3
	s_delay_alu instid0(VALU_DEP_1)
	v_max_f32_e32 v3, 0x36924925, v3
	global_store_b32 v[1:2], v3, off
.LBB39_50:
	s_or_b32 exec_lo, exec_lo, s3
	s_waitcnt_vscnt null, 0x0
	s_barrier
	buffer_gl0_inv
	s_and_saveexec_b32 s0, s2
	s_cbranch_execz .LBB39_155
; %bb.51:
	s_mul_i32 s0, s13, s15
	s_mul_hi_u32 s1, s12, s15
	s_mul_i32 s2, s12, s15
	s_add_i32 s1, s1, s0
	s_add_u32 s2, s4, s2
	s_addc_u32 s3, s5, s1
	s_add_i32 s17, s18, s9
	v_mov_b32_e32 v1, 0
	s_lshl_b64 s[0:1], s[16:17], 2
	s_mul_i32 s4, s27, 3
	s_add_u32 s0, s6, s0
	s_addc_u32 s1, s7, s1
	s_lshl_b32 s5, s27, 1
	s_mov_b32 s6, 0
	s_mov_b32 s7, 0x43e00000
	s_add_i32 s9, s27, s27
	s_branch .LBB39_57
.LBB39_52:                              ;   in Loop: Header=BB39_57 Depth=1
	s_or_b32 exec_lo, exec_lo, s17
.LBB39_53:                              ;   in Loop: Header=BB39_57 Depth=1
	s_delay_alu instid0(SALU_CYCLE_1)
	s_or_b32 exec_lo, exec_lo, s16
	v_lshrrev_b32_e32 v8, 24, v8
	v_lshrrev_b32_e32 v3, 24, v3
	;; [unrolled: 1-line block ×3, first 2 shown]
	v_lshlrev_b32_e32 v4, 24, v4
	v_and_b32_e32 v5, 0x80000000, v5
	v_and_b32_e32 v8, 0x80, v8
	;; [unrolled: 1-line block ×4, first 2 shown]
	s_delay_alu instid0(VALU_DEP_3) | instskip(NEXT) | instid1(VALU_DEP_3)
	v_and_or_b32 v7, 0xff, v7, v8
	v_and_or_b32 v8, 0xff, v2, v3
	v_lshlrev_b64 v[2:3], 2, v[0:1]
	v_add3_u32 v0, s9, s27, v10
	v_and_or_b32 v6, 0x80, v9, v6
	v_lshlrev_b32_e32 v7, 16, v7
	v_lshlrev_b32_e32 v8, 8, v8
	v_add_co_u32 v2, vcc_lo, s2, v2
	s_delay_alu instid0(VALU_DEP_3) | instskip(SKIP_2) | instid1(VALU_DEP_3)
	v_or3_b32 v4, v5, v4, v7
	v_add_co_ci_u32_e32 v3, vcc_lo, s3, v3, vcc_lo
	v_cmp_le_u32_e32 vcc_lo, s8, v0
	v_or3_b32 v4, v4, v8, v6
	s_or_not1_b32 s16, vcc_lo, exec_lo
	global_store_b32 v[2:3], v4, off
.LBB39_54:                              ;   in Loop: Header=BB39_57 Depth=1
	s_or_b32 exec_lo, exec_lo, s15
	s_delay_alu instid0(SALU_CYCLE_1)
	s_or_not1_b32 s15, s16, exec_lo
.LBB39_55:                              ;   in Loop: Header=BB39_57 Depth=1
	s_or_b32 exec_lo, exec_lo, s13
	s_delay_alu instid0(SALU_CYCLE_1)
	s_or_not1_b32 s13, s15, exec_lo
.LBB39_56:                              ;   in Loop: Header=BB39_57 Depth=1
	s_or_b32 exec_lo, exec_lo, s12
	s_delay_alu instid0(SALU_CYCLE_1) | instskip(NEXT) | instid1(SALU_CYCLE_1)
	s_and_b32 s12, exec_lo, s13
	s_or_b32 s6, s12, s6
	s_delay_alu instid0(SALU_CYCLE_1)
	s_and_not1_b32 exec_lo, exec_lo, s6
	s_cbranch_execz .LBB39_155
.LBB39_57:                              ; =>This Inner Loop Header: Depth=1
	v_lshlrev_b64 v[2:3], 4, v[0:1]
	v_lshrrev_b32_e32 v8, 2, v0
	s_mov_b32 s12, exec_lo
	s_delay_alu instid0(VALU_DEP_1) | instskip(NEXT) | instid1(VALU_DEP_3)
	v_and_b32_e32 v10, 0xffffffc, v8
	v_add_co_u32 v4, vcc_lo, s14, v2
	s_delay_alu instid0(VALU_DEP_4)
	v_add_co_ci_u32_e32 v5, vcc_lo, s26, v3, vcc_lo
	v_add_co_u32 v6, vcc_lo, s10, v2
	v_add_co_ci_u32_e32 v7, vcc_lo, s11, v3, vcc_lo
	global_load_b128 v[2:5], v[4:5], off
	global_load_b128 v[6:9], v[6:7], off
	global_load_b32 v11, v10, s[0:1]
	s_waitcnt vmcnt(2)
	v_mul_f32_e32 v2, v28, v2
	s_waitcnt vmcnt(1)
	s_delay_alu instid0(VALU_DEP_1) | instskip(SKIP_1) | instid1(VALU_DEP_1)
	v_mul_f32_e32 v2, v2, v6
	s_waitcnt vmcnt(0)
	v_div_scale_f32 v6, null, v11, v11, v2
	v_div_scale_f32 v13, vcc_lo, v2, v11, v2
	s_delay_alu instid0(VALU_DEP_2) | instskip(SKIP_2) | instid1(VALU_DEP_1)
	v_rcp_f32_e32 v10, v6
	s_waitcnt_depctr 0xfff
	v_fma_f32 v12, -v6, v10, 1.0
	v_fmac_f32_e32 v10, v12, v10
	s_delay_alu instid0(VALU_DEP_1) | instskip(NEXT) | instid1(VALU_DEP_1)
	v_mul_f32_e32 v12, v13, v10
	v_fma_f32 v14, -v6, v12, v13
	s_delay_alu instid0(VALU_DEP_1) | instskip(NEXT) | instid1(VALU_DEP_1)
	v_fmac_f32_e32 v12, v14, v10
	v_fma_f32 v6, -v6, v12, v13
	s_delay_alu instid0(VALU_DEP_1) | instskip(NEXT) | instid1(VALU_DEP_1)
	v_div_fmas_f32 v6, v6, v10, v12
	v_div_fixup_f32 v2, v6, v11, v2
	v_mov_b32_e32 v6, 0x7f
	s_delay_alu instid0(VALU_DEP_2) | instskip(SKIP_1) | instid1(VALU_DEP_2)
	v_minmax_f32 v10, v2, s7, 0xc3e00000
	v_mov_b32_e32 v2, 0x7f
	v_and_b32_e32 v12, 0x7fffffff, v10
	s_delay_alu instid0(VALU_DEP_1)
	v_cmpx_gt_u32_e32 0x43f00000, v12
	s_cbranch_execz .LBB39_63
; %bb.58:                               ;   in Loop: Header=BB39_57 Depth=1
	s_mov_b32 s13, exec_lo
                                        ; implicit-def: $vgpr6
	v_cmpx_lt_u32_e32 0x3c7fffff, v12
	s_xor_b32 s13, exec_lo, s13
; %bb.59:                               ;   in Loop: Header=BB39_57 Depth=1
	v_bfe_u32 v6, v10, 20, 1
	s_delay_alu instid0(VALU_DEP_1) | instskip(NEXT) | instid1(VALU_DEP_1)
	v_add3_u32 v6, v10, v6, 0x407ffff
	v_lshrrev_b32_e32 v6, 20, v6
; %bb.60:                               ;   in Loop: Header=BB39_57 Depth=1
	s_and_not1_saveexec_b32 s13, s13
; %bb.61:                               ;   in Loop: Header=BB39_57 Depth=1
	v_add_f32_e64 v6, 0x46800000, |v10|
; %bb.62:                               ;   in Loop: Header=BB39_57 Depth=1
	s_or_b32 exec_lo, exec_lo, s13
.LBB39_63:                              ;   in Loop: Header=BB39_57 Depth=1
	s_delay_alu instid0(SALU_CYCLE_1) | instskip(SKIP_2) | instid1(VALU_DEP_1)
	s_or_b32 exec_lo, exec_lo, s12
	v_mul_f32_e32 v3, v28, v3
	s_mov_b32 s12, exec_lo
	v_mul_f32_e32 v3, v3, v7
	s_delay_alu instid0(VALU_DEP_1) | instskip(NEXT) | instid1(VALU_DEP_1)
	v_div_scale_f32 v7, null, v11, v11, v3
	v_rcp_f32_e32 v12, v7
	s_waitcnt_depctr 0xfff
	v_fma_f32 v13, -v7, v12, 1.0
	s_delay_alu instid0(VALU_DEP_1) | instskip(SKIP_1) | instid1(VALU_DEP_1)
	v_fmac_f32_e32 v12, v13, v12
	v_div_scale_f32 v13, vcc_lo, v3, v11, v3
	v_mul_f32_e32 v14, v13, v12
	s_delay_alu instid0(VALU_DEP_1) | instskip(NEXT) | instid1(VALU_DEP_1)
	v_fma_f32 v15, -v7, v14, v13
	v_fmac_f32_e32 v14, v15, v12
	s_delay_alu instid0(VALU_DEP_1) | instskip(NEXT) | instid1(VALU_DEP_1)
	v_fma_f32 v7, -v7, v14, v13
	v_div_fmas_f32 v7, v7, v12, v14
	s_delay_alu instid0(VALU_DEP_1) | instskip(NEXT) | instid1(VALU_DEP_1)
	v_div_fixup_f32 v3, v7, v11, v3
	v_minmax_f32 v3, v3, s7, 0xc3e00000
	s_delay_alu instid0(VALU_DEP_1) | instskip(NEXT) | instid1(VALU_DEP_1)
	v_and_b32_e32 v7, 0x7fffffff, v3
	v_cmpx_gt_u32_e32 0x43f00000, v7
	s_cbranch_execz .LBB39_69
; %bb.64:                               ;   in Loop: Header=BB39_57 Depth=1
	s_mov_b32 s13, exec_lo
                                        ; implicit-def: $vgpr2
	v_cmpx_lt_u32_e32 0x3c7fffff, v7
	s_xor_b32 s13, exec_lo, s13
; %bb.65:                               ;   in Loop: Header=BB39_57 Depth=1
	v_bfe_u32 v2, v3, 20, 1
	s_delay_alu instid0(VALU_DEP_1) | instskip(NEXT) | instid1(VALU_DEP_1)
	v_add3_u32 v2, v3, v2, 0x407ffff
	v_lshrrev_b32_e32 v2, 20, v2
; %bb.66:                               ;   in Loop: Header=BB39_57 Depth=1
	s_and_not1_saveexec_b32 s13, s13
; %bb.67:                               ;   in Loop: Header=BB39_57 Depth=1
	v_add_f32_e64 v2, 0x46800000, |v3|
; %bb.68:                               ;   in Loop: Header=BB39_57 Depth=1
	s_or_b32 exec_lo, exec_lo, s13
.LBB39_69:                              ;   in Loop: Header=BB39_57 Depth=1
	s_delay_alu instid0(SALU_CYCLE_1) | instskip(SKIP_2) | instid1(VALU_DEP_1)
	s_or_b32 exec_lo, exec_lo, s12
	v_mul_f32_e32 v4, v28, v4
	s_mov_b32 s12, exec_lo
	v_mul_f32_e32 v4, v4, v8
	s_delay_alu instid0(VALU_DEP_1) | instskip(SKIP_1) | instid1(VALU_DEP_2)
	v_div_scale_f32 v7, null, v11, v11, v4
	v_div_scale_f32 v13, vcc_lo, v4, v11, v4
	v_rcp_f32_e32 v8, v7
	s_waitcnt_depctr 0xfff
	v_fma_f32 v12, -v7, v8, 1.0
	s_delay_alu instid0(VALU_DEP_1) | instskip(NEXT) | instid1(VALU_DEP_1)
	v_fmac_f32_e32 v8, v12, v8
	v_mul_f32_e32 v12, v13, v8
	s_delay_alu instid0(VALU_DEP_1) | instskip(NEXT) | instid1(VALU_DEP_1)
	v_fma_f32 v14, -v7, v12, v13
	v_fmac_f32_e32 v12, v14, v8
	s_delay_alu instid0(VALU_DEP_1) | instskip(NEXT) | instid1(VALU_DEP_1)
	v_fma_f32 v7, -v7, v12, v13
	v_div_fmas_f32 v7, v7, v8, v12
	s_delay_alu instid0(VALU_DEP_1) | instskip(SKIP_1) | instid1(VALU_DEP_2)
	v_div_fixup_f32 v4, v7, v11, v4
	v_mov_b32_e32 v7, 0x7f
	v_minmax_f32 v8, v4, s7, 0xc3e00000
	v_mov_b32_e32 v4, 0x7f
	s_delay_alu instid0(VALU_DEP_2) | instskip(NEXT) | instid1(VALU_DEP_1)
	v_and_b32_e32 v12, 0x7fffffff, v8
	v_cmpx_gt_u32_e32 0x43f00000, v12
	s_cbranch_execz .LBB39_75
; %bb.70:                               ;   in Loop: Header=BB39_57 Depth=1
	s_mov_b32 s13, exec_lo
                                        ; implicit-def: $vgpr7
	v_cmpx_lt_u32_e32 0x3c7fffff, v12
	s_xor_b32 s13, exec_lo, s13
; %bb.71:                               ;   in Loop: Header=BB39_57 Depth=1
	v_bfe_u32 v7, v8, 20, 1
	s_delay_alu instid0(VALU_DEP_1) | instskip(NEXT) | instid1(VALU_DEP_1)
	v_add3_u32 v7, v8, v7, 0x407ffff
	v_lshrrev_b32_e32 v7, 20, v7
; %bb.72:                               ;   in Loop: Header=BB39_57 Depth=1
	s_and_not1_saveexec_b32 s13, s13
; %bb.73:                               ;   in Loop: Header=BB39_57 Depth=1
	v_add_f32_e64 v7, 0x46800000, |v8|
; %bb.74:                               ;   in Loop: Header=BB39_57 Depth=1
	s_or_b32 exec_lo, exec_lo, s13
.LBB39_75:                              ;   in Loop: Header=BB39_57 Depth=1
	s_delay_alu instid0(SALU_CYCLE_1) | instskip(SKIP_2) | instid1(VALU_DEP_1)
	s_or_b32 exec_lo, exec_lo, s12
	v_mul_f32_e32 v5, v28, v5
	s_mov_b32 s12, exec_lo
	v_mul_f32_e32 v5, v5, v9
	s_delay_alu instid0(VALU_DEP_1) | instskip(NEXT) | instid1(VALU_DEP_1)
	v_div_scale_f32 v9, null, v11, v11, v5
	v_rcp_f32_e32 v12, v9
	s_waitcnt_depctr 0xfff
	v_fma_f32 v13, -v9, v12, 1.0
	s_delay_alu instid0(VALU_DEP_1) | instskip(SKIP_1) | instid1(VALU_DEP_1)
	v_fmac_f32_e32 v12, v13, v12
	v_div_scale_f32 v13, vcc_lo, v5, v11, v5
	v_mul_f32_e32 v14, v13, v12
	s_delay_alu instid0(VALU_DEP_1) | instskip(NEXT) | instid1(VALU_DEP_1)
	v_fma_f32 v15, -v9, v14, v13
	v_fmac_f32_e32 v14, v15, v12
	s_delay_alu instid0(VALU_DEP_1) | instskip(NEXT) | instid1(VALU_DEP_1)
	v_fma_f32 v9, -v9, v14, v13
	v_div_fmas_f32 v9, v9, v12, v14
	s_delay_alu instid0(VALU_DEP_1) | instskip(NEXT) | instid1(VALU_DEP_1)
	v_div_fixup_f32 v5, v9, v11, v5
	v_minmax_f32 v5, v5, s7, 0xc3e00000
	s_delay_alu instid0(VALU_DEP_1) | instskip(NEXT) | instid1(VALU_DEP_1)
	v_and_b32_e32 v9, 0x7fffffff, v5
	v_cmpx_gt_u32_e32 0x43f00000, v9
	s_cbranch_execz .LBB39_81
; %bb.76:                               ;   in Loop: Header=BB39_57 Depth=1
	s_mov_b32 s13, exec_lo
                                        ; implicit-def: $vgpr4
	v_cmpx_lt_u32_e32 0x3c7fffff, v9
	s_xor_b32 s13, exec_lo, s13
; %bb.77:                               ;   in Loop: Header=BB39_57 Depth=1
	v_bfe_u32 v4, v5, 20, 1
	s_delay_alu instid0(VALU_DEP_1) | instskip(NEXT) | instid1(VALU_DEP_1)
	v_add3_u32 v4, v5, v4, 0x407ffff
	v_lshrrev_b32_e32 v4, 20, v4
; %bb.78:                               ;   in Loop: Header=BB39_57 Depth=1
	s_and_not1_saveexec_b32 s13, s13
; %bb.79:                               ;   in Loop: Header=BB39_57 Depth=1
	v_add_f32_e64 v4, 0x46800000, |v5|
; %bb.80:                               ;   in Loop: Header=BB39_57 Depth=1
	s_or_b32 exec_lo, exec_lo, s13
.LBB39_81:                              ;   in Loop: Header=BB39_57 Depth=1
	s_delay_alu instid0(SALU_CYCLE_1)
	s_or_b32 exec_lo, exec_lo, s12
	v_lshrrev_b32_e32 v8, 24, v8
	v_lshrrev_b32_e32 v3, 24, v3
	;; [unrolled: 1-line block ×3, first 2 shown]
	v_lshlrev_b32_e32 v4, 24, v4
	v_and_b32_e32 v5, 0x80000000, v5
	v_and_b32_e32 v8, 0x80, v8
	;; [unrolled: 1-line block ×4, first 2 shown]
	v_add_nc_u32_e32 v10, s27, v0
	s_mov_b32 s13, -1
	v_and_or_b32 v7, 0xff, v7, v8
	v_and_or_b32 v8, 0xff, v2, v3
	v_lshlrev_b64 v[2:3], 2, v[0:1]
	v_and_or_b32 v6, 0x80, v9, v6
	s_mov_b32 s12, exec_lo
	v_lshlrev_b32_e32 v7, 16, v7
	v_lshlrev_b32_e32 v8, 8, v8
	s_delay_alu instid0(VALU_DEP_4) | instskip(NEXT) | instid1(VALU_DEP_3)
	v_add_co_u32 v2, vcc_lo, s2, v2
	v_or3_b32 v4, v5, v4, v7
	v_add_co_ci_u32_e32 v3, vcc_lo, s3, v3, vcc_lo
	s_delay_alu instid0(VALU_DEP_2)
	v_or3_b32 v4, v4, v8, v6
	global_store_b32 v[2:3], v4, off
	v_cmpx_gt_u32_e64 s8, v10
	s_cbranch_execz .LBB39_56
; %bb.82:                               ;   in Loop: Header=BB39_57 Depth=1
	v_lshrrev_b32_e32 v8, 2, v10
	v_mov_b32_e32 v11, v1
	s_mov_b32 s13, exec_lo
	s_delay_alu instid0(VALU_DEP_2) | instskip(NEXT) | instid1(VALU_DEP_2)
	v_and_b32_e32 v12, 0xffffffc, v8
	v_lshlrev_b64 v[2:3], 4, v[10:11]
	s_delay_alu instid0(VALU_DEP_1) | instskip(NEXT) | instid1(VALU_DEP_2)
	v_add_co_u32 v4, vcc_lo, s14, v2
	v_add_co_ci_u32_e32 v5, vcc_lo, s26, v3, vcc_lo
	v_add_co_u32 v6, vcc_lo, s10, v2
	v_add_co_ci_u32_e32 v7, vcc_lo, s11, v3, vcc_lo
	global_load_b128 v[2:5], v[4:5], off
	global_load_b128 v[6:9], v[6:7], off
	global_load_b32 v13, v12, s[0:1]
	s_waitcnt vmcnt(2)
	v_mul_f32_e32 v2, v28, v2
	s_waitcnt vmcnt(1)
	s_delay_alu instid0(VALU_DEP_1) | instskip(SKIP_1) | instid1(VALU_DEP_1)
	v_mul_f32_e32 v2, v2, v6
	s_waitcnt vmcnt(0)
	v_div_scale_f32 v6, null, v13, v13, v2
	v_div_scale_f32 v15, vcc_lo, v2, v13, v2
	s_delay_alu instid0(VALU_DEP_2) | instskip(SKIP_2) | instid1(VALU_DEP_1)
	v_rcp_f32_e32 v12, v6
	s_waitcnt_depctr 0xfff
	v_fma_f32 v14, -v6, v12, 1.0
	v_fmac_f32_e32 v12, v14, v12
	s_delay_alu instid0(VALU_DEP_1) | instskip(NEXT) | instid1(VALU_DEP_1)
	v_mul_f32_e32 v14, v15, v12
	v_fma_f32 v16, -v6, v14, v15
	s_delay_alu instid0(VALU_DEP_1) | instskip(NEXT) | instid1(VALU_DEP_1)
	v_fmac_f32_e32 v14, v16, v12
	v_fma_f32 v6, -v6, v14, v15
	s_delay_alu instid0(VALU_DEP_1) | instskip(NEXT) | instid1(VALU_DEP_1)
	v_div_fmas_f32 v6, v6, v12, v14
	v_div_fixup_f32 v2, v6, v13, v2
	v_mov_b32_e32 v6, 0x7f
	s_delay_alu instid0(VALU_DEP_2) | instskip(SKIP_1) | instid1(VALU_DEP_2)
	v_minmax_f32 v12, v2, s7, 0xc3e00000
	v_mov_b32_e32 v2, 0x7f
	v_and_b32_e32 v14, 0x7fffffff, v12
	s_delay_alu instid0(VALU_DEP_1)
	v_cmpx_gt_u32_e32 0x43f00000, v14
	s_cbranch_execz .LBB39_88
; %bb.83:                               ;   in Loop: Header=BB39_57 Depth=1
	s_mov_b32 s15, exec_lo
                                        ; implicit-def: $vgpr6
	v_cmpx_lt_u32_e32 0x3c7fffff, v14
	s_xor_b32 s15, exec_lo, s15
; %bb.84:                               ;   in Loop: Header=BB39_57 Depth=1
	v_bfe_u32 v6, v12, 20, 1
	s_delay_alu instid0(VALU_DEP_1) | instskip(NEXT) | instid1(VALU_DEP_1)
	v_add3_u32 v6, v12, v6, 0x407ffff
	v_lshrrev_b32_e32 v6, 20, v6
; %bb.85:                               ;   in Loop: Header=BB39_57 Depth=1
	s_and_not1_saveexec_b32 s15, s15
; %bb.86:                               ;   in Loop: Header=BB39_57 Depth=1
	v_add_f32_e64 v6, 0x46800000, |v12|
; %bb.87:                               ;   in Loop: Header=BB39_57 Depth=1
	s_or_b32 exec_lo, exec_lo, s15
.LBB39_88:                              ;   in Loop: Header=BB39_57 Depth=1
	s_delay_alu instid0(SALU_CYCLE_1) | instskip(SKIP_2) | instid1(VALU_DEP_1)
	s_or_b32 exec_lo, exec_lo, s13
	v_mul_f32_e32 v3, v28, v3
	s_mov_b32 s13, exec_lo
	v_mul_f32_e32 v3, v3, v7
	s_delay_alu instid0(VALU_DEP_1) | instskip(NEXT) | instid1(VALU_DEP_1)
	v_div_scale_f32 v7, null, v13, v13, v3
	v_rcp_f32_e32 v14, v7
	s_waitcnt_depctr 0xfff
	v_fma_f32 v15, -v7, v14, 1.0
	s_delay_alu instid0(VALU_DEP_1) | instskip(SKIP_1) | instid1(VALU_DEP_1)
	v_fmac_f32_e32 v14, v15, v14
	v_div_scale_f32 v15, vcc_lo, v3, v13, v3
	v_mul_f32_e32 v16, v15, v14
	s_delay_alu instid0(VALU_DEP_1) | instskip(NEXT) | instid1(VALU_DEP_1)
	v_fma_f32 v17, -v7, v16, v15
	v_fmac_f32_e32 v16, v17, v14
	s_delay_alu instid0(VALU_DEP_1) | instskip(NEXT) | instid1(VALU_DEP_1)
	v_fma_f32 v7, -v7, v16, v15
	v_div_fmas_f32 v7, v7, v14, v16
	s_delay_alu instid0(VALU_DEP_1) | instskip(NEXT) | instid1(VALU_DEP_1)
	v_div_fixup_f32 v3, v7, v13, v3
	v_minmax_f32 v3, v3, s7, 0xc3e00000
	s_delay_alu instid0(VALU_DEP_1) | instskip(NEXT) | instid1(VALU_DEP_1)
	v_and_b32_e32 v7, 0x7fffffff, v3
	v_cmpx_gt_u32_e32 0x43f00000, v7
	s_cbranch_execz .LBB39_94
; %bb.89:                               ;   in Loop: Header=BB39_57 Depth=1
	s_mov_b32 s15, exec_lo
                                        ; implicit-def: $vgpr2
	v_cmpx_lt_u32_e32 0x3c7fffff, v7
	s_xor_b32 s15, exec_lo, s15
; %bb.90:                               ;   in Loop: Header=BB39_57 Depth=1
	v_bfe_u32 v2, v3, 20, 1
	s_delay_alu instid0(VALU_DEP_1) | instskip(NEXT) | instid1(VALU_DEP_1)
	v_add3_u32 v2, v3, v2, 0x407ffff
	v_lshrrev_b32_e32 v2, 20, v2
; %bb.91:                               ;   in Loop: Header=BB39_57 Depth=1
	s_and_not1_saveexec_b32 s15, s15
; %bb.92:                               ;   in Loop: Header=BB39_57 Depth=1
	v_add_f32_e64 v2, 0x46800000, |v3|
; %bb.93:                               ;   in Loop: Header=BB39_57 Depth=1
	s_or_b32 exec_lo, exec_lo, s15
.LBB39_94:                              ;   in Loop: Header=BB39_57 Depth=1
	s_delay_alu instid0(SALU_CYCLE_1) | instskip(SKIP_2) | instid1(VALU_DEP_1)
	s_or_b32 exec_lo, exec_lo, s13
	v_mul_f32_e32 v4, v28, v4
	s_mov_b32 s13, exec_lo
	v_mul_f32_e32 v4, v4, v8
	s_delay_alu instid0(VALU_DEP_1) | instskip(SKIP_1) | instid1(VALU_DEP_2)
	v_div_scale_f32 v7, null, v13, v13, v4
	v_div_scale_f32 v15, vcc_lo, v4, v13, v4
	v_rcp_f32_e32 v8, v7
	s_waitcnt_depctr 0xfff
	v_fma_f32 v14, -v7, v8, 1.0
	s_delay_alu instid0(VALU_DEP_1) | instskip(NEXT) | instid1(VALU_DEP_1)
	v_fmac_f32_e32 v8, v14, v8
	v_mul_f32_e32 v14, v15, v8
	s_delay_alu instid0(VALU_DEP_1) | instskip(NEXT) | instid1(VALU_DEP_1)
	v_fma_f32 v16, -v7, v14, v15
	v_fmac_f32_e32 v14, v16, v8
	s_delay_alu instid0(VALU_DEP_1) | instskip(NEXT) | instid1(VALU_DEP_1)
	v_fma_f32 v7, -v7, v14, v15
	v_div_fmas_f32 v7, v7, v8, v14
	s_delay_alu instid0(VALU_DEP_1) | instskip(SKIP_1) | instid1(VALU_DEP_2)
	v_div_fixup_f32 v4, v7, v13, v4
	v_mov_b32_e32 v7, 0x7f
	v_minmax_f32 v8, v4, s7, 0xc3e00000
	v_mov_b32_e32 v4, 0x7f
	s_delay_alu instid0(VALU_DEP_2) | instskip(NEXT) | instid1(VALU_DEP_1)
	v_and_b32_e32 v14, 0x7fffffff, v8
	v_cmpx_gt_u32_e32 0x43f00000, v14
	s_cbranch_execz .LBB39_100
; %bb.95:                               ;   in Loop: Header=BB39_57 Depth=1
	s_mov_b32 s15, exec_lo
                                        ; implicit-def: $vgpr7
	v_cmpx_lt_u32_e32 0x3c7fffff, v14
	s_xor_b32 s15, exec_lo, s15
; %bb.96:                               ;   in Loop: Header=BB39_57 Depth=1
	v_bfe_u32 v7, v8, 20, 1
	s_delay_alu instid0(VALU_DEP_1) | instskip(NEXT) | instid1(VALU_DEP_1)
	v_add3_u32 v7, v8, v7, 0x407ffff
	v_lshrrev_b32_e32 v7, 20, v7
; %bb.97:                               ;   in Loop: Header=BB39_57 Depth=1
	s_and_not1_saveexec_b32 s15, s15
; %bb.98:                               ;   in Loop: Header=BB39_57 Depth=1
	v_add_f32_e64 v7, 0x46800000, |v8|
; %bb.99:                               ;   in Loop: Header=BB39_57 Depth=1
	s_or_b32 exec_lo, exec_lo, s15
.LBB39_100:                             ;   in Loop: Header=BB39_57 Depth=1
	s_delay_alu instid0(SALU_CYCLE_1) | instskip(SKIP_2) | instid1(VALU_DEP_1)
	s_or_b32 exec_lo, exec_lo, s13
	v_mul_f32_e32 v5, v28, v5
	s_mov_b32 s13, exec_lo
	v_mul_f32_e32 v5, v5, v9
	s_delay_alu instid0(VALU_DEP_1) | instskip(NEXT) | instid1(VALU_DEP_1)
	v_div_scale_f32 v9, null, v13, v13, v5
	v_rcp_f32_e32 v14, v9
	s_waitcnt_depctr 0xfff
	v_fma_f32 v15, -v9, v14, 1.0
	s_delay_alu instid0(VALU_DEP_1) | instskip(SKIP_1) | instid1(VALU_DEP_1)
	v_fmac_f32_e32 v14, v15, v14
	v_div_scale_f32 v15, vcc_lo, v5, v13, v5
	v_mul_f32_e32 v16, v15, v14
	s_delay_alu instid0(VALU_DEP_1) | instskip(NEXT) | instid1(VALU_DEP_1)
	v_fma_f32 v17, -v9, v16, v15
	v_fmac_f32_e32 v16, v17, v14
	s_delay_alu instid0(VALU_DEP_1) | instskip(NEXT) | instid1(VALU_DEP_1)
	v_fma_f32 v9, -v9, v16, v15
	v_div_fmas_f32 v9, v9, v14, v16
	s_delay_alu instid0(VALU_DEP_1) | instskip(NEXT) | instid1(VALU_DEP_1)
	v_div_fixup_f32 v5, v9, v13, v5
	v_minmax_f32 v5, v5, s7, 0xc3e00000
	s_delay_alu instid0(VALU_DEP_1) | instskip(NEXT) | instid1(VALU_DEP_1)
	v_and_b32_e32 v9, 0x7fffffff, v5
	v_cmpx_gt_u32_e32 0x43f00000, v9
	s_cbranch_execz .LBB39_106
; %bb.101:                              ;   in Loop: Header=BB39_57 Depth=1
	s_mov_b32 s15, exec_lo
                                        ; implicit-def: $vgpr4
	v_cmpx_lt_u32_e32 0x3c7fffff, v9
	s_xor_b32 s15, exec_lo, s15
; %bb.102:                              ;   in Loop: Header=BB39_57 Depth=1
	v_bfe_u32 v4, v5, 20, 1
	s_delay_alu instid0(VALU_DEP_1) | instskip(NEXT) | instid1(VALU_DEP_1)
	v_add3_u32 v4, v5, v4, 0x407ffff
	v_lshrrev_b32_e32 v4, 20, v4
; %bb.103:                              ;   in Loop: Header=BB39_57 Depth=1
	s_and_not1_saveexec_b32 s15, s15
; %bb.104:                              ;   in Loop: Header=BB39_57 Depth=1
	v_add_f32_e64 v4, 0x46800000, |v5|
; %bb.105:                              ;   in Loop: Header=BB39_57 Depth=1
	s_or_b32 exec_lo, exec_lo, s15
.LBB39_106:                             ;   in Loop: Header=BB39_57 Depth=1
	s_delay_alu instid0(SALU_CYCLE_1)
	s_or_b32 exec_lo, exec_lo, s13
	v_lshrrev_b32_e32 v8, 24, v8
	v_lshrrev_b32_e32 v3, 24, v3
	;; [unrolled: 1-line block ×3, first 2 shown]
	v_lshlrev_b32_e32 v4, 24, v4
	v_and_b32_e32 v5, 0x80000000, v5
	v_and_b32_e32 v8, 0x80, v8
	;; [unrolled: 1-line block ×4, first 2 shown]
	s_mov_b32 s15, -1
	s_mov_b32 s13, exec_lo
	v_and_or_b32 v7, 0xff, v7, v8
	v_and_or_b32 v8, 0xff, v2, v3
	v_lshlrev_b64 v[2:3], 2, v[10:11]
	v_and_or_b32 v6, 0x80, v9, v6
	v_add_nc_u32_e32 v11, s5, v0
	v_lshlrev_b32_e32 v7, 16, v7
	v_lshlrev_b32_e32 v8, 8, v8
	v_add_co_u32 v2, vcc_lo, s2, v2
	s_delay_alu instid0(VALU_DEP_3) | instskip(SKIP_1) | instid1(VALU_DEP_2)
	v_or3_b32 v4, v5, v4, v7
	v_add_co_ci_u32_e32 v3, vcc_lo, s3, v3, vcc_lo
	v_or3_b32 v4, v4, v8, v6
	global_store_b32 v[2:3], v4, off
	v_cmpx_gt_u32_e64 s8, v11
	s_cbranch_execz .LBB39_55
; %bb.107:                              ;   in Loop: Header=BB39_57 Depth=1
	v_lshrrev_b32_e32 v8, 2, v11
	v_mov_b32_e32 v12, v1
	s_mov_b32 s15, exec_lo
	s_delay_alu instid0(VALU_DEP_2) | instskip(NEXT) | instid1(VALU_DEP_2)
	v_and_b32_e32 v13, 0xffffffc, v8
	v_lshlrev_b64 v[2:3], 4, v[11:12]
	s_delay_alu instid0(VALU_DEP_1) | instskip(NEXT) | instid1(VALU_DEP_2)
	v_add_co_u32 v4, vcc_lo, s14, v2
	v_add_co_ci_u32_e32 v5, vcc_lo, s26, v3, vcc_lo
	v_add_co_u32 v6, vcc_lo, s10, v2
	v_add_co_ci_u32_e32 v7, vcc_lo, s11, v3, vcc_lo
	global_load_b128 v[2:5], v[4:5], off
	global_load_b128 v[6:9], v[6:7], off
	global_load_b32 v14, v13, s[0:1]
	s_waitcnt vmcnt(2)
	v_mul_f32_e32 v2, v28, v2
	s_waitcnt vmcnt(1)
	s_delay_alu instid0(VALU_DEP_1) | instskip(SKIP_1) | instid1(VALU_DEP_1)
	v_mul_f32_e32 v2, v2, v6
	s_waitcnt vmcnt(0)
	v_div_scale_f32 v6, null, v14, v14, v2
	v_div_scale_f32 v16, vcc_lo, v2, v14, v2
	s_delay_alu instid0(VALU_DEP_2) | instskip(SKIP_2) | instid1(VALU_DEP_1)
	v_rcp_f32_e32 v13, v6
	s_waitcnt_depctr 0xfff
	v_fma_f32 v15, -v6, v13, 1.0
	v_fmac_f32_e32 v13, v15, v13
	s_delay_alu instid0(VALU_DEP_1) | instskip(NEXT) | instid1(VALU_DEP_1)
	v_mul_f32_e32 v15, v16, v13
	v_fma_f32 v17, -v6, v15, v16
	s_delay_alu instid0(VALU_DEP_1) | instskip(NEXT) | instid1(VALU_DEP_1)
	v_fmac_f32_e32 v15, v17, v13
	v_fma_f32 v6, -v6, v15, v16
	s_delay_alu instid0(VALU_DEP_1) | instskip(NEXT) | instid1(VALU_DEP_1)
	v_div_fmas_f32 v6, v6, v13, v15
	v_div_fixup_f32 v2, v6, v14, v2
	v_mov_b32_e32 v6, 0x7f
	s_delay_alu instid0(VALU_DEP_2) | instskip(SKIP_1) | instid1(VALU_DEP_2)
	v_minmax_f32 v13, v2, s7, 0xc3e00000
	v_mov_b32_e32 v2, 0x7f
	v_and_b32_e32 v15, 0x7fffffff, v13
	s_delay_alu instid0(VALU_DEP_1)
	v_cmpx_gt_u32_e32 0x43f00000, v15
	s_cbranch_execz .LBB39_113
; %bb.108:                              ;   in Loop: Header=BB39_57 Depth=1
	s_mov_b32 s16, exec_lo
                                        ; implicit-def: $vgpr6
	v_cmpx_lt_u32_e32 0x3c7fffff, v15
	s_xor_b32 s16, exec_lo, s16
; %bb.109:                              ;   in Loop: Header=BB39_57 Depth=1
	v_bfe_u32 v6, v13, 20, 1
	s_delay_alu instid0(VALU_DEP_1) | instskip(NEXT) | instid1(VALU_DEP_1)
	v_add3_u32 v6, v13, v6, 0x407ffff
	v_lshrrev_b32_e32 v6, 20, v6
; %bb.110:                              ;   in Loop: Header=BB39_57 Depth=1
	s_and_not1_saveexec_b32 s16, s16
; %bb.111:                              ;   in Loop: Header=BB39_57 Depth=1
	v_add_f32_e64 v6, 0x46800000, |v13|
; %bb.112:                              ;   in Loop: Header=BB39_57 Depth=1
	s_or_b32 exec_lo, exec_lo, s16
.LBB39_113:                             ;   in Loop: Header=BB39_57 Depth=1
	s_delay_alu instid0(SALU_CYCLE_1) | instskip(SKIP_2) | instid1(VALU_DEP_1)
	s_or_b32 exec_lo, exec_lo, s15
	v_mul_f32_e32 v3, v28, v3
	s_mov_b32 s15, exec_lo
	v_mul_f32_e32 v3, v3, v7
	s_delay_alu instid0(VALU_DEP_1) | instskip(NEXT) | instid1(VALU_DEP_1)
	v_div_scale_f32 v7, null, v14, v14, v3
	v_rcp_f32_e32 v15, v7
	s_waitcnt_depctr 0xfff
	v_fma_f32 v16, -v7, v15, 1.0
	s_delay_alu instid0(VALU_DEP_1) | instskip(SKIP_1) | instid1(VALU_DEP_1)
	v_fmac_f32_e32 v15, v16, v15
	v_div_scale_f32 v16, vcc_lo, v3, v14, v3
	v_mul_f32_e32 v17, v16, v15
	s_delay_alu instid0(VALU_DEP_1) | instskip(NEXT) | instid1(VALU_DEP_1)
	v_fma_f32 v18, -v7, v17, v16
	v_fmac_f32_e32 v17, v18, v15
	s_delay_alu instid0(VALU_DEP_1) | instskip(NEXT) | instid1(VALU_DEP_1)
	v_fma_f32 v7, -v7, v17, v16
	v_div_fmas_f32 v7, v7, v15, v17
	s_delay_alu instid0(VALU_DEP_1) | instskip(NEXT) | instid1(VALU_DEP_1)
	v_div_fixup_f32 v3, v7, v14, v3
	v_minmax_f32 v3, v3, s7, 0xc3e00000
	s_delay_alu instid0(VALU_DEP_1) | instskip(NEXT) | instid1(VALU_DEP_1)
	v_and_b32_e32 v7, 0x7fffffff, v3
	v_cmpx_gt_u32_e32 0x43f00000, v7
	s_cbranch_execz .LBB39_119
; %bb.114:                              ;   in Loop: Header=BB39_57 Depth=1
	s_mov_b32 s16, exec_lo
                                        ; implicit-def: $vgpr2
	v_cmpx_lt_u32_e32 0x3c7fffff, v7
	s_xor_b32 s16, exec_lo, s16
; %bb.115:                              ;   in Loop: Header=BB39_57 Depth=1
	v_bfe_u32 v2, v3, 20, 1
	s_delay_alu instid0(VALU_DEP_1) | instskip(NEXT) | instid1(VALU_DEP_1)
	v_add3_u32 v2, v3, v2, 0x407ffff
	v_lshrrev_b32_e32 v2, 20, v2
; %bb.116:                              ;   in Loop: Header=BB39_57 Depth=1
	s_and_not1_saveexec_b32 s16, s16
; %bb.117:                              ;   in Loop: Header=BB39_57 Depth=1
	v_add_f32_e64 v2, 0x46800000, |v3|
; %bb.118:                              ;   in Loop: Header=BB39_57 Depth=1
	s_or_b32 exec_lo, exec_lo, s16
.LBB39_119:                             ;   in Loop: Header=BB39_57 Depth=1
	s_delay_alu instid0(SALU_CYCLE_1) | instskip(SKIP_2) | instid1(VALU_DEP_1)
	s_or_b32 exec_lo, exec_lo, s15
	v_mul_f32_e32 v4, v28, v4
	s_mov_b32 s15, exec_lo
	v_mul_f32_e32 v4, v4, v8
	s_delay_alu instid0(VALU_DEP_1) | instskip(SKIP_1) | instid1(VALU_DEP_2)
	v_div_scale_f32 v7, null, v14, v14, v4
	v_div_scale_f32 v16, vcc_lo, v4, v14, v4
	v_rcp_f32_e32 v8, v7
	s_waitcnt_depctr 0xfff
	v_fma_f32 v15, -v7, v8, 1.0
	s_delay_alu instid0(VALU_DEP_1) | instskip(NEXT) | instid1(VALU_DEP_1)
	v_fmac_f32_e32 v8, v15, v8
	v_mul_f32_e32 v15, v16, v8
	s_delay_alu instid0(VALU_DEP_1) | instskip(NEXT) | instid1(VALU_DEP_1)
	v_fma_f32 v17, -v7, v15, v16
	v_fmac_f32_e32 v15, v17, v8
	s_delay_alu instid0(VALU_DEP_1) | instskip(NEXT) | instid1(VALU_DEP_1)
	v_fma_f32 v7, -v7, v15, v16
	v_div_fmas_f32 v7, v7, v8, v15
	s_delay_alu instid0(VALU_DEP_1) | instskip(SKIP_1) | instid1(VALU_DEP_2)
	v_div_fixup_f32 v4, v7, v14, v4
	v_mov_b32_e32 v7, 0x7f
	v_minmax_f32 v8, v4, s7, 0xc3e00000
	v_mov_b32_e32 v4, 0x7f
	s_delay_alu instid0(VALU_DEP_2) | instskip(NEXT) | instid1(VALU_DEP_1)
	v_and_b32_e32 v15, 0x7fffffff, v8
	v_cmpx_gt_u32_e32 0x43f00000, v15
	s_cbranch_execz .LBB39_125
; %bb.120:                              ;   in Loop: Header=BB39_57 Depth=1
	s_mov_b32 s16, exec_lo
                                        ; implicit-def: $vgpr7
	v_cmpx_lt_u32_e32 0x3c7fffff, v15
	s_xor_b32 s16, exec_lo, s16
; %bb.121:                              ;   in Loop: Header=BB39_57 Depth=1
	v_bfe_u32 v7, v8, 20, 1
	s_delay_alu instid0(VALU_DEP_1) | instskip(NEXT) | instid1(VALU_DEP_1)
	v_add3_u32 v7, v8, v7, 0x407ffff
	v_lshrrev_b32_e32 v7, 20, v7
; %bb.122:                              ;   in Loop: Header=BB39_57 Depth=1
	s_and_not1_saveexec_b32 s16, s16
; %bb.123:                              ;   in Loop: Header=BB39_57 Depth=1
	v_add_f32_e64 v7, 0x46800000, |v8|
; %bb.124:                              ;   in Loop: Header=BB39_57 Depth=1
	s_or_b32 exec_lo, exec_lo, s16
.LBB39_125:                             ;   in Loop: Header=BB39_57 Depth=1
	s_delay_alu instid0(SALU_CYCLE_1) | instskip(SKIP_2) | instid1(VALU_DEP_1)
	s_or_b32 exec_lo, exec_lo, s15
	v_mul_f32_e32 v5, v28, v5
	s_mov_b32 s15, exec_lo
	v_mul_f32_e32 v5, v5, v9
	s_delay_alu instid0(VALU_DEP_1) | instskip(NEXT) | instid1(VALU_DEP_1)
	v_div_scale_f32 v9, null, v14, v14, v5
	v_rcp_f32_e32 v15, v9
	s_waitcnt_depctr 0xfff
	v_fma_f32 v16, -v9, v15, 1.0
	s_delay_alu instid0(VALU_DEP_1) | instskip(SKIP_1) | instid1(VALU_DEP_1)
	v_fmac_f32_e32 v15, v16, v15
	v_div_scale_f32 v16, vcc_lo, v5, v14, v5
	v_mul_f32_e32 v17, v16, v15
	s_delay_alu instid0(VALU_DEP_1) | instskip(NEXT) | instid1(VALU_DEP_1)
	v_fma_f32 v18, -v9, v17, v16
	v_fmac_f32_e32 v17, v18, v15
	s_delay_alu instid0(VALU_DEP_1) | instskip(NEXT) | instid1(VALU_DEP_1)
	v_fma_f32 v9, -v9, v17, v16
	v_div_fmas_f32 v9, v9, v15, v17
	s_delay_alu instid0(VALU_DEP_1) | instskip(NEXT) | instid1(VALU_DEP_1)
	v_div_fixup_f32 v5, v9, v14, v5
	v_minmax_f32 v5, v5, s7, 0xc3e00000
	s_delay_alu instid0(VALU_DEP_1) | instskip(NEXT) | instid1(VALU_DEP_1)
	v_and_b32_e32 v9, 0x7fffffff, v5
	v_cmpx_gt_u32_e32 0x43f00000, v9
	s_cbranch_execz .LBB39_131
; %bb.126:                              ;   in Loop: Header=BB39_57 Depth=1
	s_mov_b32 s16, exec_lo
                                        ; implicit-def: $vgpr4
	v_cmpx_lt_u32_e32 0x3c7fffff, v9
	s_xor_b32 s16, exec_lo, s16
; %bb.127:                              ;   in Loop: Header=BB39_57 Depth=1
	v_bfe_u32 v4, v5, 20, 1
	s_delay_alu instid0(VALU_DEP_1) | instskip(NEXT) | instid1(VALU_DEP_1)
	v_add3_u32 v4, v5, v4, 0x407ffff
	v_lshrrev_b32_e32 v4, 20, v4
; %bb.128:                              ;   in Loop: Header=BB39_57 Depth=1
	s_and_not1_saveexec_b32 s16, s16
; %bb.129:                              ;   in Loop: Header=BB39_57 Depth=1
	v_add_f32_e64 v4, 0x46800000, |v5|
; %bb.130:                              ;   in Loop: Header=BB39_57 Depth=1
	s_or_b32 exec_lo, exec_lo, s16
.LBB39_131:                             ;   in Loop: Header=BB39_57 Depth=1
	s_delay_alu instid0(SALU_CYCLE_1)
	s_or_b32 exec_lo, exec_lo, s15
	v_lshrrev_b32_e32 v8, 24, v8
	v_lshrrev_b32_e32 v3, 24, v3
	;; [unrolled: 1-line block ×3, first 2 shown]
	v_lshlrev_b32_e32 v4, 24, v4
	v_and_b32_e32 v5, 0x80000000, v5
	v_and_b32_e32 v8, 0x80, v8
	;; [unrolled: 1-line block ×4, first 2 shown]
	v_add_nc_u32_e32 v0, s4, v0
	s_mov_b32 s16, -1
	v_and_or_b32 v7, 0xff, v7, v8
	v_and_or_b32 v8, 0xff, v2, v3
	v_lshlrev_b64 v[2:3], 2, v[11:12]
	v_and_or_b32 v6, 0x80, v9, v6
	s_mov_b32 s15, exec_lo
	v_lshlrev_b32_e32 v7, 16, v7
	v_lshlrev_b32_e32 v8, 8, v8
	s_delay_alu instid0(VALU_DEP_4) | instskip(NEXT) | instid1(VALU_DEP_3)
	v_add_co_u32 v2, vcc_lo, s2, v2
	v_or3_b32 v4, v5, v4, v7
	v_add_co_ci_u32_e32 v3, vcc_lo, s3, v3, vcc_lo
	s_delay_alu instid0(VALU_DEP_2)
	v_or3_b32 v4, v4, v8, v6
	global_store_b32 v[2:3], v4, off
	v_cmpx_gt_u32_e64 s8, v0
	s_cbranch_execz .LBB39_54
; %bb.132:                              ;   in Loop: Header=BB39_57 Depth=1
	v_lshlrev_b64 v[2:3], 4, v[0:1]
	v_lshrrev_b32_e32 v8, 2, v0
	s_mov_b32 s16, exec_lo
	s_delay_alu instid0(VALU_DEP_2) | instskip(NEXT) | instid1(VALU_DEP_3)
	v_add_co_u32 v4, vcc_lo, s14, v2
	v_add_co_ci_u32_e32 v5, vcc_lo, s26, v3, vcc_lo
	v_add_co_u32 v6, vcc_lo, s10, v2
	v_add_co_ci_u32_e32 v7, vcc_lo, s11, v3, vcc_lo
	global_load_b128 v[2:5], v[4:5], off
	s_waitcnt vmcnt(0)
	v_dual_mul_f32 v2, v28, v2 :: v_dual_and_b32 v11, 0xffffffc, v8
	global_load_b128 v[6:9], v[6:7], off
	global_load_b32 v12, v11, s[0:1]
	s_waitcnt vmcnt(1)
	v_mul_f32_e32 v2, v2, v6
	s_waitcnt vmcnt(0)
	s_delay_alu instid0(VALU_DEP_1) | instskip(NEXT) | instid1(VALU_DEP_1)
	v_div_scale_f32 v6, null, v12, v12, v2
	v_rcp_f32_e32 v11, v6
	s_waitcnt_depctr 0xfff
	v_fma_f32 v13, -v6, v11, 1.0
	s_delay_alu instid0(VALU_DEP_1) | instskip(SKIP_1) | instid1(VALU_DEP_1)
	v_fmac_f32_e32 v11, v13, v11
	v_div_scale_f32 v14, vcc_lo, v2, v12, v2
	v_mul_f32_e32 v13, v14, v11
	s_delay_alu instid0(VALU_DEP_1) | instskip(NEXT) | instid1(VALU_DEP_1)
	v_fma_f32 v15, -v6, v13, v14
	v_fmac_f32_e32 v13, v15, v11
	s_delay_alu instid0(VALU_DEP_1) | instskip(NEXT) | instid1(VALU_DEP_1)
	v_fma_f32 v6, -v6, v13, v14
	v_div_fmas_f32 v6, v6, v11, v13
	s_delay_alu instid0(VALU_DEP_1) | instskip(SKIP_1) | instid1(VALU_DEP_2)
	v_div_fixup_f32 v2, v6, v12, v2
	v_mov_b32_e32 v6, 0x7f
	v_minmax_f32 v11, v2, s7, 0xc3e00000
	v_mov_b32_e32 v2, 0x7f
	s_delay_alu instid0(VALU_DEP_2) | instskip(NEXT) | instid1(VALU_DEP_1)
	v_and_b32_e32 v13, 0x7fffffff, v11
	v_cmpx_gt_u32_e32 0x43f00000, v13
	s_cbranch_execz .LBB39_138
; %bb.133:                              ;   in Loop: Header=BB39_57 Depth=1
	s_mov_b32 s17, exec_lo
                                        ; implicit-def: $vgpr6
	v_cmpx_lt_u32_e32 0x3c7fffff, v13
	s_xor_b32 s17, exec_lo, s17
; %bb.134:                              ;   in Loop: Header=BB39_57 Depth=1
	v_bfe_u32 v6, v11, 20, 1
	s_delay_alu instid0(VALU_DEP_1) | instskip(NEXT) | instid1(VALU_DEP_1)
	v_add3_u32 v6, v11, v6, 0x407ffff
	v_lshrrev_b32_e32 v6, 20, v6
; %bb.135:                              ;   in Loop: Header=BB39_57 Depth=1
	s_and_not1_saveexec_b32 s17, s17
; %bb.136:                              ;   in Loop: Header=BB39_57 Depth=1
	v_add_f32_e64 v6, 0x46800000, |v11|
; %bb.137:                              ;   in Loop: Header=BB39_57 Depth=1
	s_or_b32 exec_lo, exec_lo, s17
.LBB39_138:                             ;   in Loop: Header=BB39_57 Depth=1
	s_delay_alu instid0(SALU_CYCLE_1) | instskip(SKIP_2) | instid1(VALU_DEP_1)
	s_or_b32 exec_lo, exec_lo, s16
	v_mul_f32_e32 v3, v28, v3
	s_mov_b32 s16, exec_lo
	v_mul_f32_e32 v3, v3, v7
	s_delay_alu instid0(VALU_DEP_1) | instskip(NEXT) | instid1(VALU_DEP_1)
	v_div_scale_f32 v7, null, v12, v12, v3
	v_rcp_f32_e32 v13, v7
	s_waitcnt_depctr 0xfff
	v_fma_f32 v14, -v7, v13, 1.0
	s_delay_alu instid0(VALU_DEP_1) | instskip(SKIP_1) | instid1(VALU_DEP_1)
	v_fmac_f32_e32 v13, v14, v13
	v_div_scale_f32 v14, vcc_lo, v3, v12, v3
	v_mul_f32_e32 v15, v14, v13
	s_delay_alu instid0(VALU_DEP_1) | instskip(NEXT) | instid1(VALU_DEP_1)
	v_fma_f32 v16, -v7, v15, v14
	v_fmac_f32_e32 v15, v16, v13
	s_delay_alu instid0(VALU_DEP_1) | instskip(NEXT) | instid1(VALU_DEP_1)
	v_fma_f32 v7, -v7, v15, v14
	v_div_fmas_f32 v7, v7, v13, v15
	s_delay_alu instid0(VALU_DEP_1) | instskip(NEXT) | instid1(VALU_DEP_1)
	v_div_fixup_f32 v3, v7, v12, v3
	v_minmax_f32 v3, v3, s7, 0xc3e00000
	s_delay_alu instid0(VALU_DEP_1) | instskip(NEXT) | instid1(VALU_DEP_1)
	v_and_b32_e32 v7, 0x7fffffff, v3
	v_cmpx_gt_u32_e32 0x43f00000, v7
	s_cbranch_execz .LBB39_144
; %bb.139:                              ;   in Loop: Header=BB39_57 Depth=1
	s_mov_b32 s17, exec_lo
                                        ; implicit-def: $vgpr2
	v_cmpx_lt_u32_e32 0x3c7fffff, v7
	s_xor_b32 s17, exec_lo, s17
; %bb.140:                              ;   in Loop: Header=BB39_57 Depth=1
	v_bfe_u32 v2, v3, 20, 1
	s_delay_alu instid0(VALU_DEP_1) | instskip(NEXT) | instid1(VALU_DEP_1)
	v_add3_u32 v2, v3, v2, 0x407ffff
	v_lshrrev_b32_e32 v2, 20, v2
; %bb.141:                              ;   in Loop: Header=BB39_57 Depth=1
	s_and_not1_saveexec_b32 s17, s17
; %bb.142:                              ;   in Loop: Header=BB39_57 Depth=1
	v_add_f32_e64 v2, 0x46800000, |v3|
; %bb.143:                              ;   in Loop: Header=BB39_57 Depth=1
	s_or_b32 exec_lo, exec_lo, s17
.LBB39_144:                             ;   in Loop: Header=BB39_57 Depth=1
	s_delay_alu instid0(SALU_CYCLE_1) | instskip(SKIP_2) | instid1(VALU_DEP_1)
	s_or_b32 exec_lo, exec_lo, s16
	v_mul_f32_e32 v4, v28, v4
	s_mov_b32 s16, exec_lo
	v_mul_f32_e32 v4, v4, v8
	s_delay_alu instid0(VALU_DEP_1) | instskip(SKIP_1) | instid1(VALU_DEP_2)
	v_div_scale_f32 v7, null, v12, v12, v4
	v_div_scale_f32 v14, vcc_lo, v4, v12, v4
	v_rcp_f32_e32 v8, v7
	s_waitcnt_depctr 0xfff
	v_fma_f32 v13, -v7, v8, 1.0
	s_delay_alu instid0(VALU_DEP_1) | instskip(NEXT) | instid1(VALU_DEP_1)
	v_fmac_f32_e32 v8, v13, v8
	v_mul_f32_e32 v13, v14, v8
	s_delay_alu instid0(VALU_DEP_1) | instskip(NEXT) | instid1(VALU_DEP_1)
	v_fma_f32 v15, -v7, v13, v14
	v_fmac_f32_e32 v13, v15, v8
	s_delay_alu instid0(VALU_DEP_1) | instskip(NEXT) | instid1(VALU_DEP_1)
	v_fma_f32 v7, -v7, v13, v14
	v_div_fmas_f32 v7, v7, v8, v13
	s_delay_alu instid0(VALU_DEP_1) | instskip(SKIP_1) | instid1(VALU_DEP_2)
	v_div_fixup_f32 v4, v7, v12, v4
	v_mov_b32_e32 v7, 0x7f
	v_minmax_f32 v8, v4, s7, 0xc3e00000
	v_mov_b32_e32 v4, 0x7f
	s_delay_alu instid0(VALU_DEP_2) | instskip(NEXT) | instid1(VALU_DEP_1)
	v_and_b32_e32 v13, 0x7fffffff, v8
	v_cmpx_gt_u32_e32 0x43f00000, v13
	s_cbranch_execz .LBB39_150
; %bb.145:                              ;   in Loop: Header=BB39_57 Depth=1
	s_mov_b32 s17, exec_lo
                                        ; implicit-def: $vgpr7
	v_cmpx_lt_u32_e32 0x3c7fffff, v13
	s_xor_b32 s17, exec_lo, s17
; %bb.146:                              ;   in Loop: Header=BB39_57 Depth=1
	v_bfe_u32 v7, v8, 20, 1
	s_delay_alu instid0(VALU_DEP_1) | instskip(NEXT) | instid1(VALU_DEP_1)
	v_add3_u32 v7, v8, v7, 0x407ffff
	v_lshrrev_b32_e32 v7, 20, v7
; %bb.147:                              ;   in Loop: Header=BB39_57 Depth=1
	s_and_not1_saveexec_b32 s17, s17
; %bb.148:                              ;   in Loop: Header=BB39_57 Depth=1
	v_add_f32_e64 v7, 0x46800000, |v8|
; %bb.149:                              ;   in Loop: Header=BB39_57 Depth=1
	s_or_b32 exec_lo, exec_lo, s17
.LBB39_150:                             ;   in Loop: Header=BB39_57 Depth=1
	s_delay_alu instid0(SALU_CYCLE_1) | instskip(SKIP_2) | instid1(VALU_DEP_1)
	s_or_b32 exec_lo, exec_lo, s16
	v_mul_f32_e32 v5, v28, v5
	s_mov_b32 s16, exec_lo
	v_mul_f32_e32 v5, v5, v9
	s_delay_alu instid0(VALU_DEP_1) | instskip(NEXT) | instid1(VALU_DEP_1)
	v_div_scale_f32 v9, null, v12, v12, v5
	v_rcp_f32_e32 v13, v9
	s_waitcnt_depctr 0xfff
	v_fma_f32 v14, -v9, v13, 1.0
	s_delay_alu instid0(VALU_DEP_1) | instskip(SKIP_1) | instid1(VALU_DEP_1)
	v_fmac_f32_e32 v13, v14, v13
	v_div_scale_f32 v14, vcc_lo, v5, v12, v5
	v_mul_f32_e32 v15, v14, v13
	s_delay_alu instid0(VALU_DEP_1) | instskip(NEXT) | instid1(VALU_DEP_1)
	v_fma_f32 v16, -v9, v15, v14
	v_fmac_f32_e32 v15, v16, v13
	s_delay_alu instid0(VALU_DEP_1) | instskip(NEXT) | instid1(VALU_DEP_1)
	v_fma_f32 v9, -v9, v15, v14
	v_div_fmas_f32 v9, v9, v13, v15
	s_delay_alu instid0(VALU_DEP_1) | instskip(NEXT) | instid1(VALU_DEP_1)
	v_div_fixup_f32 v5, v9, v12, v5
	v_minmax_f32 v5, v5, s7, 0xc3e00000
	s_delay_alu instid0(VALU_DEP_1) | instskip(NEXT) | instid1(VALU_DEP_1)
	v_and_b32_e32 v9, 0x7fffffff, v5
	v_cmpx_gt_u32_e32 0x43f00000, v9
	s_cbranch_execz .LBB39_53
; %bb.151:                              ;   in Loop: Header=BB39_57 Depth=1
	s_mov_b32 s17, exec_lo
                                        ; implicit-def: $vgpr4
	v_cmpx_lt_u32_e32 0x3c7fffff, v9
	s_xor_b32 s17, exec_lo, s17
; %bb.152:                              ;   in Loop: Header=BB39_57 Depth=1
	v_bfe_u32 v4, v5, 20, 1
	s_delay_alu instid0(VALU_DEP_1) | instskip(NEXT) | instid1(VALU_DEP_1)
	v_add3_u32 v4, v5, v4, 0x407ffff
	v_lshrrev_b32_e32 v4, 20, v4
; %bb.153:                              ;   in Loop: Header=BB39_57 Depth=1
	s_and_not1_saveexec_b32 s17, s17
	s_cbranch_execz .LBB39_52
; %bb.154:                              ;   in Loop: Header=BB39_57 Depth=1
	v_add_f32_e64 v4, 0x46800000, |v5|
	s_branch .LBB39_52
.LBB39_155:
	s_nop 0
	s_sendmsg sendmsg(MSG_DEALLOC_VGPRS)
	s_endpgm
	.section	.rodata,"a",@progbits
	.p2align	6, 0x0
	.amdhsa_kernel _ZN4vllm31rms_norm_per_block_quant_kernelIfN3c1013Float8_e4m3fnELb0ELb0ELi64EEEvPT0_PfPKT_S8_PKffiiPS6_l
		.amdhsa_group_segment_fixed_size 4228
		.amdhsa_private_segment_fixed_size 0
		.amdhsa_kernarg_size 328
		.amdhsa_user_sgpr_count 15
		.amdhsa_user_sgpr_dispatch_ptr 0
		.amdhsa_user_sgpr_queue_ptr 0
		.amdhsa_user_sgpr_kernarg_segment_ptr 1
		.amdhsa_user_sgpr_dispatch_id 0
		.amdhsa_user_sgpr_private_segment_size 0
		.amdhsa_wavefront_size32 1
		.amdhsa_uses_dynamic_stack 0
		.amdhsa_enable_private_segment 0
		.amdhsa_system_sgpr_workgroup_id_x 1
		.amdhsa_system_sgpr_workgroup_id_y 0
		.amdhsa_system_sgpr_workgroup_id_z 0
		.amdhsa_system_sgpr_workgroup_info 0
		.amdhsa_system_vgpr_workitem_id 0
		.amdhsa_next_free_vgpr 35
		.amdhsa_next_free_sgpr 36
		.amdhsa_reserve_vcc 1
		.amdhsa_float_round_mode_32 0
		.amdhsa_float_round_mode_16_64 0
		.amdhsa_float_denorm_mode_32 3
		.amdhsa_float_denorm_mode_16_64 3
		.amdhsa_dx10_clamp 1
		.amdhsa_ieee_mode 1
		.amdhsa_fp16_overflow 0
		.amdhsa_workgroup_processor_mode 1
		.amdhsa_memory_ordered 1
		.amdhsa_forward_progress 0
		.amdhsa_shared_vgpr_count 0
		.amdhsa_exception_fp_ieee_invalid_op 0
		.amdhsa_exception_fp_denorm_src 0
		.amdhsa_exception_fp_ieee_div_zero 0
		.amdhsa_exception_fp_ieee_overflow 0
		.amdhsa_exception_fp_ieee_underflow 0
		.amdhsa_exception_fp_ieee_inexact 0
		.amdhsa_exception_int_div_zero 0
	.end_amdhsa_kernel
	.section	.text._ZN4vllm31rms_norm_per_block_quant_kernelIfN3c1013Float8_e4m3fnELb0ELb0ELi64EEEvPT0_PfPKT_S8_PKffiiPS6_l,"axG",@progbits,_ZN4vllm31rms_norm_per_block_quant_kernelIfN3c1013Float8_e4m3fnELb0ELb0ELi64EEEvPT0_PfPKT_S8_PKffiiPS6_l,comdat
.Lfunc_end39:
	.size	_ZN4vllm31rms_norm_per_block_quant_kernelIfN3c1013Float8_e4m3fnELb0ELb0ELi64EEEvPT0_PfPKT_S8_PKffiiPS6_l, .Lfunc_end39-_ZN4vllm31rms_norm_per_block_quant_kernelIfN3c1013Float8_e4m3fnELb0ELb0ELi64EEEvPT0_PfPKT_S8_PKffiiPS6_l
                                        ; -- End function
	.section	.AMDGPU.csdata,"",@progbits
; Kernel info:
; codeLenInByte = 8688
; NumSgprs: 38
; NumVgprs: 35
; ScratchSize: 0
; MemoryBound: 0
; FloatMode: 240
; IeeeMode: 1
; LDSByteSize: 4228 bytes/workgroup (compile time only)
; SGPRBlocks: 4
; VGPRBlocks: 4
; NumSGPRsForWavesPerEU: 38
; NumVGPRsForWavesPerEU: 35
; Occupancy: 16
; WaveLimiterHint : 0
; COMPUTE_PGM_RSRC2:SCRATCH_EN: 0
; COMPUTE_PGM_RSRC2:USER_SGPR: 15
; COMPUTE_PGM_RSRC2:TRAP_HANDLER: 0
; COMPUTE_PGM_RSRC2:TGID_X_EN: 1
; COMPUTE_PGM_RSRC2:TGID_Y_EN: 0
; COMPUTE_PGM_RSRC2:TGID_Z_EN: 0
; COMPUTE_PGM_RSRC2:TIDIG_COMP_CNT: 0
	.section	.text._ZN4vllm31rms_norm_per_block_quant_kernelIfN3c1015Float8_e4m3fnuzELb0ELb0ELi64EEEvPT0_PfPKT_S8_PKffiiPS6_l,"axG",@progbits,_ZN4vllm31rms_norm_per_block_quant_kernelIfN3c1015Float8_e4m3fnuzELb0ELb0ELi64EEEvPT0_PfPKT_S8_PKffiiPS6_l,comdat
	.protected	_ZN4vllm31rms_norm_per_block_quant_kernelIfN3c1015Float8_e4m3fnuzELb0ELb0ELi64EEEvPT0_PfPKT_S8_PKffiiPS6_l ; -- Begin function _ZN4vllm31rms_norm_per_block_quant_kernelIfN3c1015Float8_e4m3fnuzELb0ELb0ELi64EEEvPT0_PfPKT_S8_PKffiiPS6_l
	.globl	_ZN4vllm31rms_norm_per_block_quant_kernelIfN3c1015Float8_e4m3fnuzELb0ELb0ELi64EEEvPT0_PfPKT_S8_PKffiiPS6_l
	.p2align	8
	.type	_ZN4vllm31rms_norm_per_block_quant_kernelIfN3c1015Float8_e4m3fnuzELb0ELb0ELi64EEEvPT0_PfPKT_S8_PKffiiPS6_l,@function
_ZN4vllm31rms_norm_per_block_quant_kernelIfN3c1015Float8_e4m3fnuzELb0ELb0ELi64EEEvPT0_PfPKT_S8_PKffiiPS6_l: ; @_ZN4vllm31rms_norm_per_block_quant_kernelIfN3c1015Float8_e4m3fnuzELb0ELb0ELi64EEEvPT0_PfPKT_S8_PKffiiPS6_l
; %bb.0:
	s_clause 0x1
	s_load_b128 s[16:19], s[0:1], 0x28
	s_load_b256 s[4:11], s[0:1], 0x0
	v_mov_b32_e32 v6, 0
	s_waitcnt lgkmcnt(0)
	s_ashr_i32 s2, s18, 31
	s_mul_hi_u32 s3, s18, s15
	s_mul_i32 s12, s2, s15
	s_mul_i32 s2, s18, s15
	s_add_i32 s3, s3, s12
	s_mov_b32 s12, s17
	s_lshl_b64 s[2:3], s[2:3], 2
	s_delay_alu instid0(SALU_CYCLE_1)
	s_add_u32 s14, s8, s2
	s_addc_u32 s26, s9, s3
	s_ashr_i32 s8, s17, 2
	s_add_u32 s18, s0, 0x48
	v_cmp_gt_u32_e64 s2, s8, v0
	s_mov_b32 s9, 0
	s_addc_u32 s19, s1, 0
	s_delay_alu instid0(VALU_DEP_1)
	s_and_saveexec_b32 s3, s2
	s_cbranch_execz .LBB40_10
; %bb.1:
	s_load_b32 s13, s[18:19], 0x0
	v_dual_mov_b32 v2, 0 :: v_dual_mov_b32 v1, v0
	s_waitcnt lgkmcnt(0)
	s_cmp_lt_u32 s15, s13
	s_cselect_b32 s13, 12, 18
	s_delay_alu instid0(SALU_CYCLE_1)
	s_add_u32 s20, s18, s13
	s_addc_u32 s21, s19, 0
                                        ; implicit-def: $sgpr13
	global_load_u16 v7, v2, s[20:21]
	s_waitcnt vmcnt(0)
	v_lshlrev_b32_e32 v9, 1, v7
	v_mul_lo_u32 v8, v7, 3
	v_add_nc_u32_e32 v10, v7, v7
	v_mov_b32_e32 v6, v2
	s_branch .LBB40_5
.LBB40_2:                               ;   in Loop: Header=BB40_5 Depth=1
	s_or_b32 exec_lo, exec_lo, s22
	s_delay_alu instid0(SALU_CYCLE_1)
	s_or_not1_b32 s22, s23, exec_lo
.LBB40_3:                               ;   in Loop: Header=BB40_5 Depth=1
	s_or_b32 exec_lo, exec_lo, s21
	s_delay_alu instid0(SALU_CYCLE_1) | instskip(SKIP_1) | instid1(SALU_CYCLE_1)
	s_and_not1_b32 s13, s13, exec_lo
	s_and_b32 s21, s22, exec_lo
	s_or_b32 s13, s13, s21
.LBB40_4:                               ;   in Loop: Header=BB40_5 Depth=1
	s_or_b32 exec_lo, exec_lo, s20
	s_delay_alu instid0(SALU_CYCLE_1) | instskip(NEXT) | instid1(SALU_CYCLE_1)
	s_and_b32 s20, exec_lo, s13
	s_or_b32 s9, s20, s9
	s_delay_alu instid0(SALU_CYCLE_1)
	s_and_not1_b32 exec_lo, exec_lo, s9
	s_cbranch_execz .LBB40_9
.LBB40_5:                               ; =>This Inner Loop Header: Depth=1
	v_lshlrev_b64 v[3:4], 4, v[1:2]
	s_or_b32 s13, s13, exec_lo
	s_mov_b32 s20, exec_lo
	s_delay_alu instid0(VALU_DEP_1) | instskip(NEXT) | instid1(VALU_DEP_2)
	v_add_co_u32 v3, vcc_lo, s14, v3
	v_add_co_ci_u32_e32 v4, vcc_lo, s26, v4, vcc_lo
	global_load_b128 v[11:14], v[3:4], off
	v_add_nc_u32_e32 v3, v1, v7
	s_waitcnt vmcnt(0)
	v_fmac_f32_e32 v6, v11, v11
	s_delay_alu instid0(VALU_DEP_1) | instskip(NEXT) | instid1(VALU_DEP_1)
	v_fmac_f32_e32 v6, v12, v12
	v_fmac_f32_e32 v6, v13, v13
	s_delay_alu instid0(VALU_DEP_1)
	v_fmac_f32_e32 v6, v14, v14
	v_cmpx_gt_u32_e64 s8, v3
	s_cbranch_execz .LBB40_4
; %bb.6:                                ;   in Loop: Header=BB40_5 Depth=1
	v_mov_b32_e32 v4, v2
	s_mov_b32 s22, -1
	s_mov_b32 s21, exec_lo
	s_delay_alu instid0(VALU_DEP_1) | instskip(NEXT) | instid1(VALU_DEP_1)
	v_lshlrev_b64 v[4:5], 4, v[3:4]
	v_add_co_u32 v4, vcc_lo, s14, v4
	s_delay_alu instid0(VALU_DEP_2) | instskip(SKIP_4) | instid1(VALU_DEP_1)
	v_add_co_ci_u32_e32 v5, vcc_lo, s26, v5, vcc_lo
	global_load_b128 v[11:14], v[4:5], off
	v_add_nc_u32_e32 v4, v9, v1
	s_waitcnt vmcnt(0)
	v_fmac_f32_e32 v6, v11, v11
	v_fmac_f32_e32 v6, v12, v12
	s_delay_alu instid0(VALU_DEP_1) | instskip(NEXT) | instid1(VALU_DEP_1)
	v_fmac_f32_e32 v6, v13, v13
	v_fmac_f32_e32 v6, v14, v14
	v_cmpx_gt_u32_e64 s8, v4
	s_cbranch_execz .LBB40_3
; %bb.7:                                ;   in Loop: Header=BB40_5 Depth=1
	v_mov_b32_e32 v5, v2
	s_mov_b32 s23, -1
	s_mov_b32 s22, exec_lo
	s_delay_alu instid0(VALU_DEP_1) | instskip(NEXT) | instid1(VALU_DEP_1)
	v_lshlrev_b64 v[4:5], 4, v[4:5]
	v_add_co_u32 v4, vcc_lo, s14, v4
	s_delay_alu instid0(VALU_DEP_2) | instskip(SKIP_3) | instid1(VALU_DEP_1)
	v_add_co_ci_u32_e32 v5, vcc_lo, s26, v5, vcc_lo
	global_load_b128 v[11:14], v[4:5], off
	s_waitcnt vmcnt(0)
	v_fmac_f32_e32 v6, v11, v11
	v_fmac_f32_e32 v6, v12, v12
	s_delay_alu instid0(VALU_DEP_1) | instskip(NEXT) | instid1(VALU_DEP_1)
	v_fmac_f32_e32 v6, v13, v13
	v_dual_fmac_f32 v6, v14, v14 :: v_dual_add_nc_u32 v1, v8, v1
	s_delay_alu instid0(VALU_DEP_1)
	v_cmpx_gt_u32_e64 s8, v1
	s_xor_b32 s22, exec_lo, s22
	s_cbranch_execz .LBB40_2
; %bb.8:                                ;   in Loop: Header=BB40_5 Depth=1
	v_lshlrev_b64 v[4:5], 4, v[1:2]
	v_add3_u32 v1, v10, v7, v3
	s_delay_alu instid0(VALU_DEP_2) | instskip(NEXT) | instid1(VALU_DEP_3)
	v_add_co_u32 v4, vcc_lo, s14, v4
	v_add_co_ci_u32_e32 v5, vcc_lo, s26, v5, vcc_lo
	s_delay_alu instid0(VALU_DEP_3) | instskip(SKIP_4) | instid1(VALU_DEP_1)
	v_cmp_le_u32_e32 vcc_lo, s8, v1
	global_load_b128 v[11:14], v[4:5], off
	s_or_not1_b32 s23, vcc_lo, exec_lo
	s_waitcnt vmcnt(0)
	v_fmac_f32_e32 v6, v11, v11
	v_fmac_f32_e32 v6, v12, v12
	s_delay_alu instid0(VALU_DEP_1) | instskip(NEXT) | instid1(VALU_DEP_1)
	v_fmac_f32_e32 v6, v13, v13
	v_fmac_f32_e32 v6, v14, v14
	s_branch .LBB40_2
.LBB40_9:
	s_or_b32 exec_lo, exec_lo, s9
.LBB40_10:
	s_delay_alu instid0(SALU_CYCLE_1) | instskip(SKIP_3) | instid1(VALU_DEP_2)
	s_or_b32 exec_lo, exec_lo, s3
	v_mbcnt_lo_u32_b32 v1, -1, 0
	s_load_b32 s3, s[18:19], 0xc
	v_and_b32_e32 v7, 0x3e0, v0
	v_cmp_ne_u32_e32 vcc_lo, 31, v1
	v_add_nc_u32_e32 v3, 1, v1
	v_add_co_ci_u32_e32 v2, vcc_lo, 0, v1, vcc_lo
	v_cmp_gt_u32_e32 vcc_lo, 30, v1
	s_delay_alu instid0(VALU_DEP_2)
	v_lshlrev_b32_e32 v2, 2, v2
	v_cndmask_b32_e64 v5, 0, 1, vcc_lo
	ds_bpermute_b32 v4, v2, v6
	s_waitcnt lgkmcnt(0)
	s_and_b32 s27, s3, 0xffff
	v_lshlrev_b32_e32 v5, 1, v5
	v_sub_nc_u32_e64 v12, s27, v7 clamp
	s_mov_b32 s3, exec_lo
	s_delay_alu instid0(VALU_DEP_1) | instskip(SKIP_2) | instid1(VALU_DEP_2)
	v_cmp_lt_u32_e32 vcc_lo, v3, v12
	v_add_f32_e32 v7, v6, v4
	v_add_lshl_u32 v4, v5, v1, 2
	v_cndmask_b32_e32 v7, v6, v7, vcc_lo
	v_cmp_gt_u32_e32 vcc_lo, 28, v1
	v_cndmask_b32_e64 v5, 0, 1, vcc_lo
	s_delay_alu instid0(VALU_DEP_1) | instskip(SKIP_2) | instid1(VALU_DEP_1)
	v_lshlrev_b32_e32 v8, 2, v5
	ds_bpermute_b32 v6, v4, v7
	v_add_nc_u32_e32 v5, 2, v1
	v_cmp_lt_u32_e32 vcc_lo, v5, v12
	s_waitcnt lgkmcnt(0)
	v_add_f32_e32 v9, v7, v6
	v_add_lshl_u32 v6, v8, v1, 2
	s_delay_alu instid0(VALU_DEP_2) | instskip(SKIP_3) | instid1(VALU_DEP_1)
	v_cndmask_b32_e32 v9, v7, v9, vcc_lo
	v_cmp_gt_u32_e32 vcc_lo, 24, v1
	ds_bpermute_b32 v8, v6, v9
	v_cndmask_b32_e64 v7, 0, 1, vcc_lo
	v_lshlrev_b32_e32 v10, 3, v7
	v_add_nc_u32_e32 v7, 4, v1
	s_delay_alu instid0(VALU_DEP_1) | instskip(SKIP_3) | instid1(VALU_DEP_2)
	v_cmp_lt_u32_e32 vcc_lo, v7, v12
	s_waitcnt lgkmcnt(0)
	v_add_f32_e32 v11, v9, v8
	v_add_lshl_u32 v8, v10, v1, 2
	v_cndmask_b32_e32 v11, v9, v11, vcc_lo
	v_cmp_gt_u32_e32 vcc_lo, 16, v1
	ds_bpermute_b32 v10, v8, v11
	v_cndmask_b32_e64 v9, 0, 1, vcc_lo
	s_delay_alu instid0(VALU_DEP_1) | instskip(SKIP_1) | instid1(VALU_DEP_1)
	v_lshlrev_b32_e32 v13, 4, v9
	v_add_nc_u32_e32 v9, 8, v1
	v_cmp_lt_u32_e32 vcc_lo, v9, v12
	s_waitcnt lgkmcnt(0)
	v_add_f32_e32 v14, v11, v10
	v_add_lshl_u32 v10, v13, v1, 2
	s_delay_alu instid0(VALU_DEP_2)
	v_cndmask_b32_e32 v13, v11, v14, vcc_lo
	v_add_nc_u32_e32 v11, 16, v1
	ds_bpermute_b32 v14, v10, v13
	v_cmp_lt_u32_e32 vcc_lo, v11, v12
	s_waitcnt lgkmcnt(0)
	v_add_f32_e32 v14, v13, v14
	s_delay_alu instid0(VALU_DEP_1)
	v_cndmask_b32_e32 v12, v13, v14, vcc_lo
	v_cmpx_eq_u32_e32 0, v1
	s_cbranch_execz .LBB40_12
; %bb.11:
	v_lshrrev_b32_e32 v13, 3, v0
	s_delay_alu instid0(VALU_DEP_1)
	v_and_b32_e32 v13, 0x7c, v13
	ds_store_b32 v13, v12 offset:4096
.LBB40_12:
	s_or_b32 exec_lo, exec_lo, s3
	s_delay_alu instid0(SALU_CYCLE_1)
	s_mov_b32 s3, exec_lo
	s_waitcnt lgkmcnt(0)
	s_barrier
	buffer_gl0_inv
	v_cmpx_gt_u32_e32 32, v0
	s_cbranch_execz .LBB40_14
; %bb.13:
	v_lshlrev_b32_e32 v1, 2, v1
	s_add_i32 s9, s27, 31
	s_delay_alu instid0(SALU_CYCLE_1) | instskip(NEXT) | instid1(SALU_CYCLE_1)
	s_lshr_b32 s9, s9, 5
	v_cmp_gt_u32_e32 vcc_lo, s9, v3
	ds_load_b32 v1, v1 offset:4096
	s_waitcnt lgkmcnt(0)
	ds_bpermute_b32 v2, v2, v1
	s_waitcnt lgkmcnt(0)
	v_add_f32_e32 v2, v1, v2
	s_delay_alu instid0(VALU_DEP_1) | instskip(SKIP_4) | instid1(VALU_DEP_1)
	v_cndmask_b32_e32 v1, v1, v2, vcc_lo
	v_cmp_gt_u32_e32 vcc_lo, s9, v5
	ds_bpermute_b32 v2, v4, v1
	s_waitcnt lgkmcnt(0)
	v_add_f32_e32 v2, v1, v2
	v_cndmask_b32_e32 v1, v1, v2, vcc_lo
	v_cmp_gt_u32_e32 vcc_lo, s9, v7
	ds_bpermute_b32 v2, v6, v1
	s_waitcnt lgkmcnt(0)
	v_add_f32_e32 v2, v1, v2
	s_delay_alu instid0(VALU_DEP_1) | instskip(SKIP_4) | instid1(VALU_DEP_1)
	v_cndmask_b32_e32 v1, v1, v2, vcc_lo
	v_cmp_gt_u32_e32 vcc_lo, s9, v9
	ds_bpermute_b32 v2, v8, v1
	s_waitcnt lgkmcnt(0)
	v_add_f32_e32 v2, v1, v2
	v_cndmask_b32_e32 v1, v1, v2, vcc_lo
	v_cmp_gt_u32_e32 vcc_lo, s9, v11
	ds_bpermute_b32 v2, v10, v1
	s_waitcnt lgkmcnt(0)
	v_add_f32_e32 v2, v1, v2
	s_delay_alu instid0(VALU_DEP_1)
	v_cndmask_b32_e32 v12, v1, v2, vcc_lo
.LBB40_14:
	s_or_b32 exec_lo, exec_lo, s3
	s_delay_alu instid0(SALU_CYCLE_1)
	s_mov_b32 s3, exec_lo
	v_cmpx_eq_u32_e32 0, v0
	s_cbranch_execz .LBB40_16
; %bb.15:
	v_cvt_f32_i32_e32 v1, s17
	s_delay_alu instid0(VALU_DEP_1) | instskip(SKIP_1) | instid1(VALU_DEP_2)
	v_div_scale_f32 v2, null, v1, v1, v12
	v_div_scale_f32 v5, vcc_lo, v12, v1, v12
	v_rcp_f32_e32 v3, v2
	s_waitcnt_depctr 0xfff
	v_fma_f32 v4, -v2, v3, 1.0
	s_delay_alu instid0(VALU_DEP_1) | instskip(NEXT) | instid1(VALU_DEP_1)
	v_fmac_f32_e32 v3, v4, v3
	v_mul_f32_e32 v4, v5, v3
	s_delay_alu instid0(VALU_DEP_1) | instskip(NEXT) | instid1(VALU_DEP_1)
	v_fma_f32 v6, -v2, v4, v5
	v_fmac_f32_e32 v4, v6, v3
	s_delay_alu instid0(VALU_DEP_1) | instskip(NEXT) | instid1(VALU_DEP_1)
	v_fma_f32 v2, -v2, v4, v5
	v_div_fmas_f32 v2, v2, v3, v4
	s_delay_alu instid0(VALU_DEP_1) | instskip(NEXT) | instid1(VALU_DEP_1)
	v_div_fixup_f32 v1, v2, v1, v12
	v_add_f32_e32 v1, s16, v1
	s_delay_alu instid0(VALU_DEP_1) | instskip(SKIP_1) | instid1(VALU_DEP_2)
	v_mul_f32_e32 v2, 0x4b800000, v1
	v_cmp_gt_f32_e32 vcc_lo, 0x800000, v1
	v_cndmask_b32_e32 v1, v1, v2, vcc_lo
	s_delay_alu instid0(VALU_DEP_1) | instskip(SKIP_2) | instid1(VALU_DEP_1)
	v_rsq_f32_e32 v1, v1
	s_waitcnt_depctr 0xfff
	v_mul_f32_e32 v2, 0x45800000, v1
	v_dual_cndmask_b32 v1, v1, v2 :: v_dual_mov_b32 v2, 0
	ds_store_b32 v2, v1 offset:4224
.LBB40_16:
	s_or_b32 exec_lo, exec_lo, s3
	s_ashr_i32 s13, s17, 31
	s_waitcnt lgkmcnt(0)
	s_lshr_b32 s3, s13, 26
	s_barrier
	s_add_i32 s3, s17, s3
	buffer_gl0_inv
	s_ashr_i32 s16, s3, 6
	s_ashr_i32 s3, s3, 31
	s_abs_i32 s9, s16
	s_delay_alu instid0(SALU_CYCLE_1) | instskip(SKIP_1) | instid1(VALU_DEP_1)
	v_cvt_f32_u32_e32 v1, s9
	s_sub_i32 s18, 0, s9
	v_rcp_iflag_f32_e32 v1, v1
	s_waitcnt_depctr 0xfff
	v_mul_f32_e32 v1, 0x4f7ffffe, v1
	s_delay_alu instid0(VALU_DEP_1) | instskip(NEXT) | instid1(VALU_DEP_1)
	v_cvt_u32_f32_e32 v1, v1
	v_readfirstlane_b32 s17, v1
	s_delay_alu instid0(VALU_DEP_1) | instskip(NEXT) | instid1(SALU_CYCLE_1)
	s_mul_i32 s18, s18, s17
	s_mul_hi_u32 s18, s17, s18
	s_delay_alu instid0(SALU_CYCLE_1) | instskip(NEXT) | instid1(SALU_CYCLE_1)
	s_add_i32 s17, s17, s18
	s_mul_hi_u32 s17, s27, s17
	s_delay_alu instid0(SALU_CYCLE_1) | instskip(SKIP_2) | instid1(SALU_CYCLE_1)
	s_mul_i32 s18, s17, s9
	s_add_i32 s19, s17, 1
	s_sub_i32 s18, s27, s18
	s_sub_i32 s20, s18, s9
	s_cmp_ge_u32 s18, s9
	s_cselect_b32 s17, s19, s17
	s_cselect_b32 s18, s20, s18
	s_add_i32 s19, s17, 1
	s_cmp_ge_u32 s18, s9
	s_cselect_b32 s9, s19, s17
	s_delay_alu instid0(SALU_CYCLE_1) | instskip(NEXT) | instid1(SALU_CYCLE_1)
	s_xor_b32 s9, s9, s3
	s_sub_i32 s18, s9, s3
	s_delay_alu instid0(SALU_CYCLE_1) | instskip(SKIP_3) | instid1(VALU_DEP_1)
	s_abs_i32 s3, s18
	s_ashr_i32 s19, s18, 31
	v_cvt_f32_u32_e32 v1, s3
	s_sub_i32 s9, 0, s3
	v_rcp_iflag_f32_e32 v1, v1
	s_waitcnt_depctr 0xfff
	v_mul_f32_e32 v1, 0x4f7ffffe, v1
	s_delay_alu instid0(VALU_DEP_1) | instskip(NEXT) | instid1(VALU_DEP_1)
	v_cvt_u32_f32_e32 v1, v1
	v_mul_lo_u32 v2, s9, v1
	s_ashr_i32 s9, s8, 31
	s_delay_alu instid0(VALU_DEP_1) | instskip(NEXT) | instid1(VALU_DEP_1)
	v_mul_hi_u32 v2, v1, v2
	v_add_nc_u32_e32 v1, v1, v2
	s_delay_alu instid0(VALU_DEP_1) | instskip(NEXT) | instid1(VALU_DEP_1)
	v_mul_hi_u32 v1, v0, v1
	v_mul_lo_u32 v2, v1, s3
	v_add_nc_u32_e32 v3, 1, v1
	s_delay_alu instid0(VALU_DEP_2) | instskip(NEXT) | instid1(VALU_DEP_1)
	v_sub_nc_u32_e32 v2, v0, v2
	v_subrev_nc_u32_e32 v4, s3, v2
	v_cmp_le_u32_e32 vcc_lo, s3, v2
	s_delay_alu instid0(VALU_DEP_2) | instskip(NEXT) | instid1(VALU_DEP_1)
	v_dual_cndmask_b32 v1, v1, v3 :: v_dual_cndmask_b32 v2, v2, v4
	v_dual_mov_b32 v4, 0 :: v_dual_add_nc_u32 v3, 1, v1
	s_delay_alu instid0(VALU_DEP_2) | instskip(SKIP_2) | instid1(VALU_DEP_1)
	v_cmp_le_u32_e32 vcc_lo, s3, v2
	ds_load_b32 v28, v4 offset:4224
	v_cndmask_b32_e32 v1, v1, v3, vcc_lo
	v_xor_b32_e32 v1, s19, v1
	s_delay_alu instid0(VALU_DEP_1) | instskip(NEXT) | instid1(VALU_DEP_1)
	v_subrev_nc_u32_e32 v1, s19, v1
	v_ashrrev_i32_e32 v2, 31, v1
	v_mul_lo_u32 v3, v1, s18
	s_delay_alu instid0(VALU_DEP_2) | instskip(NEXT) | instid1(VALU_DEP_2)
	v_lshlrev_b64 v[7:8], 4, v[1:2]
	v_sub_nc_u32_e32 v3, v0, v3
	s_delay_alu instid0(VALU_DEP_2) | instskip(NEXT) | instid1(VALU_DEP_3)
	v_add_co_u32 v5, vcc_lo, v7, 16
	v_add_co_ci_u32_e32 v6, vcc_lo, 0, v8, vcc_lo
	s_delay_alu instid0(VALU_DEP_1) | instskip(SKIP_4) | instid1(VALU_DEP_3)
	v_cmp_gt_i64_e32 vcc_lo, s[8:9], v[5:6]
	v_cndmask_b32_e32 v6, s9, v6, vcc_lo
	v_cndmask_b32_e32 v5, s8, v5, vcc_lo
	v_add_co_u32 v7, vcc_lo, v7, v3
	v_add_co_ci_u32_e32 v8, vcc_lo, 0, v8, vcc_lo
	v_ashrrev_i32_e32 v10, 31, v5
	v_mov_b32_e32 v9, v5
	s_mov_b32 s9, exec_lo
	s_delay_alu instid0(VALU_DEP_1)
	v_cmpx_lt_i64_e64 v[7:8], v[9:10]
	s_cbranch_execz .LBB40_26
; %bb.17:
	v_lshlrev_b64 v[11:12], 8, v[1:2]
	v_lshlrev_b64 v[13:14], 4, v[3:4]
	v_mov_b32_e32 v4, 0
	s_lshl_b64 s[20:21], s[18:19], 6
	s_mul_hi_i32 s17, s18, 3
	s_mul_i32 s28, s18, 3
	s_lshl_b64 s[22:23], s[18:19], 1
	v_add_co_u32 v19, vcc_lo, v11, v13
	v_add_co_ci_u32_e32 v20, vcc_lo, v12, v14, vcc_lo
	v_dual_mov_b32 v12, v8 :: v_dual_mov_b32 v11, v7
	s_lshl_b64 s[24:25], s[18:19], 4
	s_mov_b32 s29, 0
                                        ; implicit-def: $sgpr30
	s_branch .LBB40_21
.LBB40_18:                              ;   in Loop: Header=BB40_21 Depth=1
	s_or_b32 exec_lo, exec_lo, s34
	s_delay_alu instid0(SALU_CYCLE_1)
	s_or_not1_b32 s3, s3, exec_lo
.LBB40_19:                              ;   in Loop: Header=BB40_21 Depth=1
	s_or_b32 exec_lo, exec_lo, s33
	s_delay_alu instid0(SALU_CYCLE_1) | instskip(SKIP_1) | instid1(SALU_CYCLE_1)
	s_and_not1_b32 s30, s30, exec_lo
	s_and_b32 s3, s3, exec_lo
	s_or_b32 s30, s30, s3
.LBB40_20:                              ;   in Loop: Header=BB40_21 Depth=1
	s_or_b32 exec_lo, exec_lo, s31
	s_delay_alu instid0(SALU_CYCLE_1) | instskip(NEXT) | instid1(SALU_CYCLE_1)
	s_and_b32 s3, exec_lo, s30
	s_or_b32 s29, s3, s29
	s_delay_alu instid0(SALU_CYCLE_1)
	s_and_not1_b32 exec_lo, exec_lo, s29
	s_cbranch_execz .LBB40_25
.LBB40_21:                              ; =>This Inner Loop Header: Depth=1
	v_add_co_u32 v15, vcc_lo, s14, v19
	v_add_co_ci_u32_e32 v16, vcc_lo, s26, v20, vcc_lo
	v_add_co_u32 v17, vcc_lo, s10, v19
	v_add_co_ci_u32_e32 v18, vcc_lo, s11, v20, vcc_lo
	s_or_b32 s30, s30, exec_lo
	global_load_b128 v[21:24], v[15:16], off
	global_load_b128 v[29:32], v[17:18], off
	s_mov_b32 s31, exec_lo
	s_waitcnt vmcnt(1) lgkmcnt(0)
	v_mul_f32_e32 v14, v28, v22
	v_mul_f32_e32 v13, v28, v21
	;; [unrolled: 1-line block ×3, first 2 shown]
	s_waitcnt vmcnt(0)
	s_delay_alu instid0(VALU_DEP_3) | instskip(NEXT) | instid1(VALU_DEP_2)
	v_dual_mul_f32 v21, v28, v23 :: v_dual_mul_f32 v24, v14, v30
	v_dual_mul_f32 v23, v13, v29 :: v_dual_mul_f32 v22, v22, v32
	s_delay_alu instid0(VALU_DEP_2) | instskip(SKIP_1) | instid1(VALU_DEP_3)
	v_mul_f32_e32 v21, v21, v31
	v_add_co_u32 v13, vcc_lo, v11, s18
	v_max3_f32 v4, v4, |v23|, |v24|
	v_add_co_ci_u32_e32 v14, vcc_lo, s19, v12, vcc_lo
	s_delay_alu instid0(VALU_DEP_2) | instskip(NEXT) | instid1(VALU_DEP_2)
	v_max3_f32 v4, v4, |v21|, |v22|
	v_cmpx_lt_i64_e64 v[13:14], v[9:10]
	s_cbranch_execz .LBB40_20
; %bb.22:                               ;   in Loop: Header=BB40_21 Depth=1
	v_add_co_u32 v15, vcc_lo, v15, s24
	v_add_co_ci_u32_e32 v16, vcc_lo, s25, v16, vcc_lo
	v_add_co_u32 v17, vcc_lo, v17, s24
	v_add_co_ci_u32_e32 v18, vcc_lo, s25, v18, vcc_lo
	s_mov_b32 s3, -1
	global_load_b128 v[21:24], v[15:16], off
	global_load_b128 v[29:32], v[17:18], off
	s_mov_b32 s33, exec_lo
	s_waitcnt vmcnt(1)
	v_mul_f32_e32 v22, v28, v22
	v_mul_f32_e32 v21, v28, v21
	;; [unrolled: 1-line block ×4, first 2 shown]
	s_waitcnt vmcnt(0)
	s_delay_alu instid0(VALU_DEP_3) | instskip(NEXT) | instid1(VALU_DEP_2)
	v_dual_mul_f32 v26, v22, v30 :: v_dual_mul_f32 v25, v21, v29
	v_dual_mul_f32 v23, v23, v31 :: v_dual_mul_f32 v24, v24, v32
	v_add_co_u32 v21, vcc_lo, s22, v11
	s_delay_alu instid0(VALU_DEP_3) | instskip(SKIP_1) | instid1(VALU_DEP_2)
	v_max3_f32 v4, v4, |v25|, |v26|
	v_add_co_ci_u32_e32 v22, vcc_lo, s23, v12, vcc_lo
	v_max3_f32 v4, v4, |v23|, |v24|
	s_delay_alu instid0(VALU_DEP_2)
	v_cmpx_lt_i64_e64 v[21:22], v[9:10]
	s_cbranch_execz .LBB40_19
; %bb.23:                               ;   in Loop: Header=BB40_21 Depth=1
	v_add_co_u32 v15, vcc_lo, v15, s24
	v_add_co_ci_u32_e32 v16, vcc_lo, s25, v16, vcc_lo
	v_add_co_u32 v17, vcc_lo, v17, s24
	v_add_co_ci_u32_e32 v18, vcc_lo, s25, v18, vcc_lo
	v_add_co_u32 v11, vcc_lo, s28, v11
	global_load_b128 v[21:24], v[15:16], off
	global_load_b128 v[29:32], v[17:18], off
	v_add_co_ci_u32_e32 v12, vcc_lo, s17, v12, vcc_lo
	s_delay_alu instid0(VALU_DEP_1)
	v_cmp_lt_i64_e32 vcc_lo, v[11:12], v[9:10]
                                        ; implicit-def: $vgpr11_vgpr12
	s_waitcnt vmcnt(1)
	v_mul_f32_e32 v22, v28, v22
	v_mul_f32_e32 v21, v28, v21
	v_mul_f32_e32 v23, v28, v23
	v_mul_f32_e32 v24, v28, v24
	s_waitcnt vmcnt(0)
	s_delay_alu instid0(VALU_DEP_3) | instskip(NEXT) | instid1(VALU_DEP_3)
	v_dual_mul_f32 v22, v22, v30 :: v_dual_mul_f32 v21, v21, v29
	v_mul_f32_e32 v23, v23, v31
	s_delay_alu instid0(VALU_DEP_2) | instskip(SKIP_1) | instid1(VALU_DEP_1)
	v_max3_f32 v4, v4, |v21|, |v22|
	v_mul_f32_e32 v21, v24, v32
	v_max3_f32 v4, v4, |v23|, |v21|
	s_and_saveexec_b32 s34, vcc_lo
	s_delay_alu instid0(SALU_CYCLE_1)
	s_xor_b32 s34, exec_lo, s34
	s_cbranch_execz .LBB40_18
; %bb.24:                               ;   in Loop: Header=BB40_21 Depth=1
	v_add_co_u32 v11, vcc_lo, v15, s24
	v_add_co_ci_u32_e32 v12, vcc_lo, s25, v16, vcc_lo
	v_add_co_u32 v21, vcc_lo, v17, s24
	v_add_co_ci_u32_e32 v22, vcc_lo, s25, v18, vcc_lo
	s_add_u32 s3, s18, s18
	global_load_b128 v[15:18], v[11:12], off
	global_load_b128 v[21:24], v[21:22], off
	s_addc_u32 s35, s19, s19
	s_add_u32 s3, s3, s18
	s_addc_u32 s35, s35, s19
	s_waitcnt vmcnt(1)
	v_mul_f32_e32 v11, v28, v15
	v_mul_f32_e32 v12, v28, v16
	;; [unrolled: 1-line block ×3, first 2 shown]
	s_waitcnt vmcnt(0)
	s_delay_alu instid0(VALU_DEP_3) | instskip(NEXT) | instid1(VALU_DEP_3)
	v_dual_mul_f32 v16, v28, v18 :: v_dual_mul_f32 v17, v11, v21
	v_mul_f32_e32 v18, v12, v22
	v_add_co_u32 v11, vcc_lo, s3, v13
	v_mul_f32_e32 v13, v15, v23
	v_add_co_ci_u32_e32 v12, vcc_lo, s35, v14, vcc_lo
	v_mul_f32_e32 v14, v16, v24
	v_max3_f32 v4, v4, |v17|, |v18|
	v_add_co_u32 v19, s3, v19, s20
	s_delay_alu instid0(VALU_DEP_4) | instskip(SKIP_1) | instid1(VALU_DEP_4)
	v_cmp_ge_i64_e32 vcc_lo, v[11:12], v[9:10]
	v_add_co_ci_u32_e64 v20, s3, s21, v20, s3
	v_max3_f32 v4, v4, |v13|, |v14|
	s_or_not1_b32 s3, vcc_lo, exec_lo
	s_branch .LBB40_18
.LBB40_25:
	s_or_b32 exec_lo, exec_lo, s29
.LBB40_26:
	s_delay_alu instid0(SALU_CYCLE_1)
	s_or_b32 exec_lo, exec_lo, s9
	s_lshr_b32 s9, s27, 5
	v_lshlrev_b32_e32 v29, 2, v0
	v_cvt_f32_u32_e32 v9, s9
	s_sub_i32 s17, 0, s9
	s_add_i32 s20, s16, s9
	s_delay_alu instid0(SALU_CYCLE_1) | instskip(NEXT) | instid1(VALU_DEP_1)
	s_add_i32 s20, s20, -1
	v_rcp_iflag_f32_e32 v9, v9
	s_abs_i32 s21, s20
	s_ashr_i32 s20, s20, 31
	ds_store_b32 v29, v4
	s_waitcnt lgkmcnt(0)
	s_barrier
	buffer_gl0_inv
	v_mul_f32_e32 v9, 0x4f7ffffe, v9
	s_delay_alu instid0(VALU_DEP_1) | instskip(NEXT) | instid1(VALU_DEP_1)
	v_cvt_u32_f32_e32 v9, v9
	v_readfirstlane_b32 s3, v9
	s_delay_alu instid0(VALU_DEP_1) | instskip(NEXT) | instid1(SALU_CYCLE_1)
	s_mul_i32 s17, s17, s3
	s_mul_hi_u32 s17, s3, s17
	s_delay_alu instid0(SALU_CYCLE_1) | instskip(SKIP_2) | instid1(SALU_CYCLE_1)
	s_add_i32 s3, s3, s17
	s_ashr_i32 s17, s16, 31
	s_mul_hi_u32 s3, s21, s3
	s_mul_i32 s22, s3, s9
	s_delay_alu instid0(SALU_CYCLE_1)
	s_sub_i32 s21, s21, s22
	s_add_i32 s22, s3, 1
	s_sub_i32 s23, s21, s9
	s_cmp_ge_u32 s21, s9
	s_cselect_b32 s3, s22, s3
	s_cselect_b32 s21, s23, s21
	s_add_i32 s22, s3, 1
	s_cmp_ge_u32 s21, s9
	s_cselect_b32 s3, s22, s3
	s_delay_alu instid0(SALU_CYCLE_1) | instskip(NEXT) | instid1(SALU_CYCLE_1)
	s_xor_b32 s3, s3, s20
	s_sub_i32 s20, s3, s20
	s_delay_alu instid0(SALU_CYCLE_1) | instskip(NEXT) | instid1(SALU_CYCLE_1)
	s_ashr_i32 s21, s20, 31
	v_cmp_lt_i64_e64 s3, s[20:21], 1
	s_delay_alu instid0(VALU_DEP_1)
	s_and_b32 vcc_lo, exec_lo, s3
	s_cbranch_vccnz .LBB40_46
; %bb.27:
	v_lshrrev_b32_e32 v9, 5, v0
	v_and_b32_e32 v4, 31, v0
	s_mov_b64 s[22:23], 0
	s_mov_b64 s[24:25], src_shared_base
	s_delay_alu instid0(VALU_DEP_2) | instskip(NEXT) | instid1(VALU_DEP_2)
	v_mul_lo_u32 v19, s18, v9
	v_add_co_u32 v11, s3, v4, 16
	s_delay_alu instid0(VALU_DEP_1) | instskip(SKIP_1) | instid1(VALU_DEP_1)
	v_add_co_ci_u32_e64 v12, null, 0, 0, s3
	v_add_co_u32 v13, s3, v4, 8
	v_add_co_ci_u32_e64 v14, null, 0, 0, s3
	v_add_co_u32 v15, s3, v4, 4
	v_dual_mov_b32 v10, 0 :: v_dual_lshlrev_b32 v21, 2, v19
	v_lshlrev_b32_e32 v22, 2, v4
	v_add_co_ci_u32_e64 v16, null, 0, 0, s3
	v_add_co_u32 v17, s3, v4, 2
	s_delay_alu instid0(VALU_DEP_1) | instskip(SKIP_1) | instid1(VALU_DEP_1)
	v_add_co_ci_u32_e64 v18, null, 0, 0, s3
	v_add_co_u32 v19, s3, v4, 1
	v_add_co_ci_u32_e64 v20, null, 0, 0, s3
	v_add3_u32 v30, v21, v22, 0x80
	s_mul_i32 s3, s18, s9
	s_delay_alu instid0(SALU_CYCLE_1)
	s_lshl_b32 s28, s3, 2
	s_branch .LBB40_30
.LBB40_28:                              ;   in Loop: Header=BB40_30 Depth=1
	s_or_b32 exec_lo, exec_lo, s3
	v_mov_b32_e32 v22, s25
	flat_load_b32 v21, v[21:22] glc dlc
	s_waitcnt vmcnt(0)
.LBB40_29:                              ;   in Loop: Header=BB40_30 Depth=1
	s_or_b32 exec_lo, exec_lo, s24
	s_add_u32 s22, s22, 1
	v_add_nc_u32_e32 v30, s28, v30
	s_addc_u32 s23, s23, 0
	s_delay_alu instid0(SALU_CYCLE_1)
	s_cmp_eq_u64 s[22:23], s[20:21]
	s_cbranch_scc1 .LBB40_46
.LBB40_30:                              ; =>This Loop Header: Depth=1
                                        ;     Child Loop BB40_33 Depth 2
	s_waitcnt lgkmcnt(0)
	v_mad_u64_u32 v[21:22], null, s22, s9, v[9:10]
	s_mov_b32 s24, exec_lo
	s_delay_alu instid0(VALU_DEP_1) | instskip(NEXT) | instid1(VALU_DEP_1)
	v_mad_u64_u32 v[23:24], null, s23, s9, v[22:23]
	v_mov_b32_e32 v22, v23
	s_delay_alu instid0(VALU_DEP_1)
	v_cmpx_gt_i64_e64 s[16:17], v[21:22]
	s_cbranch_execz .LBB40_29
; %bb.31:                               ;   in Loop: Header=BB40_30 Depth=1
	v_mul_lo_u32 v24, v22, s18
	v_mul_lo_u32 v25, v21, s19
	v_mad_u64_u32 v[22:23], null, v21, s18, 0
	s_delay_alu instid0(VALU_DEP_1) | instskip(NEXT) | instid1(VALU_DEP_2)
	v_add3_u32 v23, v23, v25, v24
	v_add_co_u32 v24, vcc_lo, v22, s18
	v_add_co_u32 v31, s3, v22, v4
	s_delay_alu instid0(VALU_DEP_3) | instskip(SKIP_2) | instid1(VALU_DEP_2)
	v_add_co_ci_u32_e32 v25, vcc_lo, s19, v23, vcc_lo
	v_add_co_ci_u32_e64 v21, s3, 0, v23, s3
	s_mov_b32 s3, exec_lo
	v_cmp_gt_i64_e32 vcc_lo, s[12:13], v[24:25]
	v_cndmask_b32_e32 v25, s13, v25, vcc_lo
	v_cndmask_b32_e32 v24, s12, v24, vcc_lo
	v_add_co_u32 v26, vcc_lo, v31, 32
	v_add_co_ci_u32_e32 v27, vcc_lo, 0, v21, vcc_lo
	v_lshlrev_b32_e32 v21, 2, v31
	s_delay_alu instid0(VALU_DEP_2)
	v_cmpx_lt_i64_e64 v[26:27], v[24:25]
	s_cbranch_execz .LBB40_34
; %bb.32:                               ;   in Loop: Header=BB40_30 Depth=1
	ds_load_b32 v33, v21
	v_mov_b32_e32 v32, v30
	s_mov_b32 s29, 0
.LBB40_33:                              ;   Parent Loop BB40_30 Depth=1
                                        ; =>  This Inner Loop Header: Depth=2
	ds_load_b32 v34, v32
	v_add_co_u32 v26, vcc_lo, v26, 32
	v_add_co_ci_u32_e32 v27, vcc_lo, 0, v27, vcc_lo
	s_waitcnt lgkmcnt(1)
	v_dual_max_f32 v33, v33, v33 :: v_dual_add_nc_u32 v32, 0x80, v32
	s_delay_alu instid0(VALU_DEP_2) | instskip(SKIP_3) | instid1(VALU_DEP_1)
	v_cmp_ge_i64_e32 vcc_lo, v[26:27], v[24:25]
	s_or_b32 s29, vcc_lo, s29
	s_waitcnt lgkmcnt(0)
	v_max_f32_e32 v34, v34, v34
	v_max_f32_e32 v33, v33, v34
	ds_store_b32 v21, v33
	s_and_not1_b32 exec_lo, exec_lo, s29
	s_cbranch_execnz .LBB40_33
.LBB40_34:                              ;   in Loop: Header=BB40_30 Depth=1
	s_or_b32 exec_lo, exec_lo, s3
	v_sub_co_u32 v22, vcc_lo, v24, v22
	v_sub_co_ci_u32_e32 v23, vcc_lo, v25, v23, vcc_lo
	s_mov_b32 s3, exec_lo
	s_delay_alu instid0(VALU_DEP_1) | instskip(SKIP_1) | instid1(VALU_DEP_1)
	v_cmp_gt_i64_e32 vcc_lo, 32, v[22:23]
	v_dual_cndmask_b32 v24, 0, v23 :: v_dual_cndmask_b32 v23, 32, v22
	v_cmpx_lt_i64_e64 v[11:12], v[23:24]
	s_cbranch_execz .LBB40_36
; %bb.35:                               ;   in Loop: Header=BB40_30 Depth=1
	v_dual_mov_b32 v22, s25 :: v_dual_add_nc_u32 v25, 64, v21
	v_mov_b32_e32 v26, s25
	flat_load_b32 v27, v[21:22] glc dlc
	s_waitcnt vmcnt(0)
	flat_load_b32 v25, v[25:26] glc dlc
	s_waitcnt vmcnt(0) lgkmcnt(0)
	v_dual_max_f32 v26, v27, v27 :: v_dual_max_f32 v25, v25, v25
	s_delay_alu instid0(VALU_DEP_1)
	v_max_f32_e32 v25, v26, v25
	flat_store_b32 v[21:22], v25 dlc
	s_waitcnt_vscnt null, 0x0
.LBB40_36:                              ;   in Loop: Header=BB40_30 Depth=1
	s_or_b32 exec_lo, exec_lo, s3
	s_delay_alu instid0(SALU_CYCLE_1)
	s_mov_b32 s3, exec_lo
	v_cmpx_lt_i64_e64 v[13:14], v[23:24]
	s_cbranch_execz .LBB40_38
; %bb.37:                               ;   in Loop: Header=BB40_30 Depth=1
	v_dual_mov_b32 v22, s25 :: v_dual_add_nc_u32 v25, 32, v21
	v_mov_b32_e32 v26, s25
	flat_load_b32 v27, v[21:22] glc dlc
	s_waitcnt vmcnt(0)
	flat_load_b32 v25, v[25:26] glc dlc
	s_waitcnt vmcnt(0) lgkmcnt(0)
	v_dual_max_f32 v26, v27, v27 :: v_dual_max_f32 v25, v25, v25
	s_delay_alu instid0(VALU_DEP_1)
	v_max_f32_e32 v25, v26, v25
	flat_store_b32 v[21:22], v25 dlc
	s_waitcnt_vscnt null, 0x0
.LBB40_38:                              ;   in Loop: Header=BB40_30 Depth=1
	s_or_b32 exec_lo, exec_lo, s3
	s_delay_alu instid0(SALU_CYCLE_1)
	s_mov_b32 s3, exec_lo
	v_cmpx_ge_i64_e64 v[15:16], v[23:24]
	s_xor_b32 s3, exec_lo, s3
; %bb.39:                               ;   in Loop: Header=BB40_30 Depth=1
                                        ; implicit-def: $vgpr21
; %bb.40:                               ;   in Loop: Header=BB40_30 Depth=1
	s_delay_alu instid0(SALU_CYCLE_1)
	s_and_not1_saveexec_b32 s3, s3
	s_cbranch_execz .LBB40_42
; %bb.41:                               ;   in Loop: Header=BB40_30 Depth=1
	v_dual_mov_b32 v22, s25 :: v_dual_add_nc_u32 v25, 16, v21
	v_mov_b32_e32 v26, s25
	flat_load_b32 v27, v[21:22] glc dlc
	s_waitcnt vmcnt(0)
	flat_load_b32 v25, v[25:26] glc dlc
	s_waitcnt vmcnt(0) lgkmcnt(0)
	v_dual_max_f32 v26, v27, v27 :: v_dual_max_f32 v25, v25, v25
	s_delay_alu instid0(VALU_DEP_1)
	v_max_f32_e32 v25, v26, v25
	flat_store_b32 v[21:22], v25 dlc
	s_waitcnt_vscnt null, 0x0
.LBB40_42:                              ;   in Loop: Header=BB40_30 Depth=1
	s_or_b32 exec_lo, exec_lo, s3
	v_lshlrev_b32_e32 v21, 2, v31
	s_mov_b32 s3, exec_lo
	v_cmpx_lt_i64_e64 v[17:18], v[23:24]
	s_cbranch_execz .LBB40_44
; %bb.43:                               ;   in Loop: Header=BB40_30 Depth=1
	s_delay_alu instid0(VALU_DEP_2)
	v_dual_mov_b32 v22, s25 :: v_dual_add_nc_u32 v25, 8, v21
	v_mov_b32_e32 v26, s25
	flat_load_b32 v27, v[21:22] glc dlc
	s_waitcnt vmcnt(0)
	flat_load_b32 v25, v[25:26] glc dlc
	s_waitcnt vmcnt(0) lgkmcnt(0)
	v_dual_max_f32 v26, v27, v27 :: v_dual_max_f32 v25, v25, v25
	s_delay_alu instid0(VALU_DEP_1)
	v_max_f32_e32 v25, v26, v25
	flat_store_b32 v[21:22], v25 dlc
	s_waitcnt_vscnt null, 0x0
.LBB40_44:                              ;   in Loop: Header=BB40_30 Depth=1
	s_or_b32 exec_lo, exec_lo, s3
	s_delay_alu instid0(SALU_CYCLE_1)
	s_mov_b32 s3, exec_lo
	v_cmpx_lt_i64_e64 v[19:20], v[23:24]
	s_cbranch_execz .LBB40_28
; %bb.45:                               ;   in Loop: Header=BB40_30 Depth=1
	v_dual_mov_b32 v22, s25 :: v_dual_add_nc_u32 v23, 4, v21
	v_mov_b32_e32 v24, s25
	flat_load_b32 v25, v[21:22] glc dlc
	s_waitcnt vmcnt(0)
	flat_load_b32 v23, v[23:24] glc dlc
	s_waitcnt vmcnt(0) lgkmcnt(0)
	v_dual_max_f32 v24, v25, v25 :: v_dual_max_f32 v23, v23, v23
	s_delay_alu instid0(VALU_DEP_1)
	v_max_f32_e32 v23, v24, v23
	flat_store_b32 v[21:22], v23 dlc
	s_waitcnt_vscnt null, 0x0
	s_branch .LBB40_28
.LBB40_46:
	v_cmp_lt_i64_e32 vcc_lo, v[7:8], v[5:6]
	v_cmp_eq_u32_e64 s3, 0, v3
	s_mul_i32 s9, s17, s15
	s_mul_hi_u32 s18, s16, s15
	s_mul_i32 s16, s16, s15
	s_waitcnt lgkmcnt(0)
	s_and_b32 s17, s3, vcc_lo
	s_barrier
	buffer_gl0_inv
	s_and_saveexec_b32 s3, s17
	s_cbranch_execz .LBB40_50
; %bb.47:
	s_load_b64 s[0:1], s[0:1], 0x20
	ds_load_b32 v3, v29
	s_waitcnt lgkmcnt(0)
	s_cmp_eq_u64 s[0:1], 0
	s_cbranch_scc1 .LBB40_49
; %bb.48:
	s_load_b32 s0, s[0:1], 0x0
	v_max_f32_e32 v3, v3, v3
	s_waitcnt lgkmcnt(0)
	v_max_f32_e64 v4, s0, s0
	s_delay_alu instid0(VALU_DEP_1)
	v_min_f32_e32 v3, v3, v4
.LBB40_49:
	s_delay_alu instid0(VALU_DEP_1) | instskip(SKIP_2) | instid1(VALU_DEP_2)
	v_div_scale_f32 v4, null, 0x43600000, 0x43600000, v3
	v_div_scale_f32 v7, vcc_lo, v3, 0x43600000, v3
	s_add_i32 s17, s18, s9
	v_rcp_f32_e32 v5, v4
	v_lshlrev_b64 v[1:2], 2, v[1:2]
	s_lshl_b64 s[0:1], s[16:17], 2
	s_delay_alu instid0(SALU_CYCLE_1) | instskip(SKIP_3) | instid1(VALU_DEP_1)
	s_add_u32 s0, s6, s0
	s_addc_u32 s1, s7, s1
	s_waitcnt_depctr 0xfff
	v_fma_f32 v6, -v4, v5, 1.0
	v_fmac_f32_e32 v5, v6, v5
	s_delay_alu instid0(VALU_DEP_1) | instskip(NEXT) | instid1(VALU_DEP_1)
	v_mul_f32_e32 v6, v7, v5
	v_fma_f32 v8, -v4, v6, v7
	s_delay_alu instid0(VALU_DEP_1) | instskip(NEXT) | instid1(VALU_DEP_1)
	v_fmac_f32_e32 v6, v8, v5
	v_fma_f32 v4, -v4, v6, v7
	s_delay_alu instid0(VALU_DEP_1) | instskip(SKIP_2) | instid1(VALU_DEP_3)
	v_div_fmas_f32 v4, v4, v5, v6
	v_add_co_u32 v1, vcc_lo, s0, v1
	v_add_co_ci_u32_e32 v2, vcc_lo, s1, v2, vcc_lo
	v_div_fixup_f32 v3, v4, 0x43600000, v3
	s_delay_alu instid0(VALU_DEP_1)
	v_max_f32_e32 v3, 0x37124925, v3
	global_store_b32 v[1:2], v3, off
.LBB40_50:
	s_or_b32 exec_lo, exec_lo, s3
	s_waitcnt_vscnt null, 0x0
	s_barrier
	buffer_gl0_inv
	s_and_saveexec_b32 s0, s2
	s_cbranch_execz .LBB40_187
; %bb.51:
	s_mul_i32 s0, s13, s15
	s_mul_hi_u32 s1, s12, s15
	s_mul_i32 s2, s12, s15
	s_add_i32 s1, s1, s0
	s_add_u32 s2, s4, s2
	s_addc_u32 s3, s5, s1
	s_add_i32 s17, s18, s9
	v_mov_b32_e32 v1, 0
	s_lshl_b64 s[0:1], s[16:17], 2
	s_mul_i32 s4, s27, 3
	s_add_u32 s0, s6, s0
	s_addc_u32 s1, s7, s1
	s_lshl_b32 s5, s27, 1
	s_mov_b32 s6, 0
	s_mov_b32 s7, 0x43600000
	s_branch .LBB40_57
.LBB40_52:                              ;   in Loop: Header=BB40_57 Depth=1
	s_or_b32 exec_lo, exec_lo, s17
.LBB40_53:                              ;   in Loop: Header=BB40_57 Depth=1
	s_delay_alu instid0(SALU_CYCLE_1)
	s_or_b32 exec_lo, exec_lo, s15
	v_lshlrev_b32_e32 v7, 16, v4
	v_lshlrev_b64 v[4:5], 2, v[0:1]
	v_lshlrev_b32_e32 v6, 8, v6
	s_add_i32 s15, s27, s27
	v_and_b32_e32 v8, 0xff, v2
	v_add3_u32 v0, s15, s27, v10
	v_perm_b32 v7, v3, v7, 0x4020c0c
	v_and_b32_e32 v6, 0xff00, v6
	v_add_co_u32 v2, vcc_lo, s2, v4
	v_add_co_ci_u32_e32 v3, vcc_lo, s3, v5, vcc_lo
	v_cmp_le_u32_e32 vcc_lo, s8, v0
	s_delay_alu instid0(VALU_DEP_4)
	v_or3_b32 v4, v7, v6, v8
	s_or_not1_b32 s15, vcc_lo, exec_lo
	global_store_b32 v[2:3], v4, off
.LBB40_54:                              ;   in Loop: Header=BB40_57 Depth=1
	s_or_b32 exec_lo, exec_lo, s13
	s_delay_alu instid0(SALU_CYCLE_1)
	s_or_not1_b32 s13, s15, exec_lo
.LBB40_55:                              ;   in Loop: Header=BB40_57 Depth=1
	s_or_b32 exec_lo, exec_lo, s12
	s_delay_alu instid0(SALU_CYCLE_1)
	s_or_not1_b32 s12, s13, exec_lo
.LBB40_56:                              ;   in Loop: Header=BB40_57 Depth=1
	s_or_b32 exec_lo, exec_lo, s9
	s_delay_alu instid0(SALU_CYCLE_1) | instskip(NEXT) | instid1(SALU_CYCLE_1)
	s_and_b32 s9, exec_lo, s12
	s_or_b32 s6, s9, s6
	s_delay_alu instid0(SALU_CYCLE_1)
	s_and_not1_b32 exec_lo, exec_lo, s6
	s_cbranch_execz .LBB40_187
.LBB40_57:                              ; =>This Inner Loop Header: Depth=1
	v_lshlrev_b64 v[2:3], 4, v[0:1]
	v_lshrrev_b32_e32 v8, 2, v0
	s_mov_b32 s9, exec_lo
	s_delay_alu instid0(VALU_DEP_1) | instskip(NEXT) | instid1(VALU_DEP_3)
	v_and_b32_e32 v10, 0xffffffc, v8
	v_add_co_u32 v4, vcc_lo, s14, v2
	s_delay_alu instid0(VALU_DEP_4)
	v_add_co_ci_u32_e32 v5, vcc_lo, s26, v3, vcc_lo
	v_add_co_u32 v6, vcc_lo, s10, v2
	v_add_co_ci_u32_e32 v7, vcc_lo, s11, v3, vcc_lo
	global_load_b128 v[2:5], v[4:5], off
	global_load_b128 v[6:9], v[6:7], off
	global_load_b32 v10, v10, s[0:1]
	s_waitcnt vmcnt(2)
	v_mul_f32_e32 v2, v28, v2
	s_waitcnt vmcnt(1)
	s_delay_alu instid0(VALU_DEP_1) | instskip(SKIP_1) | instid1(VALU_DEP_1)
	v_mul_f32_e32 v2, v2, v6
	s_waitcnt vmcnt(0)
	v_div_scale_f32 v6, null, v10, v10, v2
	v_div_scale_f32 v13, vcc_lo, v2, v10, v2
	s_delay_alu instid0(VALU_DEP_2) | instskip(SKIP_2) | instid1(VALU_DEP_1)
	v_rcp_f32_e32 v11, v6
	s_waitcnt_depctr 0xfff
	v_fma_f32 v12, -v6, v11, 1.0
	v_fmac_f32_e32 v11, v12, v11
	s_delay_alu instid0(VALU_DEP_1) | instskip(NEXT) | instid1(VALU_DEP_1)
	v_mul_f32_e32 v12, v13, v11
	v_fma_f32 v14, -v6, v12, v13
	s_delay_alu instid0(VALU_DEP_1) | instskip(NEXT) | instid1(VALU_DEP_1)
	v_fmac_f32_e32 v12, v14, v11
	v_fma_f32 v6, -v6, v12, v13
	s_delay_alu instid0(VALU_DEP_1) | instskip(NEXT) | instid1(VALU_DEP_1)
	v_div_fmas_f32 v6, v6, v11, v12
	v_div_fixup_f32 v2, v6, v10, v2
	v_mov_b32_e32 v6, 0x80
	s_delay_alu instid0(VALU_DEP_2) | instskip(SKIP_1) | instid1(VALU_DEP_2)
	v_minmax_f32 v11, v2, s7, 0xc3600000
	v_mov_b32_e32 v2, 0x80
	v_and_b32_e32 v12, 0x7fffffff, v11
	s_delay_alu instid0(VALU_DEP_1)
	v_cmpx_gt_u32_e32 0x43800000, v12
	s_cbranch_execz .LBB40_63
; %bb.58:                               ;   in Loop: Header=BB40_57 Depth=1
	v_cmp_lt_u32_e32 vcc_lo, 0x3bffffff, v12
	s_mov_b32 s12, 0
                                        ; implicit-def: $vgpr12
	s_and_saveexec_b32 s13, vcc_lo
	s_delay_alu instid0(SALU_CYCLE_1)
	s_xor_b32 s13, exec_lo, s13
	s_cbranch_execnz .LBB40_154
; %bb.59:                               ;   in Loop: Header=BB40_57 Depth=1
	s_or_saveexec_b32 s13, s13
                                        ; implicit-def: $sgpr15
	s_delay_alu instid0(SALU_CYCLE_1)
	s_xor_b32 exec_lo, exec_lo, s13
	s_cbranch_execnz .LBB40_155
.LBB40_60:                              ;   in Loop: Header=BB40_57 Depth=1
	s_or_b32 exec_lo, exec_lo, s13
	v_mov_b32_e32 v6, s15
	s_and_saveexec_b32 s13, s12
.LBB40_61:                              ;   in Loop: Header=BB40_57 Depth=1
	v_lshrrev_b32_e32 v6, 24, v11
	s_delay_alu instid0(VALU_DEP_1)
	v_and_or_b32 v6, 0x80, v6, v12
.LBB40_62:                              ;   in Loop: Header=BB40_57 Depth=1
	s_or_b32 exec_lo, exec_lo, s13
.LBB40_63:                              ;   in Loop: Header=BB40_57 Depth=1
	s_delay_alu instid0(SALU_CYCLE_1) | instskip(SKIP_2) | instid1(VALU_DEP_1)
	s_or_b32 exec_lo, exec_lo, s9
	v_mul_f32_e32 v3, v28, v3
	s_mov_b32 s9, exec_lo
	v_mul_f32_e32 v3, v3, v7
	s_delay_alu instid0(VALU_DEP_1) | instskip(NEXT) | instid1(VALU_DEP_1)
	v_div_scale_f32 v7, null, v10, v10, v3
	v_rcp_f32_e32 v11, v7
	s_waitcnt_depctr 0xfff
	v_fma_f32 v12, -v7, v11, 1.0
	s_delay_alu instid0(VALU_DEP_1) | instskip(SKIP_1) | instid1(VALU_DEP_1)
	v_fmac_f32_e32 v11, v12, v11
	v_div_scale_f32 v12, vcc_lo, v3, v10, v3
	v_mul_f32_e32 v13, v12, v11
	s_delay_alu instid0(VALU_DEP_1) | instskip(NEXT) | instid1(VALU_DEP_1)
	v_fma_f32 v14, -v7, v13, v12
	v_fmac_f32_e32 v13, v14, v11
	s_delay_alu instid0(VALU_DEP_1) | instskip(NEXT) | instid1(VALU_DEP_1)
	v_fma_f32 v7, -v7, v13, v12
	v_div_fmas_f32 v7, v7, v11, v13
	s_delay_alu instid0(VALU_DEP_1) | instskip(NEXT) | instid1(VALU_DEP_1)
	v_div_fixup_f32 v3, v7, v10, v3
	v_minmax_f32 v3, v3, s7, 0xc3600000
	s_delay_alu instid0(VALU_DEP_1) | instskip(NEXT) | instid1(VALU_DEP_1)
	v_and_b32_e32 v7, 0x7fffffff, v3
	v_cmpx_gt_u32_e32 0x43800000, v7
	s_cbranch_execz .LBB40_69
; %bb.64:                               ;   in Loop: Header=BB40_57 Depth=1
	v_cmp_lt_u32_e32 vcc_lo, 0x3bffffff, v7
	s_mov_b32 s12, 0
                                        ; implicit-def: $vgpr7
	s_and_saveexec_b32 s13, vcc_lo
	s_delay_alu instid0(SALU_CYCLE_1)
	s_xor_b32 s13, exec_lo, s13
	s_cbranch_execnz .LBB40_156
; %bb.65:                               ;   in Loop: Header=BB40_57 Depth=1
	s_or_saveexec_b32 s13, s13
                                        ; implicit-def: $sgpr15
	s_delay_alu instid0(SALU_CYCLE_1)
	s_xor_b32 exec_lo, exec_lo, s13
	s_cbranch_execnz .LBB40_157
.LBB40_66:                              ;   in Loop: Header=BB40_57 Depth=1
	s_or_b32 exec_lo, exec_lo, s13
	v_mov_b32_e32 v2, s15
	s_and_saveexec_b32 s13, s12
.LBB40_67:                              ;   in Loop: Header=BB40_57 Depth=1
	v_lshrrev_b32_e32 v2, 24, v3
	s_delay_alu instid0(VALU_DEP_1)
	v_and_or_b32 v2, 0x80, v2, v7
.LBB40_68:                              ;   in Loop: Header=BB40_57 Depth=1
	s_or_b32 exec_lo, exec_lo, s13
.LBB40_69:                              ;   in Loop: Header=BB40_57 Depth=1
	s_delay_alu instid0(SALU_CYCLE_1) | instskip(SKIP_2) | instid1(VALU_DEP_1)
	s_or_b32 exec_lo, exec_lo, s9
	v_mul_f32_e32 v3, v28, v4
	s_mov_b32 s9, exec_lo
	v_mul_f32_e32 v3, v3, v8
	s_delay_alu instid0(VALU_DEP_1) | instskip(SKIP_1) | instid1(VALU_DEP_2)
	v_div_scale_f32 v4, null, v10, v10, v3
	v_div_scale_f32 v11, vcc_lo, v3, v10, v3
	v_rcp_f32_e32 v7, v4
	s_waitcnt_depctr 0xfff
	v_fma_f32 v8, -v4, v7, 1.0
	s_delay_alu instid0(VALU_DEP_1) | instskip(NEXT) | instid1(VALU_DEP_1)
	v_fmac_f32_e32 v7, v8, v7
	v_mul_f32_e32 v8, v11, v7
	s_delay_alu instid0(VALU_DEP_1) | instskip(NEXT) | instid1(VALU_DEP_1)
	v_fma_f32 v12, -v4, v8, v11
	v_fmac_f32_e32 v8, v12, v7
	s_delay_alu instid0(VALU_DEP_1) | instskip(NEXT) | instid1(VALU_DEP_1)
	v_fma_f32 v4, -v4, v8, v11
	v_div_fmas_f32 v4, v4, v7, v8
	s_delay_alu instid0(VALU_DEP_1) | instskip(SKIP_1) | instid1(VALU_DEP_2)
	v_div_fixup_f32 v3, v4, v10, v3
	v_mov_b32_e32 v4, 0x80
	v_minmax_f32 v7, v3, s7, 0xc3600000
	v_mov_b32_e32 v3, 0x80
	s_delay_alu instid0(VALU_DEP_2) | instskip(NEXT) | instid1(VALU_DEP_1)
	v_and_b32_e32 v8, 0x7fffffff, v7
	v_cmpx_gt_u32_e32 0x43800000, v8
	s_cbranch_execz .LBB40_75
; %bb.70:                               ;   in Loop: Header=BB40_57 Depth=1
	v_cmp_lt_u32_e32 vcc_lo, 0x3bffffff, v8
	s_mov_b32 s12, 0
                                        ; implicit-def: $vgpr8
	s_and_saveexec_b32 s13, vcc_lo
	s_delay_alu instid0(SALU_CYCLE_1)
	s_xor_b32 s13, exec_lo, s13
	s_cbranch_execnz .LBB40_158
; %bb.71:                               ;   in Loop: Header=BB40_57 Depth=1
	s_or_saveexec_b32 s13, s13
                                        ; implicit-def: $sgpr15
	s_delay_alu instid0(SALU_CYCLE_1)
	s_xor_b32 exec_lo, exec_lo, s13
	s_cbranch_execnz .LBB40_159
.LBB40_72:                              ;   in Loop: Header=BB40_57 Depth=1
	s_or_b32 exec_lo, exec_lo, s13
	v_mov_b32_e32 v4, s15
	s_and_saveexec_b32 s13, s12
.LBB40_73:                              ;   in Loop: Header=BB40_57 Depth=1
	v_lshrrev_b32_e32 v4, 24, v7
	s_delay_alu instid0(VALU_DEP_1)
	v_and_or_b32 v4, 0x80, v4, v8
.LBB40_74:                              ;   in Loop: Header=BB40_57 Depth=1
	s_or_b32 exec_lo, exec_lo, s13
.LBB40_75:                              ;   in Loop: Header=BB40_57 Depth=1
	s_delay_alu instid0(SALU_CYCLE_1) | instskip(SKIP_2) | instid1(VALU_DEP_1)
	s_or_b32 exec_lo, exec_lo, s9
	v_mul_f32_e32 v5, v28, v5
	s_mov_b32 s9, exec_lo
	v_mul_f32_e32 v5, v5, v9
	s_delay_alu instid0(VALU_DEP_1) | instskip(NEXT) | instid1(VALU_DEP_1)
	v_div_scale_f32 v7, null, v10, v10, v5
	v_rcp_f32_e32 v8, v7
	s_waitcnt_depctr 0xfff
	v_fma_f32 v9, -v7, v8, 1.0
	s_delay_alu instid0(VALU_DEP_1) | instskip(SKIP_1) | instid1(VALU_DEP_1)
	v_fmac_f32_e32 v8, v9, v8
	v_div_scale_f32 v9, vcc_lo, v5, v10, v5
	v_mul_f32_e32 v11, v9, v8
	s_delay_alu instid0(VALU_DEP_1) | instskip(NEXT) | instid1(VALU_DEP_1)
	v_fma_f32 v12, -v7, v11, v9
	v_fmac_f32_e32 v11, v12, v8
	s_delay_alu instid0(VALU_DEP_1) | instskip(NEXT) | instid1(VALU_DEP_1)
	v_fma_f32 v7, -v7, v11, v9
	v_div_fmas_f32 v7, v7, v8, v11
	s_delay_alu instid0(VALU_DEP_1) | instskip(NEXT) | instid1(VALU_DEP_1)
	v_div_fixup_f32 v5, v7, v10, v5
	v_minmax_f32 v5, v5, s7, 0xc3600000
	s_delay_alu instid0(VALU_DEP_1) | instskip(NEXT) | instid1(VALU_DEP_1)
	v_and_b32_e32 v7, 0x7fffffff, v5
	v_cmpx_gt_u32_e32 0x43800000, v7
	s_cbranch_execz .LBB40_81
; %bb.76:                               ;   in Loop: Header=BB40_57 Depth=1
	v_cmp_lt_u32_e32 vcc_lo, 0x3bffffff, v7
	s_mov_b32 s12, 0
                                        ; implicit-def: $vgpr7
	s_and_saveexec_b32 s13, vcc_lo
	s_delay_alu instid0(SALU_CYCLE_1)
	s_xor_b32 s13, exec_lo, s13
	s_cbranch_execnz .LBB40_160
; %bb.77:                               ;   in Loop: Header=BB40_57 Depth=1
	s_or_saveexec_b32 s13, s13
                                        ; implicit-def: $sgpr15
	s_delay_alu instid0(SALU_CYCLE_1)
	s_xor_b32 exec_lo, exec_lo, s13
	s_cbranch_execnz .LBB40_161
.LBB40_78:                              ;   in Loop: Header=BB40_57 Depth=1
	s_or_b32 exec_lo, exec_lo, s13
	v_mov_b32_e32 v3, s15
	s_and_saveexec_b32 s13, s12
.LBB40_79:                              ;   in Loop: Header=BB40_57 Depth=1
	v_lshrrev_b32_e32 v3, 24, v5
	s_delay_alu instid0(VALU_DEP_1)
	v_and_or_b32 v3, 0x80, v3, v7
.LBB40_80:                              ;   in Loop: Header=BB40_57 Depth=1
	s_or_b32 exec_lo, exec_lo, s13
.LBB40_81:                              ;   in Loop: Header=BB40_57 Depth=1
	s_delay_alu instid0(SALU_CYCLE_1)
	s_or_b32 exec_lo, exec_lo, s9
	v_lshlrev_b32_e32 v7, 16, v4
	v_lshlrev_b32_e32 v2, 8, v2
	v_lshlrev_b64 v[4:5], 2, v[0:1]
	v_and_b32_e32 v6, 0xff, v6
	v_add_nc_u32_e32 v10, s27, v0
	v_perm_b32 v7, v3, v7, 0x4020c0c
	v_and_b32_e32 v8, 0xff00, v2
	s_mov_b32 s12, -1
	v_add_co_u32 v2, vcc_lo, s2, v4
	v_add_co_ci_u32_e32 v3, vcc_lo, s3, v5, vcc_lo
	s_delay_alu instid0(VALU_DEP_3)
	v_or3_b32 v4, v7, v8, v6
	s_mov_b32 s9, exec_lo
	global_store_b32 v[2:3], v4, off
	v_cmpx_gt_u32_e64 s8, v10
	s_cbranch_execz .LBB40_56
; %bb.82:                               ;   in Loop: Header=BB40_57 Depth=1
	v_lshrrev_b32_e32 v8, 2, v10
	v_mov_b32_e32 v11, v1
	s_mov_b32 s12, exec_lo
	s_delay_alu instid0(VALU_DEP_2) | instskip(NEXT) | instid1(VALU_DEP_2)
	v_and_b32_e32 v12, 0xffffffc, v8
	v_lshlrev_b64 v[2:3], 4, v[10:11]
	s_delay_alu instid0(VALU_DEP_1) | instskip(NEXT) | instid1(VALU_DEP_2)
	v_add_co_u32 v4, vcc_lo, s14, v2
	v_add_co_ci_u32_e32 v5, vcc_lo, s26, v3, vcc_lo
	v_add_co_u32 v6, vcc_lo, s10, v2
	v_add_co_ci_u32_e32 v7, vcc_lo, s11, v3, vcc_lo
	global_load_b128 v[2:5], v[4:5], off
	global_load_b128 v[6:9], v[6:7], off
	global_load_b32 v12, v12, s[0:1]
	s_waitcnt vmcnt(2)
	v_mul_f32_e32 v2, v28, v2
	s_waitcnt vmcnt(1)
	s_delay_alu instid0(VALU_DEP_1) | instskip(SKIP_1) | instid1(VALU_DEP_1)
	v_mul_f32_e32 v2, v2, v6
	s_waitcnt vmcnt(0)
	v_div_scale_f32 v6, null, v12, v12, v2
	v_div_scale_f32 v15, vcc_lo, v2, v12, v2
	s_delay_alu instid0(VALU_DEP_2) | instskip(SKIP_2) | instid1(VALU_DEP_1)
	v_rcp_f32_e32 v13, v6
	s_waitcnt_depctr 0xfff
	v_fma_f32 v14, -v6, v13, 1.0
	v_fmac_f32_e32 v13, v14, v13
	s_delay_alu instid0(VALU_DEP_1) | instskip(NEXT) | instid1(VALU_DEP_1)
	v_mul_f32_e32 v14, v15, v13
	v_fma_f32 v16, -v6, v14, v15
	s_delay_alu instid0(VALU_DEP_1) | instskip(NEXT) | instid1(VALU_DEP_1)
	v_fmac_f32_e32 v14, v16, v13
	v_fma_f32 v6, -v6, v14, v15
	s_delay_alu instid0(VALU_DEP_1) | instskip(NEXT) | instid1(VALU_DEP_1)
	v_div_fmas_f32 v6, v6, v13, v14
	v_div_fixup_f32 v2, v6, v12, v2
	v_mov_b32_e32 v6, 0x80
	s_delay_alu instid0(VALU_DEP_2) | instskip(SKIP_1) | instid1(VALU_DEP_2)
	v_minmax_f32 v13, v2, s7, 0xc3600000
	v_mov_b32_e32 v2, 0x80
	v_and_b32_e32 v14, 0x7fffffff, v13
	s_delay_alu instid0(VALU_DEP_1)
	v_cmpx_gt_u32_e32 0x43800000, v14
	s_cbranch_execz .LBB40_88
; %bb.83:                               ;   in Loop: Header=BB40_57 Depth=1
	v_cmp_lt_u32_e32 vcc_lo, 0x3bffffff, v14
	s_mov_b32 s13, 0
                                        ; implicit-def: $vgpr14
	s_and_saveexec_b32 s15, vcc_lo
	s_delay_alu instid0(SALU_CYCLE_1)
	s_xor_b32 s15, exec_lo, s15
	s_cbranch_execnz .LBB40_162
; %bb.84:                               ;   in Loop: Header=BB40_57 Depth=1
	s_or_saveexec_b32 s15, s15
                                        ; implicit-def: $sgpr16
	s_delay_alu instid0(SALU_CYCLE_1)
	s_xor_b32 exec_lo, exec_lo, s15
	s_cbranch_execnz .LBB40_163
.LBB40_85:                              ;   in Loop: Header=BB40_57 Depth=1
	s_or_b32 exec_lo, exec_lo, s15
	v_mov_b32_e32 v2, s16
	s_and_saveexec_b32 s15, s13
.LBB40_86:                              ;   in Loop: Header=BB40_57 Depth=1
	v_lshrrev_b32_e32 v2, 24, v13
	s_delay_alu instid0(VALU_DEP_1)
	v_and_or_b32 v2, 0x80, v2, v14
.LBB40_87:                              ;   in Loop: Header=BB40_57 Depth=1
	s_or_b32 exec_lo, exec_lo, s15
.LBB40_88:                              ;   in Loop: Header=BB40_57 Depth=1
	s_delay_alu instid0(SALU_CYCLE_1) | instskip(SKIP_2) | instid1(VALU_DEP_1)
	s_or_b32 exec_lo, exec_lo, s12
	v_mul_f32_e32 v3, v28, v3
	s_mov_b32 s12, exec_lo
	v_mul_f32_e32 v3, v3, v7
	s_delay_alu instid0(VALU_DEP_1) | instskip(NEXT) | instid1(VALU_DEP_1)
	v_div_scale_f32 v7, null, v12, v12, v3
	v_rcp_f32_e32 v13, v7
	s_waitcnt_depctr 0xfff
	v_fma_f32 v14, -v7, v13, 1.0
	s_delay_alu instid0(VALU_DEP_1) | instskip(SKIP_1) | instid1(VALU_DEP_1)
	v_fmac_f32_e32 v13, v14, v13
	v_div_scale_f32 v14, vcc_lo, v3, v12, v3
	v_mul_f32_e32 v15, v14, v13
	s_delay_alu instid0(VALU_DEP_1) | instskip(NEXT) | instid1(VALU_DEP_1)
	v_fma_f32 v16, -v7, v15, v14
	v_fmac_f32_e32 v15, v16, v13
	s_delay_alu instid0(VALU_DEP_1) | instskip(NEXT) | instid1(VALU_DEP_1)
	v_fma_f32 v7, -v7, v15, v14
	v_div_fmas_f32 v7, v7, v13, v15
	s_delay_alu instid0(VALU_DEP_1) | instskip(NEXT) | instid1(VALU_DEP_1)
	v_div_fixup_f32 v3, v7, v12, v3
	v_minmax_f32 v3, v3, s7, 0xc3600000
	s_delay_alu instid0(VALU_DEP_1) | instskip(NEXT) | instid1(VALU_DEP_1)
	v_and_b32_e32 v7, 0x7fffffff, v3
	v_cmpx_gt_u32_e32 0x43800000, v7
	s_cbranch_execz .LBB40_94
; %bb.89:                               ;   in Loop: Header=BB40_57 Depth=1
	v_cmp_lt_u32_e32 vcc_lo, 0x3bffffff, v7
	s_mov_b32 s13, 0
                                        ; implicit-def: $vgpr7
	s_and_saveexec_b32 s15, vcc_lo
	s_delay_alu instid0(SALU_CYCLE_1)
	s_xor_b32 s15, exec_lo, s15
	s_cbranch_execnz .LBB40_164
; %bb.90:                               ;   in Loop: Header=BB40_57 Depth=1
	s_or_saveexec_b32 s15, s15
                                        ; implicit-def: $sgpr16
	s_delay_alu instid0(SALU_CYCLE_1)
	s_xor_b32 exec_lo, exec_lo, s15
	s_cbranch_execnz .LBB40_165
.LBB40_91:                              ;   in Loop: Header=BB40_57 Depth=1
	s_or_b32 exec_lo, exec_lo, s15
	v_mov_b32_e32 v6, s16
	s_and_saveexec_b32 s15, s13
.LBB40_92:                              ;   in Loop: Header=BB40_57 Depth=1
	v_lshrrev_b32_e32 v3, 24, v3
	s_delay_alu instid0(VALU_DEP_1)
	v_and_or_b32 v6, 0x80, v3, v7
.LBB40_93:                              ;   in Loop: Header=BB40_57 Depth=1
	s_or_b32 exec_lo, exec_lo, s15
.LBB40_94:                              ;   in Loop: Header=BB40_57 Depth=1
	s_delay_alu instid0(SALU_CYCLE_1) | instskip(SKIP_2) | instid1(VALU_DEP_1)
	s_or_b32 exec_lo, exec_lo, s12
	v_mul_f32_e32 v3, v28, v4
	s_mov_b32 s12, exec_lo
	v_mul_f32_e32 v3, v3, v8
	s_delay_alu instid0(VALU_DEP_1) | instskip(SKIP_1) | instid1(VALU_DEP_2)
	v_div_scale_f32 v4, null, v12, v12, v3
	v_div_scale_f32 v13, vcc_lo, v3, v12, v3
	v_rcp_f32_e32 v7, v4
	s_waitcnt_depctr 0xfff
	v_fma_f32 v8, -v4, v7, 1.0
	s_delay_alu instid0(VALU_DEP_1) | instskip(NEXT) | instid1(VALU_DEP_1)
	v_fmac_f32_e32 v7, v8, v7
	v_mul_f32_e32 v8, v13, v7
	s_delay_alu instid0(VALU_DEP_1) | instskip(NEXT) | instid1(VALU_DEP_1)
	v_fma_f32 v14, -v4, v8, v13
	v_fmac_f32_e32 v8, v14, v7
	s_delay_alu instid0(VALU_DEP_1) | instskip(NEXT) | instid1(VALU_DEP_1)
	v_fma_f32 v4, -v4, v8, v13
	v_div_fmas_f32 v4, v4, v7, v8
	s_delay_alu instid0(VALU_DEP_1) | instskip(SKIP_1) | instid1(VALU_DEP_2)
	v_div_fixup_f32 v3, v4, v12, v3
	v_mov_b32_e32 v4, 0x80
	v_minmax_f32 v7, v3, s7, 0xc3600000
	v_mov_b32_e32 v3, 0x80
	s_delay_alu instid0(VALU_DEP_2) | instskip(NEXT) | instid1(VALU_DEP_1)
	v_and_b32_e32 v8, 0x7fffffff, v7
	v_cmpx_gt_u32_e32 0x43800000, v8
	s_cbranch_execz .LBB40_100
; %bb.95:                               ;   in Loop: Header=BB40_57 Depth=1
	v_cmp_lt_u32_e32 vcc_lo, 0x3bffffff, v8
	s_mov_b32 s13, 0
                                        ; implicit-def: $vgpr8
	s_and_saveexec_b32 s15, vcc_lo
	s_delay_alu instid0(SALU_CYCLE_1)
	s_xor_b32 s15, exec_lo, s15
	s_cbranch_execnz .LBB40_166
; %bb.96:                               ;   in Loop: Header=BB40_57 Depth=1
	s_or_saveexec_b32 s15, s15
                                        ; implicit-def: $sgpr16
	s_delay_alu instid0(SALU_CYCLE_1)
	s_xor_b32 exec_lo, exec_lo, s15
	s_cbranch_execnz .LBB40_167
.LBB40_97:                              ;   in Loop: Header=BB40_57 Depth=1
	s_or_b32 exec_lo, exec_lo, s15
	v_mov_b32_e32 v4, s16
	s_and_saveexec_b32 s15, s13
.LBB40_98:                              ;   in Loop: Header=BB40_57 Depth=1
	v_lshrrev_b32_e32 v4, 24, v7
	s_delay_alu instid0(VALU_DEP_1)
	v_and_or_b32 v4, 0x80, v4, v8
.LBB40_99:                              ;   in Loop: Header=BB40_57 Depth=1
	s_or_b32 exec_lo, exec_lo, s15
.LBB40_100:                             ;   in Loop: Header=BB40_57 Depth=1
	s_delay_alu instid0(SALU_CYCLE_1) | instskip(SKIP_2) | instid1(VALU_DEP_1)
	s_or_b32 exec_lo, exec_lo, s12
	v_mul_f32_e32 v5, v28, v5
	s_mov_b32 s12, exec_lo
	v_mul_f32_e32 v5, v5, v9
	s_delay_alu instid0(VALU_DEP_1) | instskip(NEXT) | instid1(VALU_DEP_1)
	v_div_scale_f32 v7, null, v12, v12, v5
	v_rcp_f32_e32 v8, v7
	s_waitcnt_depctr 0xfff
	v_fma_f32 v9, -v7, v8, 1.0
	s_delay_alu instid0(VALU_DEP_1) | instskip(SKIP_1) | instid1(VALU_DEP_1)
	v_fmac_f32_e32 v8, v9, v8
	v_div_scale_f32 v9, vcc_lo, v5, v12, v5
	v_mul_f32_e32 v13, v9, v8
	s_delay_alu instid0(VALU_DEP_1) | instskip(NEXT) | instid1(VALU_DEP_1)
	v_fma_f32 v14, -v7, v13, v9
	v_fmac_f32_e32 v13, v14, v8
	s_delay_alu instid0(VALU_DEP_1) | instskip(NEXT) | instid1(VALU_DEP_1)
	v_fma_f32 v7, -v7, v13, v9
	v_div_fmas_f32 v7, v7, v8, v13
	s_delay_alu instid0(VALU_DEP_1) | instskip(NEXT) | instid1(VALU_DEP_1)
	v_div_fixup_f32 v5, v7, v12, v5
	v_minmax_f32 v5, v5, s7, 0xc3600000
	s_delay_alu instid0(VALU_DEP_1) | instskip(NEXT) | instid1(VALU_DEP_1)
	v_and_b32_e32 v7, 0x7fffffff, v5
	v_cmpx_gt_u32_e32 0x43800000, v7
	s_cbranch_execz .LBB40_106
; %bb.101:                              ;   in Loop: Header=BB40_57 Depth=1
	v_cmp_lt_u32_e32 vcc_lo, 0x3bffffff, v7
	s_mov_b32 s13, 0
                                        ; implicit-def: $vgpr7
	s_and_saveexec_b32 s15, vcc_lo
	s_delay_alu instid0(SALU_CYCLE_1)
	s_xor_b32 s15, exec_lo, s15
	s_cbranch_execnz .LBB40_168
; %bb.102:                              ;   in Loop: Header=BB40_57 Depth=1
	s_or_saveexec_b32 s15, s15
                                        ; implicit-def: $sgpr16
	s_delay_alu instid0(SALU_CYCLE_1)
	s_xor_b32 exec_lo, exec_lo, s15
	s_cbranch_execnz .LBB40_169
.LBB40_103:                             ;   in Loop: Header=BB40_57 Depth=1
	s_or_b32 exec_lo, exec_lo, s15
	v_mov_b32_e32 v3, s16
	s_and_saveexec_b32 s15, s13
.LBB40_104:                             ;   in Loop: Header=BB40_57 Depth=1
	v_lshrrev_b32_e32 v3, 24, v5
	s_delay_alu instid0(VALU_DEP_1)
	v_and_or_b32 v3, 0x80, v3, v7
.LBB40_105:                             ;   in Loop: Header=BB40_57 Depth=1
	s_or_b32 exec_lo, exec_lo, s15
.LBB40_106:                             ;   in Loop: Header=BB40_57 Depth=1
	s_delay_alu instid0(SALU_CYCLE_1)
	s_or_b32 exec_lo, exec_lo, s12
	v_lshlrev_b32_e32 v7, 16, v4
	v_lshlrev_b32_e32 v6, 8, v6
	v_lshlrev_b64 v[4:5], 2, v[10:11]
	v_and_b32_e32 v8, 0xff, v2
	v_add_nc_u32_e32 v11, s5, v0
	v_perm_b32 v7, v3, v7, 0x4020c0c
	v_and_b32_e32 v6, 0xff00, v6
	s_mov_b32 s13, -1
	v_add_co_u32 v2, vcc_lo, s2, v4
	v_add_co_ci_u32_e32 v3, vcc_lo, s3, v5, vcc_lo
	s_delay_alu instid0(VALU_DEP_3)
	v_or3_b32 v4, v7, v6, v8
	s_mov_b32 s12, exec_lo
	global_store_b32 v[2:3], v4, off
	v_cmpx_gt_u32_e64 s8, v11
	s_cbranch_execz .LBB40_55
; %bb.107:                              ;   in Loop: Header=BB40_57 Depth=1
	v_lshrrev_b32_e32 v8, 2, v11
	v_mov_b32_e32 v12, v1
	s_mov_b32 s13, exec_lo
	s_delay_alu instid0(VALU_DEP_2) | instskip(NEXT) | instid1(VALU_DEP_2)
	v_and_b32_e32 v13, 0xffffffc, v8
	v_lshlrev_b64 v[2:3], 4, v[11:12]
	s_delay_alu instid0(VALU_DEP_1) | instskip(NEXT) | instid1(VALU_DEP_2)
	v_add_co_u32 v4, vcc_lo, s14, v2
	v_add_co_ci_u32_e32 v5, vcc_lo, s26, v3, vcc_lo
	v_add_co_u32 v6, vcc_lo, s10, v2
	v_add_co_ci_u32_e32 v7, vcc_lo, s11, v3, vcc_lo
	global_load_b128 v[2:5], v[4:5], off
	global_load_b128 v[6:9], v[6:7], off
	global_load_b32 v13, v13, s[0:1]
	s_waitcnt vmcnt(2)
	v_mul_f32_e32 v2, v28, v2
	s_waitcnt vmcnt(1)
	s_delay_alu instid0(VALU_DEP_1) | instskip(SKIP_1) | instid1(VALU_DEP_1)
	v_mul_f32_e32 v2, v2, v6
	s_waitcnt vmcnt(0)
	v_div_scale_f32 v6, null, v13, v13, v2
	v_div_scale_f32 v16, vcc_lo, v2, v13, v2
	s_delay_alu instid0(VALU_DEP_2) | instskip(SKIP_2) | instid1(VALU_DEP_1)
	v_rcp_f32_e32 v14, v6
	s_waitcnt_depctr 0xfff
	v_fma_f32 v15, -v6, v14, 1.0
	v_fmac_f32_e32 v14, v15, v14
	s_delay_alu instid0(VALU_DEP_1) | instskip(NEXT) | instid1(VALU_DEP_1)
	v_mul_f32_e32 v15, v16, v14
	v_fma_f32 v17, -v6, v15, v16
	s_delay_alu instid0(VALU_DEP_1) | instskip(NEXT) | instid1(VALU_DEP_1)
	v_fmac_f32_e32 v15, v17, v14
	v_fma_f32 v6, -v6, v15, v16
	s_delay_alu instid0(VALU_DEP_1) | instskip(NEXT) | instid1(VALU_DEP_1)
	v_div_fmas_f32 v6, v6, v14, v15
	v_div_fixup_f32 v2, v6, v13, v2
	v_mov_b32_e32 v6, 0x80
	s_delay_alu instid0(VALU_DEP_2) | instskip(SKIP_1) | instid1(VALU_DEP_2)
	v_minmax_f32 v14, v2, s7, 0xc3600000
	v_mov_b32_e32 v2, 0x80
	v_and_b32_e32 v15, 0x7fffffff, v14
	s_delay_alu instid0(VALU_DEP_1)
	v_cmpx_gt_u32_e32 0x43800000, v15
	s_cbranch_execz .LBB40_113
; %bb.108:                              ;   in Loop: Header=BB40_57 Depth=1
	v_cmp_lt_u32_e32 vcc_lo, 0x3bffffff, v15
	s_mov_b32 s15, 0
                                        ; implicit-def: $vgpr15
	s_and_saveexec_b32 s16, vcc_lo
	s_delay_alu instid0(SALU_CYCLE_1)
	s_xor_b32 s16, exec_lo, s16
	s_cbranch_execnz .LBB40_170
; %bb.109:                              ;   in Loop: Header=BB40_57 Depth=1
	s_or_saveexec_b32 s16, s16
                                        ; implicit-def: $sgpr17
	s_delay_alu instid0(SALU_CYCLE_1)
	s_xor_b32 exec_lo, exec_lo, s16
	s_cbranch_execnz .LBB40_171
.LBB40_110:                             ;   in Loop: Header=BB40_57 Depth=1
	s_or_b32 exec_lo, exec_lo, s16
	v_mov_b32_e32 v2, s17
	s_and_saveexec_b32 s16, s15
.LBB40_111:                             ;   in Loop: Header=BB40_57 Depth=1
	v_lshrrev_b32_e32 v2, 24, v14
	s_delay_alu instid0(VALU_DEP_1)
	v_and_or_b32 v2, 0x80, v2, v15
.LBB40_112:                             ;   in Loop: Header=BB40_57 Depth=1
	s_or_b32 exec_lo, exec_lo, s16
.LBB40_113:                             ;   in Loop: Header=BB40_57 Depth=1
	s_delay_alu instid0(SALU_CYCLE_1) | instskip(SKIP_2) | instid1(VALU_DEP_1)
	s_or_b32 exec_lo, exec_lo, s13
	v_mul_f32_e32 v3, v28, v3
	s_mov_b32 s13, exec_lo
	v_mul_f32_e32 v3, v3, v7
	s_delay_alu instid0(VALU_DEP_1) | instskip(NEXT) | instid1(VALU_DEP_1)
	v_div_scale_f32 v7, null, v13, v13, v3
	v_rcp_f32_e32 v14, v7
	s_waitcnt_depctr 0xfff
	v_fma_f32 v15, -v7, v14, 1.0
	s_delay_alu instid0(VALU_DEP_1) | instskip(SKIP_1) | instid1(VALU_DEP_1)
	v_fmac_f32_e32 v14, v15, v14
	v_div_scale_f32 v15, vcc_lo, v3, v13, v3
	v_mul_f32_e32 v16, v15, v14
	s_delay_alu instid0(VALU_DEP_1) | instskip(NEXT) | instid1(VALU_DEP_1)
	v_fma_f32 v17, -v7, v16, v15
	v_fmac_f32_e32 v16, v17, v14
	s_delay_alu instid0(VALU_DEP_1) | instskip(NEXT) | instid1(VALU_DEP_1)
	v_fma_f32 v7, -v7, v16, v15
	v_div_fmas_f32 v7, v7, v14, v16
	s_delay_alu instid0(VALU_DEP_1) | instskip(NEXT) | instid1(VALU_DEP_1)
	v_div_fixup_f32 v3, v7, v13, v3
	v_minmax_f32 v3, v3, s7, 0xc3600000
	s_delay_alu instid0(VALU_DEP_1) | instskip(NEXT) | instid1(VALU_DEP_1)
	v_and_b32_e32 v7, 0x7fffffff, v3
	v_cmpx_gt_u32_e32 0x43800000, v7
	s_cbranch_execz .LBB40_119
; %bb.114:                              ;   in Loop: Header=BB40_57 Depth=1
	v_cmp_lt_u32_e32 vcc_lo, 0x3bffffff, v7
	s_mov_b32 s15, 0
                                        ; implicit-def: $vgpr7
	s_and_saveexec_b32 s16, vcc_lo
	s_delay_alu instid0(SALU_CYCLE_1)
	s_xor_b32 s16, exec_lo, s16
	s_cbranch_execnz .LBB40_172
; %bb.115:                              ;   in Loop: Header=BB40_57 Depth=1
	s_or_saveexec_b32 s16, s16
                                        ; implicit-def: $sgpr17
	s_delay_alu instid0(SALU_CYCLE_1)
	s_xor_b32 exec_lo, exec_lo, s16
	s_cbranch_execnz .LBB40_173
.LBB40_116:                             ;   in Loop: Header=BB40_57 Depth=1
	s_or_b32 exec_lo, exec_lo, s16
	v_mov_b32_e32 v6, s17
	s_and_saveexec_b32 s16, s15
.LBB40_117:                             ;   in Loop: Header=BB40_57 Depth=1
	v_lshrrev_b32_e32 v3, 24, v3
	s_delay_alu instid0(VALU_DEP_1)
	v_and_or_b32 v6, 0x80, v3, v7
.LBB40_118:                             ;   in Loop: Header=BB40_57 Depth=1
	s_or_b32 exec_lo, exec_lo, s16
.LBB40_119:                             ;   in Loop: Header=BB40_57 Depth=1
	s_delay_alu instid0(SALU_CYCLE_1) | instskip(SKIP_2) | instid1(VALU_DEP_1)
	s_or_b32 exec_lo, exec_lo, s13
	v_mul_f32_e32 v3, v28, v4
	s_mov_b32 s13, exec_lo
	v_mul_f32_e32 v3, v3, v8
	s_delay_alu instid0(VALU_DEP_1) | instskip(SKIP_1) | instid1(VALU_DEP_2)
	v_div_scale_f32 v4, null, v13, v13, v3
	v_div_scale_f32 v14, vcc_lo, v3, v13, v3
	v_rcp_f32_e32 v7, v4
	s_waitcnt_depctr 0xfff
	v_fma_f32 v8, -v4, v7, 1.0
	s_delay_alu instid0(VALU_DEP_1) | instskip(NEXT) | instid1(VALU_DEP_1)
	v_fmac_f32_e32 v7, v8, v7
	v_mul_f32_e32 v8, v14, v7
	s_delay_alu instid0(VALU_DEP_1) | instskip(NEXT) | instid1(VALU_DEP_1)
	v_fma_f32 v15, -v4, v8, v14
	v_fmac_f32_e32 v8, v15, v7
	s_delay_alu instid0(VALU_DEP_1) | instskip(NEXT) | instid1(VALU_DEP_1)
	v_fma_f32 v4, -v4, v8, v14
	v_div_fmas_f32 v4, v4, v7, v8
	s_delay_alu instid0(VALU_DEP_1) | instskip(SKIP_1) | instid1(VALU_DEP_2)
	v_div_fixup_f32 v3, v4, v13, v3
	v_mov_b32_e32 v4, 0x80
	v_minmax_f32 v7, v3, s7, 0xc3600000
	v_mov_b32_e32 v3, 0x80
	s_delay_alu instid0(VALU_DEP_2) | instskip(NEXT) | instid1(VALU_DEP_1)
	v_and_b32_e32 v8, 0x7fffffff, v7
	v_cmpx_gt_u32_e32 0x43800000, v8
	s_cbranch_execz .LBB40_125
; %bb.120:                              ;   in Loop: Header=BB40_57 Depth=1
	v_cmp_lt_u32_e32 vcc_lo, 0x3bffffff, v8
	s_mov_b32 s15, 0
                                        ; implicit-def: $vgpr8
	s_and_saveexec_b32 s16, vcc_lo
	s_delay_alu instid0(SALU_CYCLE_1)
	s_xor_b32 s16, exec_lo, s16
	s_cbranch_execnz .LBB40_174
; %bb.121:                              ;   in Loop: Header=BB40_57 Depth=1
	s_or_saveexec_b32 s16, s16
                                        ; implicit-def: $sgpr17
	s_delay_alu instid0(SALU_CYCLE_1)
	s_xor_b32 exec_lo, exec_lo, s16
	s_cbranch_execnz .LBB40_175
.LBB40_122:                             ;   in Loop: Header=BB40_57 Depth=1
	s_or_b32 exec_lo, exec_lo, s16
	v_mov_b32_e32 v4, s17
	s_and_saveexec_b32 s16, s15
.LBB40_123:                             ;   in Loop: Header=BB40_57 Depth=1
	v_lshrrev_b32_e32 v4, 24, v7
	s_delay_alu instid0(VALU_DEP_1)
	v_and_or_b32 v4, 0x80, v4, v8
.LBB40_124:                             ;   in Loop: Header=BB40_57 Depth=1
	s_or_b32 exec_lo, exec_lo, s16
.LBB40_125:                             ;   in Loop: Header=BB40_57 Depth=1
	s_delay_alu instid0(SALU_CYCLE_1) | instskip(SKIP_2) | instid1(VALU_DEP_1)
	s_or_b32 exec_lo, exec_lo, s13
	v_mul_f32_e32 v5, v28, v5
	s_mov_b32 s13, exec_lo
	v_mul_f32_e32 v5, v5, v9
	s_delay_alu instid0(VALU_DEP_1) | instskip(NEXT) | instid1(VALU_DEP_1)
	v_div_scale_f32 v7, null, v13, v13, v5
	v_rcp_f32_e32 v8, v7
	s_waitcnt_depctr 0xfff
	v_fma_f32 v9, -v7, v8, 1.0
	s_delay_alu instid0(VALU_DEP_1) | instskip(SKIP_1) | instid1(VALU_DEP_1)
	v_fmac_f32_e32 v8, v9, v8
	v_div_scale_f32 v9, vcc_lo, v5, v13, v5
	v_mul_f32_e32 v14, v9, v8
	s_delay_alu instid0(VALU_DEP_1) | instskip(NEXT) | instid1(VALU_DEP_1)
	v_fma_f32 v15, -v7, v14, v9
	v_fmac_f32_e32 v14, v15, v8
	s_delay_alu instid0(VALU_DEP_1) | instskip(NEXT) | instid1(VALU_DEP_1)
	v_fma_f32 v7, -v7, v14, v9
	v_div_fmas_f32 v7, v7, v8, v14
	s_delay_alu instid0(VALU_DEP_1) | instskip(NEXT) | instid1(VALU_DEP_1)
	v_div_fixup_f32 v5, v7, v13, v5
	v_minmax_f32 v5, v5, s7, 0xc3600000
	s_delay_alu instid0(VALU_DEP_1) | instskip(NEXT) | instid1(VALU_DEP_1)
	v_and_b32_e32 v7, 0x7fffffff, v5
	v_cmpx_gt_u32_e32 0x43800000, v7
	s_cbranch_execz .LBB40_131
; %bb.126:                              ;   in Loop: Header=BB40_57 Depth=1
	v_cmp_lt_u32_e32 vcc_lo, 0x3bffffff, v7
	s_mov_b32 s15, 0
                                        ; implicit-def: $vgpr7
	s_and_saveexec_b32 s16, vcc_lo
	s_delay_alu instid0(SALU_CYCLE_1)
	s_xor_b32 s16, exec_lo, s16
	s_cbranch_execnz .LBB40_176
; %bb.127:                              ;   in Loop: Header=BB40_57 Depth=1
	s_or_saveexec_b32 s16, s16
                                        ; implicit-def: $sgpr17
	s_delay_alu instid0(SALU_CYCLE_1)
	s_xor_b32 exec_lo, exec_lo, s16
	s_cbranch_execnz .LBB40_177
.LBB40_128:                             ;   in Loop: Header=BB40_57 Depth=1
	s_or_b32 exec_lo, exec_lo, s16
	v_mov_b32_e32 v3, s17
	s_and_saveexec_b32 s16, s15
.LBB40_129:                             ;   in Loop: Header=BB40_57 Depth=1
	v_lshrrev_b32_e32 v3, 24, v5
	s_delay_alu instid0(VALU_DEP_1)
	v_and_or_b32 v3, 0x80, v3, v7
.LBB40_130:                             ;   in Loop: Header=BB40_57 Depth=1
	s_or_b32 exec_lo, exec_lo, s16
.LBB40_131:                             ;   in Loop: Header=BB40_57 Depth=1
	s_delay_alu instid0(SALU_CYCLE_1)
	s_or_b32 exec_lo, exec_lo, s13
	v_lshlrev_b32_e32 v7, 16, v4
	v_lshlrev_b32_e32 v6, 8, v6
	v_lshlrev_b64 v[4:5], 2, v[11:12]
	v_and_b32_e32 v8, 0xff, v2
	v_add_nc_u32_e32 v0, s4, v0
	v_perm_b32 v7, v3, v7, 0x4020c0c
	v_and_b32_e32 v6, 0xff00, v6
	s_mov_b32 s15, -1
	v_add_co_u32 v2, vcc_lo, s2, v4
	v_add_co_ci_u32_e32 v3, vcc_lo, s3, v5, vcc_lo
	s_delay_alu instid0(VALU_DEP_3)
	v_or3_b32 v4, v7, v6, v8
	s_mov_b32 s13, exec_lo
	global_store_b32 v[2:3], v4, off
	v_cmpx_gt_u32_e64 s8, v0
	s_cbranch_execz .LBB40_54
; %bb.132:                              ;   in Loop: Header=BB40_57 Depth=1
	v_lshlrev_b64 v[2:3], 4, v[0:1]
	v_lshrrev_b32_e32 v8, 2, v0
	s_mov_b32 s15, exec_lo
	s_delay_alu instid0(VALU_DEP_2) | instskip(NEXT) | instid1(VALU_DEP_3)
	v_add_co_u32 v4, vcc_lo, s14, v2
	v_add_co_ci_u32_e32 v5, vcc_lo, s26, v3, vcc_lo
	v_add_co_u32 v6, vcc_lo, s10, v2
	v_add_co_ci_u32_e32 v7, vcc_lo, s11, v3, vcc_lo
	global_load_b128 v[2:5], v[4:5], off
	s_waitcnt vmcnt(0)
	v_dual_mul_f32 v2, v28, v2 :: v_dual_and_b32 v11, 0xffffffc, v8
	global_load_b128 v[6:9], v[6:7], off
	global_load_b32 v11, v11, s[0:1]
	s_waitcnt vmcnt(1)
	v_mul_f32_e32 v2, v2, v6
	s_waitcnt vmcnt(0)
	s_delay_alu instid0(VALU_DEP_1) | instskip(SKIP_1) | instid1(VALU_DEP_2)
	v_div_scale_f32 v6, null, v11, v11, v2
	v_div_scale_f32 v14, vcc_lo, v2, v11, v2
	v_rcp_f32_e32 v12, v6
	s_waitcnt_depctr 0xfff
	v_fma_f32 v13, -v6, v12, 1.0
	s_delay_alu instid0(VALU_DEP_1) | instskip(NEXT) | instid1(VALU_DEP_1)
	v_fmac_f32_e32 v12, v13, v12
	v_mul_f32_e32 v13, v14, v12
	s_delay_alu instid0(VALU_DEP_1) | instskip(NEXT) | instid1(VALU_DEP_1)
	v_fma_f32 v15, -v6, v13, v14
	v_fmac_f32_e32 v13, v15, v12
	s_delay_alu instid0(VALU_DEP_1) | instskip(NEXT) | instid1(VALU_DEP_1)
	v_fma_f32 v6, -v6, v13, v14
	v_div_fmas_f32 v6, v6, v12, v13
	s_delay_alu instid0(VALU_DEP_1) | instskip(SKIP_1) | instid1(VALU_DEP_2)
	v_div_fixup_f32 v2, v6, v11, v2
	v_mov_b32_e32 v6, 0x80
	v_minmax_f32 v12, v2, s7, 0xc3600000
	v_mov_b32_e32 v2, 0x80
	s_delay_alu instid0(VALU_DEP_2) | instskip(NEXT) | instid1(VALU_DEP_1)
	v_and_b32_e32 v13, 0x7fffffff, v12
	v_cmpx_gt_u32_e32 0x43800000, v13
	s_cbranch_execz .LBB40_138
; %bb.133:                              ;   in Loop: Header=BB40_57 Depth=1
	v_cmp_lt_u32_e32 vcc_lo, 0x3bffffff, v13
	s_mov_b32 s16, 0
                                        ; implicit-def: $vgpr13
	s_and_saveexec_b32 s17, vcc_lo
	s_delay_alu instid0(SALU_CYCLE_1)
	s_xor_b32 s17, exec_lo, s17
	s_cbranch_execnz .LBB40_178
; %bb.134:                              ;   in Loop: Header=BB40_57 Depth=1
	s_or_saveexec_b32 s17, s17
                                        ; implicit-def: $sgpr18
	s_delay_alu instid0(SALU_CYCLE_1)
	s_xor_b32 exec_lo, exec_lo, s17
	s_cbranch_execnz .LBB40_179
.LBB40_135:                             ;   in Loop: Header=BB40_57 Depth=1
	s_or_b32 exec_lo, exec_lo, s17
	v_mov_b32_e32 v2, s18
	s_and_saveexec_b32 s17, s16
.LBB40_136:                             ;   in Loop: Header=BB40_57 Depth=1
	v_lshrrev_b32_e32 v2, 24, v12
	s_delay_alu instid0(VALU_DEP_1)
	v_and_or_b32 v2, 0x80, v2, v13
.LBB40_137:                             ;   in Loop: Header=BB40_57 Depth=1
	s_or_b32 exec_lo, exec_lo, s17
.LBB40_138:                             ;   in Loop: Header=BB40_57 Depth=1
	s_delay_alu instid0(SALU_CYCLE_1) | instskip(SKIP_2) | instid1(VALU_DEP_1)
	s_or_b32 exec_lo, exec_lo, s15
	v_mul_f32_e32 v3, v28, v3
	s_mov_b32 s15, exec_lo
	v_mul_f32_e32 v3, v3, v7
	s_delay_alu instid0(VALU_DEP_1) | instskip(NEXT) | instid1(VALU_DEP_1)
	v_div_scale_f32 v7, null, v11, v11, v3
	v_rcp_f32_e32 v12, v7
	s_waitcnt_depctr 0xfff
	v_fma_f32 v13, -v7, v12, 1.0
	s_delay_alu instid0(VALU_DEP_1) | instskip(SKIP_1) | instid1(VALU_DEP_1)
	v_fmac_f32_e32 v12, v13, v12
	v_div_scale_f32 v13, vcc_lo, v3, v11, v3
	v_mul_f32_e32 v14, v13, v12
	s_delay_alu instid0(VALU_DEP_1) | instskip(NEXT) | instid1(VALU_DEP_1)
	v_fma_f32 v15, -v7, v14, v13
	v_fmac_f32_e32 v14, v15, v12
	s_delay_alu instid0(VALU_DEP_1) | instskip(NEXT) | instid1(VALU_DEP_1)
	v_fma_f32 v7, -v7, v14, v13
	v_div_fmas_f32 v7, v7, v12, v14
	s_delay_alu instid0(VALU_DEP_1) | instskip(NEXT) | instid1(VALU_DEP_1)
	v_div_fixup_f32 v3, v7, v11, v3
	v_minmax_f32 v3, v3, s7, 0xc3600000
	s_delay_alu instid0(VALU_DEP_1) | instskip(NEXT) | instid1(VALU_DEP_1)
	v_and_b32_e32 v7, 0x7fffffff, v3
	v_cmpx_gt_u32_e32 0x43800000, v7
	s_cbranch_execz .LBB40_144
; %bb.139:                              ;   in Loop: Header=BB40_57 Depth=1
	v_cmp_lt_u32_e32 vcc_lo, 0x3bffffff, v7
	s_mov_b32 s16, 0
                                        ; implicit-def: $vgpr7
	s_and_saveexec_b32 s17, vcc_lo
	s_delay_alu instid0(SALU_CYCLE_1)
	s_xor_b32 s17, exec_lo, s17
	s_cbranch_execnz .LBB40_180
; %bb.140:                              ;   in Loop: Header=BB40_57 Depth=1
	s_or_saveexec_b32 s17, s17
                                        ; implicit-def: $sgpr18
	s_delay_alu instid0(SALU_CYCLE_1)
	s_xor_b32 exec_lo, exec_lo, s17
	s_cbranch_execnz .LBB40_181
.LBB40_141:                             ;   in Loop: Header=BB40_57 Depth=1
	s_or_b32 exec_lo, exec_lo, s17
	v_mov_b32_e32 v6, s18
	s_and_saveexec_b32 s17, s16
.LBB40_142:                             ;   in Loop: Header=BB40_57 Depth=1
	v_lshrrev_b32_e32 v3, 24, v3
	s_delay_alu instid0(VALU_DEP_1)
	v_and_or_b32 v6, 0x80, v3, v7
.LBB40_143:                             ;   in Loop: Header=BB40_57 Depth=1
	s_or_b32 exec_lo, exec_lo, s17
.LBB40_144:                             ;   in Loop: Header=BB40_57 Depth=1
	s_delay_alu instid0(SALU_CYCLE_1) | instskip(SKIP_2) | instid1(VALU_DEP_1)
	s_or_b32 exec_lo, exec_lo, s15
	v_mul_f32_e32 v3, v28, v4
	s_mov_b32 s15, exec_lo
	v_mul_f32_e32 v3, v3, v8
	s_delay_alu instid0(VALU_DEP_1) | instskip(SKIP_1) | instid1(VALU_DEP_2)
	v_div_scale_f32 v4, null, v11, v11, v3
	v_div_scale_f32 v12, vcc_lo, v3, v11, v3
	v_rcp_f32_e32 v7, v4
	s_waitcnt_depctr 0xfff
	v_fma_f32 v8, -v4, v7, 1.0
	s_delay_alu instid0(VALU_DEP_1) | instskip(NEXT) | instid1(VALU_DEP_1)
	v_fmac_f32_e32 v7, v8, v7
	v_mul_f32_e32 v8, v12, v7
	s_delay_alu instid0(VALU_DEP_1) | instskip(NEXT) | instid1(VALU_DEP_1)
	v_fma_f32 v13, -v4, v8, v12
	v_fmac_f32_e32 v8, v13, v7
	s_delay_alu instid0(VALU_DEP_1) | instskip(NEXT) | instid1(VALU_DEP_1)
	v_fma_f32 v4, -v4, v8, v12
	v_div_fmas_f32 v4, v4, v7, v8
	s_delay_alu instid0(VALU_DEP_1) | instskip(SKIP_1) | instid1(VALU_DEP_2)
	v_div_fixup_f32 v3, v4, v11, v3
	v_mov_b32_e32 v4, 0x80
	v_minmax_f32 v7, v3, s7, 0xc3600000
	v_mov_b32_e32 v3, 0x80
	s_delay_alu instid0(VALU_DEP_2) | instskip(NEXT) | instid1(VALU_DEP_1)
	v_and_b32_e32 v8, 0x7fffffff, v7
	v_cmpx_gt_u32_e32 0x43800000, v8
	s_cbranch_execz .LBB40_150
; %bb.145:                              ;   in Loop: Header=BB40_57 Depth=1
	v_cmp_lt_u32_e32 vcc_lo, 0x3bffffff, v8
	s_mov_b32 s16, 0
                                        ; implicit-def: $vgpr8
	s_and_saveexec_b32 s17, vcc_lo
	s_delay_alu instid0(SALU_CYCLE_1)
	s_xor_b32 s17, exec_lo, s17
	s_cbranch_execnz .LBB40_182
; %bb.146:                              ;   in Loop: Header=BB40_57 Depth=1
	s_or_saveexec_b32 s17, s17
                                        ; implicit-def: $sgpr18
	s_delay_alu instid0(SALU_CYCLE_1)
	s_xor_b32 exec_lo, exec_lo, s17
	s_cbranch_execnz .LBB40_183
.LBB40_147:                             ;   in Loop: Header=BB40_57 Depth=1
	s_or_b32 exec_lo, exec_lo, s17
	v_mov_b32_e32 v4, s18
	s_and_saveexec_b32 s17, s16
.LBB40_148:                             ;   in Loop: Header=BB40_57 Depth=1
	v_lshrrev_b32_e32 v4, 24, v7
	s_delay_alu instid0(VALU_DEP_1)
	v_and_or_b32 v4, 0x80, v4, v8
.LBB40_149:                             ;   in Loop: Header=BB40_57 Depth=1
	s_or_b32 exec_lo, exec_lo, s17
.LBB40_150:                             ;   in Loop: Header=BB40_57 Depth=1
	s_delay_alu instid0(SALU_CYCLE_1) | instskip(SKIP_2) | instid1(VALU_DEP_1)
	s_or_b32 exec_lo, exec_lo, s15
	v_mul_f32_e32 v5, v28, v5
	s_mov_b32 s15, exec_lo
	v_mul_f32_e32 v5, v5, v9
	s_delay_alu instid0(VALU_DEP_1) | instskip(NEXT) | instid1(VALU_DEP_1)
	v_div_scale_f32 v7, null, v11, v11, v5
	v_rcp_f32_e32 v8, v7
	s_waitcnt_depctr 0xfff
	v_fma_f32 v9, -v7, v8, 1.0
	s_delay_alu instid0(VALU_DEP_1) | instskip(SKIP_1) | instid1(VALU_DEP_1)
	v_fmac_f32_e32 v8, v9, v8
	v_div_scale_f32 v9, vcc_lo, v5, v11, v5
	v_mul_f32_e32 v12, v9, v8
	s_delay_alu instid0(VALU_DEP_1) | instskip(NEXT) | instid1(VALU_DEP_1)
	v_fma_f32 v13, -v7, v12, v9
	v_fmac_f32_e32 v12, v13, v8
	s_delay_alu instid0(VALU_DEP_1) | instskip(NEXT) | instid1(VALU_DEP_1)
	v_fma_f32 v7, -v7, v12, v9
	v_div_fmas_f32 v7, v7, v8, v12
	s_delay_alu instid0(VALU_DEP_1) | instskip(NEXT) | instid1(VALU_DEP_1)
	v_div_fixup_f32 v5, v7, v11, v5
	v_minmax_f32 v5, v5, s7, 0xc3600000
	s_delay_alu instid0(VALU_DEP_1) | instskip(NEXT) | instid1(VALU_DEP_1)
	v_and_b32_e32 v7, 0x7fffffff, v5
	v_cmpx_gt_u32_e32 0x43800000, v7
	s_cbranch_execz .LBB40_53
; %bb.151:                              ;   in Loop: Header=BB40_57 Depth=1
	v_cmp_lt_u32_e32 vcc_lo, 0x3bffffff, v7
	s_mov_b32 s16, 0
                                        ; implicit-def: $vgpr7
	s_and_saveexec_b32 s17, vcc_lo
	s_delay_alu instid0(SALU_CYCLE_1)
	s_xor_b32 s17, exec_lo, s17
	s_cbranch_execnz .LBB40_184
; %bb.152:                              ;   in Loop: Header=BB40_57 Depth=1
	s_or_saveexec_b32 s17, s17
                                        ; implicit-def: $sgpr18
	s_delay_alu instid0(SALU_CYCLE_1)
	s_xor_b32 exec_lo, exec_lo, s17
	s_cbranch_execnz .LBB40_185
.LBB40_153:                             ;   in Loop: Header=BB40_57 Depth=1
	s_or_b32 exec_lo, exec_lo, s17
	v_mov_b32_e32 v3, s18
	s_and_saveexec_b32 s17, s16
	s_cbranch_execz .LBB40_52
	s_branch .LBB40_186
.LBB40_154:                             ;   in Loop: Header=BB40_57 Depth=1
	v_bfe_u32 v6, v11, 20, 1
	s_mov_b32 s12, exec_lo
	s_delay_alu instid0(VALU_DEP_1) | instskip(NEXT) | instid1(VALU_DEP_1)
	v_add3_u32 v6, v11, v6, 0x487ffff
	v_lshrrev_b32_e32 v12, 20, v6
	s_or_saveexec_b32 s13, s13
                                        ; implicit-def: $sgpr15
	s_delay_alu instid0(SALU_CYCLE_1)
	s_xor_b32 exec_lo, exec_lo, s13
	s_cbranch_execz .LBB40_60
.LBB40_155:                             ;   in Loop: Header=BB40_57 Depth=1
	v_add_f32_e64 v6, 0x46000000, |v11|
	s_and_not1_b32 s12, s12, exec_lo
	s_mov_b32 s15, 0
	s_delay_alu instid0(VALU_DEP_1) | instskip(NEXT) | instid1(VALU_DEP_1)
	v_and_b32_e32 v12, 0xff, v6
	v_cmp_ne_u32_e32 vcc_lo, 0, v12
	s_and_b32 s16, vcc_lo, exec_lo
	s_delay_alu instid0(SALU_CYCLE_1)
	s_or_b32 s12, s12, s16
	s_or_b32 exec_lo, exec_lo, s13
	v_mov_b32_e32 v6, s15
	s_and_saveexec_b32 s13, s12
	s_cbranch_execnz .LBB40_61
	s_branch .LBB40_62
.LBB40_156:                             ;   in Loop: Header=BB40_57 Depth=1
	v_bfe_u32 v2, v3, 20, 1
	s_mov_b32 s12, exec_lo
	s_delay_alu instid0(VALU_DEP_1) | instskip(NEXT) | instid1(VALU_DEP_1)
	v_add3_u32 v2, v3, v2, 0x487ffff
	v_lshrrev_b32_e32 v7, 20, v2
	s_or_saveexec_b32 s13, s13
                                        ; implicit-def: $sgpr15
	s_delay_alu instid0(SALU_CYCLE_1)
	s_xor_b32 exec_lo, exec_lo, s13
	s_cbranch_execz .LBB40_66
.LBB40_157:                             ;   in Loop: Header=BB40_57 Depth=1
	v_add_f32_e64 v2, 0x46000000, |v3|
	s_and_not1_b32 s12, s12, exec_lo
	s_mov_b32 s15, 0
	s_delay_alu instid0(VALU_DEP_1) | instskip(NEXT) | instid1(VALU_DEP_1)
	v_and_b32_e32 v7, 0xff, v2
	v_cmp_ne_u32_e32 vcc_lo, 0, v7
	s_and_b32 s16, vcc_lo, exec_lo
	s_delay_alu instid0(SALU_CYCLE_1)
	s_or_b32 s12, s12, s16
	s_or_b32 exec_lo, exec_lo, s13
	v_mov_b32_e32 v2, s15
	s_and_saveexec_b32 s13, s12
	s_cbranch_execnz .LBB40_67
	s_branch .LBB40_68
.LBB40_158:                             ;   in Loop: Header=BB40_57 Depth=1
	v_bfe_u32 v4, v7, 20, 1
	s_mov_b32 s12, exec_lo
	s_delay_alu instid0(VALU_DEP_1) | instskip(NEXT) | instid1(VALU_DEP_1)
	v_add3_u32 v4, v7, v4, 0x487ffff
	v_lshrrev_b32_e32 v8, 20, v4
	s_or_saveexec_b32 s13, s13
                                        ; implicit-def: $sgpr15
	s_delay_alu instid0(SALU_CYCLE_1)
	s_xor_b32 exec_lo, exec_lo, s13
	s_cbranch_execz .LBB40_72
.LBB40_159:                             ;   in Loop: Header=BB40_57 Depth=1
	v_add_f32_e64 v4, 0x46000000, |v7|
	s_and_not1_b32 s12, s12, exec_lo
	s_mov_b32 s15, 0
	s_delay_alu instid0(VALU_DEP_1) | instskip(NEXT) | instid1(VALU_DEP_1)
	v_and_b32_e32 v8, 0xff, v4
	v_cmp_ne_u32_e32 vcc_lo, 0, v8
	s_and_b32 s16, vcc_lo, exec_lo
	s_delay_alu instid0(SALU_CYCLE_1)
	s_or_b32 s12, s12, s16
	s_or_b32 exec_lo, exec_lo, s13
	v_mov_b32_e32 v4, s15
	s_and_saveexec_b32 s13, s12
	s_cbranch_execnz .LBB40_73
	s_branch .LBB40_74
.LBB40_160:                             ;   in Loop: Header=BB40_57 Depth=1
	v_bfe_u32 v3, v5, 20, 1
	s_mov_b32 s12, exec_lo
	s_delay_alu instid0(VALU_DEP_1) | instskip(NEXT) | instid1(VALU_DEP_1)
	v_add3_u32 v3, v5, v3, 0x487ffff
	v_lshrrev_b32_e32 v7, 20, v3
	s_or_saveexec_b32 s13, s13
                                        ; implicit-def: $sgpr15
	s_delay_alu instid0(SALU_CYCLE_1)
	s_xor_b32 exec_lo, exec_lo, s13
	s_cbranch_execz .LBB40_78
.LBB40_161:                             ;   in Loop: Header=BB40_57 Depth=1
	v_add_f32_e64 v3, 0x46000000, |v5|
	s_and_not1_b32 s12, s12, exec_lo
	s_mov_b32 s15, 0
	s_delay_alu instid0(VALU_DEP_1) | instskip(NEXT) | instid1(VALU_DEP_1)
	v_and_b32_e32 v7, 0xff, v3
	v_cmp_ne_u32_e32 vcc_lo, 0, v7
	s_and_b32 s16, vcc_lo, exec_lo
	s_delay_alu instid0(SALU_CYCLE_1)
	s_or_b32 s12, s12, s16
	s_or_b32 exec_lo, exec_lo, s13
	v_mov_b32_e32 v3, s15
	s_and_saveexec_b32 s13, s12
	s_cbranch_execnz .LBB40_79
	s_branch .LBB40_80
.LBB40_162:                             ;   in Loop: Header=BB40_57 Depth=1
	v_bfe_u32 v2, v13, 20, 1
	s_mov_b32 s13, exec_lo
	s_delay_alu instid0(VALU_DEP_1) | instskip(NEXT) | instid1(VALU_DEP_1)
	v_add3_u32 v2, v13, v2, 0x487ffff
	v_lshrrev_b32_e32 v14, 20, v2
	s_or_saveexec_b32 s15, s15
                                        ; implicit-def: $sgpr16
	s_delay_alu instid0(SALU_CYCLE_1)
	s_xor_b32 exec_lo, exec_lo, s15
	s_cbranch_execz .LBB40_85
.LBB40_163:                             ;   in Loop: Header=BB40_57 Depth=1
	v_add_f32_e64 v2, 0x46000000, |v13|
	s_and_not1_b32 s13, s13, exec_lo
	s_mov_b32 s16, 0
	s_delay_alu instid0(VALU_DEP_1) | instskip(NEXT) | instid1(VALU_DEP_1)
	v_and_b32_e32 v14, 0xff, v2
	v_cmp_ne_u32_e32 vcc_lo, 0, v14
	s_and_b32 s17, vcc_lo, exec_lo
	s_delay_alu instid0(SALU_CYCLE_1)
	s_or_b32 s13, s13, s17
	s_or_b32 exec_lo, exec_lo, s15
	v_mov_b32_e32 v2, s16
	s_and_saveexec_b32 s15, s13
	s_cbranch_execnz .LBB40_86
	s_branch .LBB40_87
.LBB40_164:                             ;   in Loop: Header=BB40_57 Depth=1
	v_bfe_u32 v6, v3, 20, 1
	s_mov_b32 s13, exec_lo
	s_delay_alu instid0(VALU_DEP_1) | instskip(NEXT) | instid1(VALU_DEP_1)
	v_add3_u32 v6, v3, v6, 0x487ffff
	v_lshrrev_b32_e32 v7, 20, v6
	s_or_saveexec_b32 s15, s15
                                        ; implicit-def: $sgpr16
	s_delay_alu instid0(SALU_CYCLE_1)
	s_xor_b32 exec_lo, exec_lo, s15
	s_cbranch_execz .LBB40_91
.LBB40_165:                             ;   in Loop: Header=BB40_57 Depth=1
	v_add_f32_e64 v6, 0x46000000, |v3|
	s_and_not1_b32 s13, s13, exec_lo
	s_mov_b32 s16, 0
	s_delay_alu instid0(VALU_DEP_1) | instskip(NEXT) | instid1(VALU_DEP_1)
	v_and_b32_e32 v7, 0xff, v6
	v_cmp_ne_u32_e32 vcc_lo, 0, v7
	s_and_b32 s17, vcc_lo, exec_lo
	s_delay_alu instid0(SALU_CYCLE_1)
	s_or_b32 s13, s13, s17
	s_or_b32 exec_lo, exec_lo, s15
	v_mov_b32_e32 v6, s16
	s_and_saveexec_b32 s15, s13
	s_cbranch_execnz .LBB40_92
	s_branch .LBB40_93
.LBB40_166:                             ;   in Loop: Header=BB40_57 Depth=1
	v_bfe_u32 v4, v7, 20, 1
	s_mov_b32 s13, exec_lo
	s_delay_alu instid0(VALU_DEP_1) | instskip(NEXT) | instid1(VALU_DEP_1)
	v_add3_u32 v4, v7, v4, 0x487ffff
	v_lshrrev_b32_e32 v8, 20, v4
	s_or_saveexec_b32 s15, s15
                                        ; implicit-def: $sgpr16
	s_delay_alu instid0(SALU_CYCLE_1)
	s_xor_b32 exec_lo, exec_lo, s15
	s_cbranch_execz .LBB40_97
.LBB40_167:                             ;   in Loop: Header=BB40_57 Depth=1
	v_add_f32_e64 v4, 0x46000000, |v7|
	s_and_not1_b32 s13, s13, exec_lo
	s_mov_b32 s16, 0
	s_delay_alu instid0(VALU_DEP_1) | instskip(NEXT) | instid1(VALU_DEP_1)
	v_and_b32_e32 v8, 0xff, v4
	v_cmp_ne_u32_e32 vcc_lo, 0, v8
	s_and_b32 s17, vcc_lo, exec_lo
	s_delay_alu instid0(SALU_CYCLE_1)
	s_or_b32 s13, s13, s17
	s_or_b32 exec_lo, exec_lo, s15
	v_mov_b32_e32 v4, s16
	s_and_saveexec_b32 s15, s13
	s_cbranch_execnz .LBB40_98
	s_branch .LBB40_99
.LBB40_168:                             ;   in Loop: Header=BB40_57 Depth=1
	v_bfe_u32 v3, v5, 20, 1
	s_mov_b32 s13, exec_lo
	s_delay_alu instid0(VALU_DEP_1) | instskip(NEXT) | instid1(VALU_DEP_1)
	v_add3_u32 v3, v5, v3, 0x487ffff
	v_lshrrev_b32_e32 v7, 20, v3
	s_or_saveexec_b32 s15, s15
                                        ; implicit-def: $sgpr16
	s_delay_alu instid0(SALU_CYCLE_1)
	s_xor_b32 exec_lo, exec_lo, s15
	s_cbranch_execz .LBB40_103
.LBB40_169:                             ;   in Loop: Header=BB40_57 Depth=1
	v_add_f32_e64 v3, 0x46000000, |v5|
	s_and_not1_b32 s13, s13, exec_lo
	s_mov_b32 s16, 0
	s_delay_alu instid0(VALU_DEP_1) | instskip(NEXT) | instid1(VALU_DEP_1)
	v_and_b32_e32 v7, 0xff, v3
	v_cmp_ne_u32_e32 vcc_lo, 0, v7
	s_and_b32 s17, vcc_lo, exec_lo
	s_delay_alu instid0(SALU_CYCLE_1)
	s_or_b32 s13, s13, s17
	s_or_b32 exec_lo, exec_lo, s15
	v_mov_b32_e32 v3, s16
	s_and_saveexec_b32 s15, s13
	s_cbranch_execnz .LBB40_104
	s_branch .LBB40_105
.LBB40_170:                             ;   in Loop: Header=BB40_57 Depth=1
	v_bfe_u32 v2, v14, 20, 1
	s_mov_b32 s15, exec_lo
	s_delay_alu instid0(VALU_DEP_1) | instskip(NEXT) | instid1(VALU_DEP_1)
	v_add3_u32 v2, v14, v2, 0x487ffff
	v_lshrrev_b32_e32 v15, 20, v2
	s_or_saveexec_b32 s16, s16
                                        ; implicit-def: $sgpr17
	s_delay_alu instid0(SALU_CYCLE_1)
	s_xor_b32 exec_lo, exec_lo, s16
	s_cbranch_execz .LBB40_110
.LBB40_171:                             ;   in Loop: Header=BB40_57 Depth=1
	v_add_f32_e64 v2, 0x46000000, |v14|
	s_and_not1_b32 s15, s15, exec_lo
	s_mov_b32 s17, 0
	s_delay_alu instid0(VALU_DEP_1) | instskip(NEXT) | instid1(VALU_DEP_1)
	v_and_b32_e32 v15, 0xff, v2
	v_cmp_ne_u32_e32 vcc_lo, 0, v15
	s_and_b32 s18, vcc_lo, exec_lo
	s_delay_alu instid0(SALU_CYCLE_1)
	s_or_b32 s15, s15, s18
	s_or_b32 exec_lo, exec_lo, s16
	v_mov_b32_e32 v2, s17
	s_and_saveexec_b32 s16, s15
	s_cbranch_execnz .LBB40_111
	s_branch .LBB40_112
.LBB40_172:                             ;   in Loop: Header=BB40_57 Depth=1
	v_bfe_u32 v6, v3, 20, 1
	s_mov_b32 s15, exec_lo
	s_delay_alu instid0(VALU_DEP_1) | instskip(NEXT) | instid1(VALU_DEP_1)
	v_add3_u32 v6, v3, v6, 0x487ffff
	v_lshrrev_b32_e32 v7, 20, v6
	s_or_saveexec_b32 s16, s16
                                        ; implicit-def: $sgpr17
	s_delay_alu instid0(SALU_CYCLE_1)
	s_xor_b32 exec_lo, exec_lo, s16
	s_cbranch_execz .LBB40_116
.LBB40_173:                             ;   in Loop: Header=BB40_57 Depth=1
	v_add_f32_e64 v6, 0x46000000, |v3|
	s_and_not1_b32 s15, s15, exec_lo
	s_mov_b32 s17, 0
	s_delay_alu instid0(VALU_DEP_1) | instskip(NEXT) | instid1(VALU_DEP_1)
	v_and_b32_e32 v7, 0xff, v6
	v_cmp_ne_u32_e32 vcc_lo, 0, v7
	s_and_b32 s18, vcc_lo, exec_lo
	s_delay_alu instid0(SALU_CYCLE_1)
	s_or_b32 s15, s15, s18
	s_or_b32 exec_lo, exec_lo, s16
	v_mov_b32_e32 v6, s17
	s_and_saveexec_b32 s16, s15
	s_cbranch_execnz .LBB40_117
	s_branch .LBB40_118
.LBB40_174:                             ;   in Loop: Header=BB40_57 Depth=1
	v_bfe_u32 v4, v7, 20, 1
	s_mov_b32 s15, exec_lo
	s_delay_alu instid0(VALU_DEP_1) | instskip(NEXT) | instid1(VALU_DEP_1)
	v_add3_u32 v4, v7, v4, 0x487ffff
	v_lshrrev_b32_e32 v8, 20, v4
	s_or_saveexec_b32 s16, s16
                                        ; implicit-def: $sgpr17
	s_delay_alu instid0(SALU_CYCLE_1)
	s_xor_b32 exec_lo, exec_lo, s16
	s_cbranch_execz .LBB40_122
.LBB40_175:                             ;   in Loop: Header=BB40_57 Depth=1
	v_add_f32_e64 v4, 0x46000000, |v7|
	s_and_not1_b32 s15, s15, exec_lo
	s_mov_b32 s17, 0
	s_delay_alu instid0(VALU_DEP_1) | instskip(NEXT) | instid1(VALU_DEP_1)
	v_and_b32_e32 v8, 0xff, v4
	v_cmp_ne_u32_e32 vcc_lo, 0, v8
	s_and_b32 s18, vcc_lo, exec_lo
	s_delay_alu instid0(SALU_CYCLE_1)
	s_or_b32 s15, s15, s18
	s_or_b32 exec_lo, exec_lo, s16
	v_mov_b32_e32 v4, s17
	s_and_saveexec_b32 s16, s15
	s_cbranch_execnz .LBB40_123
	s_branch .LBB40_124
.LBB40_176:                             ;   in Loop: Header=BB40_57 Depth=1
	v_bfe_u32 v3, v5, 20, 1
	s_mov_b32 s15, exec_lo
	s_delay_alu instid0(VALU_DEP_1) | instskip(NEXT) | instid1(VALU_DEP_1)
	v_add3_u32 v3, v5, v3, 0x487ffff
	v_lshrrev_b32_e32 v7, 20, v3
	s_or_saveexec_b32 s16, s16
                                        ; implicit-def: $sgpr17
	s_delay_alu instid0(SALU_CYCLE_1)
	s_xor_b32 exec_lo, exec_lo, s16
	s_cbranch_execz .LBB40_128
.LBB40_177:                             ;   in Loop: Header=BB40_57 Depth=1
	v_add_f32_e64 v3, 0x46000000, |v5|
	s_and_not1_b32 s15, s15, exec_lo
	s_mov_b32 s17, 0
	s_delay_alu instid0(VALU_DEP_1) | instskip(NEXT) | instid1(VALU_DEP_1)
	v_and_b32_e32 v7, 0xff, v3
	v_cmp_ne_u32_e32 vcc_lo, 0, v7
	s_and_b32 s18, vcc_lo, exec_lo
	s_delay_alu instid0(SALU_CYCLE_1)
	s_or_b32 s15, s15, s18
	s_or_b32 exec_lo, exec_lo, s16
	v_mov_b32_e32 v3, s17
	s_and_saveexec_b32 s16, s15
	s_cbranch_execnz .LBB40_129
	s_branch .LBB40_130
.LBB40_178:                             ;   in Loop: Header=BB40_57 Depth=1
	v_bfe_u32 v2, v12, 20, 1
	s_mov_b32 s16, exec_lo
	s_delay_alu instid0(VALU_DEP_1) | instskip(NEXT) | instid1(VALU_DEP_1)
	v_add3_u32 v2, v12, v2, 0x487ffff
	v_lshrrev_b32_e32 v13, 20, v2
	s_or_saveexec_b32 s17, s17
                                        ; implicit-def: $sgpr18
	s_delay_alu instid0(SALU_CYCLE_1)
	s_xor_b32 exec_lo, exec_lo, s17
	s_cbranch_execz .LBB40_135
.LBB40_179:                             ;   in Loop: Header=BB40_57 Depth=1
	v_add_f32_e64 v2, 0x46000000, |v12|
	s_and_not1_b32 s16, s16, exec_lo
	s_mov_b32 s18, 0
	s_delay_alu instid0(VALU_DEP_1) | instskip(NEXT) | instid1(VALU_DEP_1)
	v_and_b32_e32 v13, 0xff, v2
	v_cmp_ne_u32_e32 vcc_lo, 0, v13
	s_and_b32 s19, vcc_lo, exec_lo
	s_delay_alu instid0(SALU_CYCLE_1)
	s_or_b32 s16, s16, s19
	s_or_b32 exec_lo, exec_lo, s17
	v_mov_b32_e32 v2, s18
	s_and_saveexec_b32 s17, s16
	s_cbranch_execnz .LBB40_136
	s_branch .LBB40_137
.LBB40_180:                             ;   in Loop: Header=BB40_57 Depth=1
	v_bfe_u32 v6, v3, 20, 1
	s_mov_b32 s16, exec_lo
	s_delay_alu instid0(VALU_DEP_1) | instskip(NEXT) | instid1(VALU_DEP_1)
	v_add3_u32 v6, v3, v6, 0x487ffff
	v_lshrrev_b32_e32 v7, 20, v6
	s_or_saveexec_b32 s17, s17
                                        ; implicit-def: $sgpr18
	s_delay_alu instid0(SALU_CYCLE_1)
	s_xor_b32 exec_lo, exec_lo, s17
	s_cbranch_execz .LBB40_141
.LBB40_181:                             ;   in Loop: Header=BB40_57 Depth=1
	v_add_f32_e64 v6, 0x46000000, |v3|
	s_and_not1_b32 s16, s16, exec_lo
	s_mov_b32 s18, 0
	s_delay_alu instid0(VALU_DEP_1) | instskip(NEXT) | instid1(VALU_DEP_1)
	v_and_b32_e32 v7, 0xff, v6
	v_cmp_ne_u32_e32 vcc_lo, 0, v7
	s_and_b32 s19, vcc_lo, exec_lo
	s_delay_alu instid0(SALU_CYCLE_1)
	s_or_b32 s16, s16, s19
	s_or_b32 exec_lo, exec_lo, s17
	v_mov_b32_e32 v6, s18
	s_and_saveexec_b32 s17, s16
	s_cbranch_execnz .LBB40_142
	s_branch .LBB40_143
.LBB40_182:                             ;   in Loop: Header=BB40_57 Depth=1
	v_bfe_u32 v4, v7, 20, 1
	s_mov_b32 s16, exec_lo
	s_delay_alu instid0(VALU_DEP_1) | instskip(NEXT) | instid1(VALU_DEP_1)
	v_add3_u32 v4, v7, v4, 0x487ffff
	v_lshrrev_b32_e32 v8, 20, v4
	s_or_saveexec_b32 s17, s17
                                        ; implicit-def: $sgpr18
	s_delay_alu instid0(SALU_CYCLE_1)
	s_xor_b32 exec_lo, exec_lo, s17
	s_cbranch_execz .LBB40_147
.LBB40_183:                             ;   in Loop: Header=BB40_57 Depth=1
	v_add_f32_e64 v4, 0x46000000, |v7|
	s_and_not1_b32 s16, s16, exec_lo
	s_mov_b32 s18, 0
	s_delay_alu instid0(VALU_DEP_1) | instskip(NEXT) | instid1(VALU_DEP_1)
	v_and_b32_e32 v8, 0xff, v4
	v_cmp_ne_u32_e32 vcc_lo, 0, v8
	s_and_b32 s19, vcc_lo, exec_lo
	s_delay_alu instid0(SALU_CYCLE_1)
	s_or_b32 s16, s16, s19
	s_or_b32 exec_lo, exec_lo, s17
	v_mov_b32_e32 v4, s18
	s_and_saveexec_b32 s17, s16
	s_cbranch_execnz .LBB40_148
	s_branch .LBB40_149
.LBB40_184:                             ;   in Loop: Header=BB40_57 Depth=1
	v_bfe_u32 v3, v5, 20, 1
	s_mov_b32 s16, exec_lo
	s_delay_alu instid0(VALU_DEP_1) | instskip(NEXT) | instid1(VALU_DEP_1)
	v_add3_u32 v3, v5, v3, 0x487ffff
	v_lshrrev_b32_e32 v7, 20, v3
	s_or_saveexec_b32 s17, s17
                                        ; implicit-def: $sgpr18
	s_delay_alu instid0(SALU_CYCLE_1)
	s_xor_b32 exec_lo, exec_lo, s17
	s_cbranch_execz .LBB40_153
.LBB40_185:                             ;   in Loop: Header=BB40_57 Depth=1
	v_add_f32_e64 v3, 0x46000000, |v5|
	s_and_not1_b32 s16, s16, exec_lo
	s_mov_b32 s18, 0
	s_delay_alu instid0(VALU_DEP_1) | instskip(NEXT) | instid1(VALU_DEP_1)
	v_and_b32_e32 v7, 0xff, v3
	v_cmp_ne_u32_e32 vcc_lo, 0, v7
	s_and_b32 s19, vcc_lo, exec_lo
	s_delay_alu instid0(SALU_CYCLE_1)
	s_or_b32 s16, s16, s19
	s_or_b32 exec_lo, exec_lo, s17
	v_mov_b32_e32 v3, s18
	s_and_saveexec_b32 s17, s16
	s_cbranch_execz .LBB40_52
.LBB40_186:                             ;   in Loop: Header=BB40_57 Depth=1
	v_lshrrev_b32_e32 v3, 24, v5
	s_delay_alu instid0(VALU_DEP_1)
	v_and_or_b32 v3, 0x80, v3, v7
	s_branch .LBB40_52
.LBB40_187:
	s_nop 0
	s_sendmsg sendmsg(MSG_DEALLOC_VGPRS)
	s_endpgm
	.section	.rodata,"a",@progbits
	.p2align	6, 0x0
	.amdhsa_kernel _ZN4vllm31rms_norm_per_block_quant_kernelIfN3c1015Float8_e4m3fnuzELb0ELb0ELi64EEEvPT0_PfPKT_S8_PKffiiPS6_l
		.amdhsa_group_segment_fixed_size 4228
		.amdhsa_private_segment_fixed_size 0
		.amdhsa_kernarg_size 328
		.amdhsa_user_sgpr_count 15
		.amdhsa_user_sgpr_dispatch_ptr 0
		.amdhsa_user_sgpr_queue_ptr 0
		.amdhsa_user_sgpr_kernarg_segment_ptr 1
		.amdhsa_user_sgpr_dispatch_id 0
		.amdhsa_user_sgpr_private_segment_size 0
		.amdhsa_wavefront_size32 1
		.amdhsa_uses_dynamic_stack 0
		.amdhsa_enable_private_segment 0
		.amdhsa_system_sgpr_workgroup_id_x 1
		.amdhsa_system_sgpr_workgroup_id_y 0
		.amdhsa_system_sgpr_workgroup_id_z 0
		.amdhsa_system_sgpr_workgroup_info 0
		.amdhsa_system_vgpr_workitem_id 0
		.amdhsa_next_free_vgpr 35
		.amdhsa_next_free_sgpr 36
		.amdhsa_reserve_vcc 1
		.amdhsa_float_round_mode_32 0
		.amdhsa_float_round_mode_16_64 0
		.amdhsa_float_denorm_mode_32 3
		.amdhsa_float_denorm_mode_16_64 3
		.amdhsa_dx10_clamp 1
		.amdhsa_ieee_mode 1
		.amdhsa_fp16_overflow 0
		.amdhsa_workgroup_processor_mode 1
		.amdhsa_memory_ordered 1
		.amdhsa_forward_progress 0
		.amdhsa_shared_vgpr_count 0
		.amdhsa_exception_fp_ieee_invalid_op 0
		.amdhsa_exception_fp_denorm_src 0
		.amdhsa_exception_fp_ieee_div_zero 0
		.amdhsa_exception_fp_ieee_overflow 0
		.amdhsa_exception_fp_ieee_underflow 0
		.amdhsa_exception_fp_ieee_inexact 0
		.amdhsa_exception_int_div_zero 0
	.end_amdhsa_kernel
	.section	.text._ZN4vllm31rms_norm_per_block_quant_kernelIfN3c1015Float8_e4m3fnuzELb0ELb0ELi64EEEvPT0_PfPKT_S8_PKffiiPS6_l,"axG",@progbits,_ZN4vllm31rms_norm_per_block_quant_kernelIfN3c1015Float8_e4m3fnuzELb0ELb0ELi64EEEvPT0_PfPKT_S8_PKffiiPS6_l,comdat
.Lfunc_end40:
	.size	_ZN4vllm31rms_norm_per_block_quant_kernelIfN3c1015Float8_e4m3fnuzELb0ELb0ELi64EEEvPT0_PfPKT_S8_PKffiiPS6_l, .Lfunc_end40-_ZN4vllm31rms_norm_per_block_quant_kernelIfN3c1015Float8_e4m3fnuzELb0ELb0ELi64EEEvPT0_PfPKT_S8_PKffiiPS6_l
                                        ; -- End function
	.section	.AMDGPU.csdata,"",@progbits
; Kernel info:
; codeLenInByte = 10532
; NumSgprs: 38
; NumVgprs: 35
; ScratchSize: 0
; MemoryBound: 0
; FloatMode: 240
; IeeeMode: 1
; LDSByteSize: 4228 bytes/workgroup (compile time only)
; SGPRBlocks: 4
; VGPRBlocks: 4
; NumSGPRsForWavesPerEU: 38
; NumVGPRsForWavesPerEU: 35
; Occupancy: 16
; WaveLimiterHint : 0
; COMPUTE_PGM_RSRC2:SCRATCH_EN: 0
; COMPUTE_PGM_RSRC2:USER_SGPR: 15
; COMPUTE_PGM_RSRC2:TRAP_HANDLER: 0
; COMPUTE_PGM_RSRC2:TGID_X_EN: 1
; COMPUTE_PGM_RSRC2:TGID_Y_EN: 0
; COMPUTE_PGM_RSRC2:TGID_Z_EN: 0
; COMPUTE_PGM_RSRC2:TIDIG_COMP_CNT: 0
	.section	.text._ZN4vllm31rms_norm_per_block_quant_kernelIfaLb0ELb0ELi64EEEvPT0_PfPKT_S6_PKffiiPS4_l,"axG",@progbits,_ZN4vllm31rms_norm_per_block_quant_kernelIfaLb0ELb0ELi64EEEvPT0_PfPKT_S6_PKffiiPS4_l,comdat
	.protected	_ZN4vllm31rms_norm_per_block_quant_kernelIfaLb0ELb0ELi64EEEvPT0_PfPKT_S6_PKffiiPS4_l ; -- Begin function _ZN4vllm31rms_norm_per_block_quant_kernelIfaLb0ELb0ELi64EEEvPT0_PfPKT_S6_PKffiiPS4_l
	.globl	_ZN4vllm31rms_norm_per_block_quant_kernelIfaLb0ELb0ELi64EEEvPT0_PfPKT_S6_PKffiiPS4_l
	.p2align	8
	.type	_ZN4vllm31rms_norm_per_block_quant_kernelIfaLb0ELb0ELi64EEEvPT0_PfPKT_S6_PKffiiPS4_l,@function
_ZN4vllm31rms_norm_per_block_quant_kernelIfaLb0ELb0ELi64EEEvPT0_PfPKT_S6_PKffiiPS4_l: ; @_ZN4vllm31rms_norm_per_block_quant_kernelIfaLb0ELb0ELi64EEEvPT0_PfPKT_S6_PKffiiPS4_l
; %bb.0:
	s_clause 0x1
	s_load_b128 s[16:19], s[0:1], 0x28
	s_load_b256 s[4:11], s[0:1], 0x0
	v_mov_b32_e32 v6, 0
	s_waitcnt lgkmcnt(0)
	s_ashr_i32 s2, s18, 31
	s_mul_hi_u32 s3, s18, s15
	s_mul_i32 s12, s2, s15
	s_mul_i32 s2, s18, s15
	s_add_i32 s3, s3, s12
	s_mov_b32 s12, s17
	s_lshl_b64 s[2:3], s[2:3], 2
	s_delay_alu instid0(SALU_CYCLE_1)
	s_add_u32 s14, s8, s2
	s_addc_u32 s26, s9, s3
	s_ashr_i32 s8, s17, 2
	s_add_u32 s18, s0, 0x48
	v_cmp_gt_u32_e64 s2, s8, v0
	s_mov_b32 s9, 0
	s_addc_u32 s19, s1, 0
	s_delay_alu instid0(VALU_DEP_1)
	s_and_saveexec_b32 s3, s2
	s_cbranch_execz .LBB41_10
; %bb.1:
	s_load_b32 s13, s[18:19], 0x0
	v_dual_mov_b32 v2, 0 :: v_dual_mov_b32 v1, v0
	s_waitcnt lgkmcnt(0)
	s_cmp_lt_u32 s15, s13
	s_cselect_b32 s13, 12, 18
	s_delay_alu instid0(SALU_CYCLE_1)
	s_add_u32 s20, s18, s13
	s_addc_u32 s21, s19, 0
                                        ; implicit-def: $sgpr13
	global_load_u16 v7, v2, s[20:21]
	s_waitcnt vmcnt(0)
	v_lshlrev_b32_e32 v9, 1, v7
	v_mul_lo_u32 v8, v7, 3
	v_add_nc_u32_e32 v10, v7, v7
	v_mov_b32_e32 v6, v2
	s_branch .LBB41_5
.LBB41_2:                               ;   in Loop: Header=BB41_5 Depth=1
	s_or_b32 exec_lo, exec_lo, s22
	s_delay_alu instid0(SALU_CYCLE_1)
	s_or_not1_b32 s22, s23, exec_lo
.LBB41_3:                               ;   in Loop: Header=BB41_5 Depth=1
	s_or_b32 exec_lo, exec_lo, s21
	s_delay_alu instid0(SALU_CYCLE_1) | instskip(SKIP_1) | instid1(SALU_CYCLE_1)
	s_and_not1_b32 s13, s13, exec_lo
	s_and_b32 s21, s22, exec_lo
	s_or_b32 s13, s13, s21
.LBB41_4:                               ;   in Loop: Header=BB41_5 Depth=1
	s_or_b32 exec_lo, exec_lo, s20
	s_delay_alu instid0(SALU_CYCLE_1) | instskip(NEXT) | instid1(SALU_CYCLE_1)
	s_and_b32 s20, exec_lo, s13
	s_or_b32 s9, s20, s9
	s_delay_alu instid0(SALU_CYCLE_1)
	s_and_not1_b32 exec_lo, exec_lo, s9
	s_cbranch_execz .LBB41_9
.LBB41_5:                               ; =>This Inner Loop Header: Depth=1
	v_lshlrev_b64 v[3:4], 4, v[1:2]
	s_or_b32 s13, s13, exec_lo
	s_mov_b32 s20, exec_lo
	s_delay_alu instid0(VALU_DEP_1) | instskip(NEXT) | instid1(VALU_DEP_2)
	v_add_co_u32 v3, vcc_lo, s14, v3
	v_add_co_ci_u32_e32 v4, vcc_lo, s26, v4, vcc_lo
	global_load_b128 v[11:14], v[3:4], off
	v_add_nc_u32_e32 v3, v1, v7
	s_waitcnt vmcnt(0)
	v_fmac_f32_e32 v6, v11, v11
	s_delay_alu instid0(VALU_DEP_1) | instskip(NEXT) | instid1(VALU_DEP_1)
	v_fmac_f32_e32 v6, v12, v12
	v_fmac_f32_e32 v6, v13, v13
	s_delay_alu instid0(VALU_DEP_1)
	v_fmac_f32_e32 v6, v14, v14
	v_cmpx_gt_u32_e64 s8, v3
	s_cbranch_execz .LBB41_4
; %bb.6:                                ;   in Loop: Header=BB41_5 Depth=1
	v_mov_b32_e32 v4, v2
	s_mov_b32 s22, -1
	s_mov_b32 s21, exec_lo
	s_delay_alu instid0(VALU_DEP_1) | instskip(NEXT) | instid1(VALU_DEP_1)
	v_lshlrev_b64 v[4:5], 4, v[3:4]
	v_add_co_u32 v4, vcc_lo, s14, v4
	s_delay_alu instid0(VALU_DEP_2) | instskip(SKIP_4) | instid1(VALU_DEP_1)
	v_add_co_ci_u32_e32 v5, vcc_lo, s26, v5, vcc_lo
	global_load_b128 v[11:14], v[4:5], off
	v_add_nc_u32_e32 v4, v9, v1
	s_waitcnt vmcnt(0)
	v_fmac_f32_e32 v6, v11, v11
	v_fmac_f32_e32 v6, v12, v12
	s_delay_alu instid0(VALU_DEP_1) | instskip(NEXT) | instid1(VALU_DEP_1)
	v_fmac_f32_e32 v6, v13, v13
	v_fmac_f32_e32 v6, v14, v14
	v_cmpx_gt_u32_e64 s8, v4
	s_cbranch_execz .LBB41_3
; %bb.7:                                ;   in Loop: Header=BB41_5 Depth=1
	v_mov_b32_e32 v5, v2
	s_mov_b32 s23, -1
	s_mov_b32 s22, exec_lo
	s_delay_alu instid0(VALU_DEP_1) | instskip(NEXT) | instid1(VALU_DEP_1)
	v_lshlrev_b64 v[4:5], 4, v[4:5]
	v_add_co_u32 v4, vcc_lo, s14, v4
	s_delay_alu instid0(VALU_DEP_2) | instskip(SKIP_3) | instid1(VALU_DEP_1)
	v_add_co_ci_u32_e32 v5, vcc_lo, s26, v5, vcc_lo
	global_load_b128 v[11:14], v[4:5], off
	s_waitcnt vmcnt(0)
	v_fmac_f32_e32 v6, v11, v11
	v_fmac_f32_e32 v6, v12, v12
	s_delay_alu instid0(VALU_DEP_1) | instskip(NEXT) | instid1(VALU_DEP_1)
	v_fmac_f32_e32 v6, v13, v13
	v_dual_fmac_f32 v6, v14, v14 :: v_dual_add_nc_u32 v1, v8, v1
	s_delay_alu instid0(VALU_DEP_1)
	v_cmpx_gt_u32_e64 s8, v1
	s_xor_b32 s22, exec_lo, s22
	s_cbranch_execz .LBB41_2
; %bb.8:                                ;   in Loop: Header=BB41_5 Depth=1
	v_lshlrev_b64 v[4:5], 4, v[1:2]
	v_add3_u32 v1, v10, v7, v3
	s_delay_alu instid0(VALU_DEP_2) | instskip(NEXT) | instid1(VALU_DEP_3)
	v_add_co_u32 v4, vcc_lo, s14, v4
	v_add_co_ci_u32_e32 v5, vcc_lo, s26, v5, vcc_lo
	s_delay_alu instid0(VALU_DEP_3) | instskip(SKIP_4) | instid1(VALU_DEP_1)
	v_cmp_le_u32_e32 vcc_lo, s8, v1
	global_load_b128 v[11:14], v[4:5], off
	s_or_not1_b32 s23, vcc_lo, exec_lo
	s_waitcnt vmcnt(0)
	v_fmac_f32_e32 v6, v11, v11
	v_fmac_f32_e32 v6, v12, v12
	s_delay_alu instid0(VALU_DEP_1) | instskip(NEXT) | instid1(VALU_DEP_1)
	v_fmac_f32_e32 v6, v13, v13
	v_fmac_f32_e32 v6, v14, v14
	s_branch .LBB41_2
.LBB41_9:
	s_or_b32 exec_lo, exec_lo, s9
.LBB41_10:
	s_delay_alu instid0(SALU_CYCLE_1) | instskip(SKIP_3) | instid1(VALU_DEP_2)
	s_or_b32 exec_lo, exec_lo, s3
	v_mbcnt_lo_u32_b32 v1, -1, 0
	s_load_b32 s3, s[18:19], 0xc
	v_and_b32_e32 v7, 0x3e0, v0
	v_cmp_ne_u32_e32 vcc_lo, 31, v1
	v_add_nc_u32_e32 v3, 1, v1
	v_add_co_ci_u32_e32 v2, vcc_lo, 0, v1, vcc_lo
	v_cmp_gt_u32_e32 vcc_lo, 30, v1
	s_delay_alu instid0(VALU_DEP_2)
	v_lshlrev_b32_e32 v2, 2, v2
	v_cndmask_b32_e64 v5, 0, 1, vcc_lo
	ds_bpermute_b32 v4, v2, v6
	s_waitcnt lgkmcnt(0)
	s_and_b32 s27, s3, 0xffff
	v_lshlrev_b32_e32 v5, 1, v5
	v_sub_nc_u32_e64 v12, s27, v7 clamp
	s_mov_b32 s3, exec_lo
	s_delay_alu instid0(VALU_DEP_1) | instskip(SKIP_2) | instid1(VALU_DEP_2)
	v_cmp_lt_u32_e32 vcc_lo, v3, v12
	v_add_f32_e32 v7, v6, v4
	v_add_lshl_u32 v4, v5, v1, 2
	v_cndmask_b32_e32 v7, v6, v7, vcc_lo
	v_cmp_gt_u32_e32 vcc_lo, 28, v1
	v_cndmask_b32_e64 v5, 0, 1, vcc_lo
	s_delay_alu instid0(VALU_DEP_1) | instskip(SKIP_2) | instid1(VALU_DEP_1)
	v_lshlrev_b32_e32 v8, 2, v5
	ds_bpermute_b32 v6, v4, v7
	v_add_nc_u32_e32 v5, 2, v1
	v_cmp_lt_u32_e32 vcc_lo, v5, v12
	s_waitcnt lgkmcnt(0)
	v_add_f32_e32 v9, v7, v6
	v_add_lshl_u32 v6, v8, v1, 2
	s_delay_alu instid0(VALU_DEP_2) | instskip(SKIP_3) | instid1(VALU_DEP_1)
	v_cndmask_b32_e32 v9, v7, v9, vcc_lo
	v_cmp_gt_u32_e32 vcc_lo, 24, v1
	ds_bpermute_b32 v8, v6, v9
	v_cndmask_b32_e64 v7, 0, 1, vcc_lo
	v_lshlrev_b32_e32 v10, 3, v7
	v_add_nc_u32_e32 v7, 4, v1
	s_delay_alu instid0(VALU_DEP_1) | instskip(SKIP_3) | instid1(VALU_DEP_2)
	v_cmp_lt_u32_e32 vcc_lo, v7, v12
	s_waitcnt lgkmcnt(0)
	v_add_f32_e32 v11, v9, v8
	v_add_lshl_u32 v8, v10, v1, 2
	v_cndmask_b32_e32 v11, v9, v11, vcc_lo
	v_cmp_gt_u32_e32 vcc_lo, 16, v1
	ds_bpermute_b32 v10, v8, v11
	v_cndmask_b32_e64 v9, 0, 1, vcc_lo
	s_delay_alu instid0(VALU_DEP_1) | instskip(SKIP_1) | instid1(VALU_DEP_1)
	v_lshlrev_b32_e32 v13, 4, v9
	v_add_nc_u32_e32 v9, 8, v1
	v_cmp_lt_u32_e32 vcc_lo, v9, v12
	s_waitcnt lgkmcnt(0)
	v_add_f32_e32 v14, v11, v10
	v_add_lshl_u32 v10, v13, v1, 2
	s_delay_alu instid0(VALU_DEP_2)
	v_cndmask_b32_e32 v13, v11, v14, vcc_lo
	v_add_nc_u32_e32 v11, 16, v1
	ds_bpermute_b32 v14, v10, v13
	v_cmp_lt_u32_e32 vcc_lo, v11, v12
	s_waitcnt lgkmcnt(0)
	v_add_f32_e32 v14, v13, v14
	s_delay_alu instid0(VALU_DEP_1)
	v_cndmask_b32_e32 v12, v13, v14, vcc_lo
	v_cmpx_eq_u32_e32 0, v1
	s_cbranch_execz .LBB41_12
; %bb.11:
	v_lshrrev_b32_e32 v13, 3, v0
	s_delay_alu instid0(VALU_DEP_1)
	v_and_b32_e32 v13, 0x7c, v13
	ds_store_b32 v13, v12 offset:4096
.LBB41_12:
	s_or_b32 exec_lo, exec_lo, s3
	s_delay_alu instid0(SALU_CYCLE_1)
	s_mov_b32 s3, exec_lo
	s_waitcnt lgkmcnt(0)
	s_barrier
	buffer_gl0_inv
	v_cmpx_gt_u32_e32 32, v0
	s_cbranch_execz .LBB41_14
; %bb.13:
	v_lshlrev_b32_e32 v1, 2, v1
	s_add_i32 s9, s27, 31
	s_delay_alu instid0(SALU_CYCLE_1) | instskip(NEXT) | instid1(SALU_CYCLE_1)
	s_lshr_b32 s9, s9, 5
	v_cmp_gt_u32_e32 vcc_lo, s9, v3
	ds_load_b32 v1, v1 offset:4096
	s_waitcnt lgkmcnt(0)
	ds_bpermute_b32 v2, v2, v1
	s_waitcnt lgkmcnt(0)
	v_add_f32_e32 v2, v1, v2
	s_delay_alu instid0(VALU_DEP_1) | instskip(SKIP_4) | instid1(VALU_DEP_1)
	v_cndmask_b32_e32 v1, v1, v2, vcc_lo
	v_cmp_gt_u32_e32 vcc_lo, s9, v5
	ds_bpermute_b32 v2, v4, v1
	s_waitcnt lgkmcnt(0)
	v_add_f32_e32 v2, v1, v2
	v_cndmask_b32_e32 v1, v1, v2, vcc_lo
	v_cmp_gt_u32_e32 vcc_lo, s9, v7
	ds_bpermute_b32 v2, v6, v1
	s_waitcnt lgkmcnt(0)
	v_add_f32_e32 v2, v1, v2
	s_delay_alu instid0(VALU_DEP_1) | instskip(SKIP_4) | instid1(VALU_DEP_1)
	v_cndmask_b32_e32 v1, v1, v2, vcc_lo
	v_cmp_gt_u32_e32 vcc_lo, s9, v9
	ds_bpermute_b32 v2, v8, v1
	s_waitcnt lgkmcnt(0)
	v_add_f32_e32 v2, v1, v2
	v_cndmask_b32_e32 v1, v1, v2, vcc_lo
	v_cmp_gt_u32_e32 vcc_lo, s9, v11
	ds_bpermute_b32 v2, v10, v1
	s_waitcnt lgkmcnt(0)
	v_add_f32_e32 v2, v1, v2
	s_delay_alu instid0(VALU_DEP_1)
	v_cndmask_b32_e32 v12, v1, v2, vcc_lo
.LBB41_14:
	s_or_b32 exec_lo, exec_lo, s3
	s_delay_alu instid0(SALU_CYCLE_1)
	s_mov_b32 s3, exec_lo
	v_cmpx_eq_u32_e32 0, v0
	s_cbranch_execz .LBB41_16
; %bb.15:
	v_cvt_f32_i32_e32 v1, s17
	s_delay_alu instid0(VALU_DEP_1) | instskip(SKIP_1) | instid1(VALU_DEP_2)
	v_div_scale_f32 v2, null, v1, v1, v12
	v_div_scale_f32 v5, vcc_lo, v12, v1, v12
	v_rcp_f32_e32 v3, v2
	s_waitcnt_depctr 0xfff
	v_fma_f32 v4, -v2, v3, 1.0
	s_delay_alu instid0(VALU_DEP_1) | instskip(NEXT) | instid1(VALU_DEP_1)
	v_fmac_f32_e32 v3, v4, v3
	v_mul_f32_e32 v4, v5, v3
	s_delay_alu instid0(VALU_DEP_1) | instskip(NEXT) | instid1(VALU_DEP_1)
	v_fma_f32 v6, -v2, v4, v5
	v_fmac_f32_e32 v4, v6, v3
	s_delay_alu instid0(VALU_DEP_1) | instskip(NEXT) | instid1(VALU_DEP_1)
	v_fma_f32 v2, -v2, v4, v5
	v_div_fmas_f32 v2, v2, v3, v4
	s_delay_alu instid0(VALU_DEP_1) | instskip(NEXT) | instid1(VALU_DEP_1)
	v_div_fixup_f32 v1, v2, v1, v12
	v_add_f32_e32 v1, s16, v1
	s_delay_alu instid0(VALU_DEP_1) | instskip(SKIP_1) | instid1(VALU_DEP_2)
	v_mul_f32_e32 v2, 0x4b800000, v1
	v_cmp_gt_f32_e32 vcc_lo, 0x800000, v1
	v_cndmask_b32_e32 v1, v1, v2, vcc_lo
	s_delay_alu instid0(VALU_DEP_1) | instskip(SKIP_2) | instid1(VALU_DEP_1)
	v_rsq_f32_e32 v1, v1
	s_waitcnt_depctr 0xfff
	v_mul_f32_e32 v2, 0x45800000, v1
	v_dual_cndmask_b32 v1, v1, v2 :: v_dual_mov_b32 v2, 0
	ds_store_b32 v2, v1 offset:4224
.LBB41_16:
	s_or_b32 exec_lo, exec_lo, s3
	s_ashr_i32 s13, s17, 31
	s_waitcnt lgkmcnt(0)
	s_lshr_b32 s3, s13, 26
	s_barrier
	s_add_i32 s3, s17, s3
	buffer_gl0_inv
	s_ashr_i32 s16, s3, 6
	s_ashr_i32 s3, s3, 31
	s_abs_i32 s9, s16
	s_delay_alu instid0(SALU_CYCLE_1) | instskip(SKIP_1) | instid1(VALU_DEP_1)
	v_cvt_f32_u32_e32 v1, s9
	s_sub_i32 s18, 0, s9
	v_rcp_iflag_f32_e32 v1, v1
	s_waitcnt_depctr 0xfff
	v_mul_f32_e32 v1, 0x4f7ffffe, v1
	s_delay_alu instid0(VALU_DEP_1) | instskip(NEXT) | instid1(VALU_DEP_1)
	v_cvt_u32_f32_e32 v1, v1
	v_readfirstlane_b32 s17, v1
	s_delay_alu instid0(VALU_DEP_1) | instskip(NEXT) | instid1(SALU_CYCLE_1)
	s_mul_i32 s18, s18, s17
	s_mul_hi_u32 s18, s17, s18
	s_delay_alu instid0(SALU_CYCLE_1) | instskip(NEXT) | instid1(SALU_CYCLE_1)
	s_add_i32 s17, s17, s18
	s_mul_hi_u32 s17, s27, s17
	s_delay_alu instid0(SALU_CYCLE_1) | instskip(SKIP_2) | instid1(SALU_CYCLE_1)
	s_mul_i32 s18, s17, s9
	s_add_i32 s19, s17, 1
	s_sub_i32 s18, s27, s18
	s_sub_i32 s20, s18, s9
	s_cmp_ge_u32 s18, s9
	s_cselect_b32 s17, s19, s17
	s_cselect_b32 s18, s20, s18
	s_add_i32 s19, s17, 1
	s_cmp_ge_u32 s18, s9
	s_cselect_b32 s9, s19, s17
	s_delay_alu instid0(SALU_CYCLE_1) | instskip(NEXT) | instid1(SALU_CYCLE_1)
	s_xor_b32 s9, s9, s3
	s_sub_i32 s18, s9, s3
	s_delay_alu instid0(SALU_CYCLE_1) | instskip(SKIP_3) | instid1(VALU_DEP_1)
	s_abs_i32 s3, s18
	s_ashr_i32 s19, s18, 31
	v_cvt_f32_u32_e32 v1, s3
	s_sub_i32 s9, 0, s3
	v_rcp_iflag_f32_e32 v1, v1
	s_waitcnt_depctr 0xfff
	v_mul_f32_e32 v1, 0x4f7ffffe, v1
	s_delay_alu instid0(VALU_DEP_1) | instskip(NEXT) | instid1(VALU_DEP_1)
	v_cvt_u32_f32_e32 v1, v1
	v_mul_lo_u32 v2, s9, v1
	s_ashr_i32 s9, s8, 31
	s_delay_alu instid0(VALU_DEP_1) | instskip(NEXT) | instid1(VALU_DEP_1)
	v_mul_hi_u32 v2, v1, v2
	v_add_nc_u32_e32 v1, v1, v2
	s_delay_alu instid0(VALU_DEP_1) | instskip(NEXT) | instid1(VALU_DEP_1)
	v_mul_hi_u32 v1, v0, v1
	v_mul_lo_u32 v2, v1, s3
	v_add_nc_u32_e32 v3, 1, v1
	s_delay_alu instid0(VALU_DEP_2) | instskip(NEXT) | instid1(VALU_DEP_1)
	v_sub_nc_u32_e32 v2, v0, v2
	v_subrev_nc_u32_e32 v4, s3, v2
	v_cmp_le_u32_e32 vcc_lo, s3, v2
	s_delay_alu instid0(VALU_DEP_2) | instskip(NEXT) | instid1(VALU_DEP_1)
	v_dual_cndmask_b32 v1, v1, v3 :: v_dual_cndmask_b32 v2, v2, v4
	v_dual_mov_b32 v4, 0 :: v_dual_add_nc_u32 v3, 1, v1
	s_delay_alu instid0(VALU_DEP_2) | instskip(SKIP_2) | instid1(VALU_DEP_1)
	v_cmp_le_u32_e32 vcc_lo, s3, v2
	ds_load_b32 v28, v4 offset:4224
	v_cndmask_b32_e32 v1, v1, v3, vcc_lo
	v_xor_b32_e32 v1, s19, v1
	s_delay_alu instid0(VALU_DEP_1) | instskip(NEXT) | instid1(VALU_DEP_1)
	v_subrev_nc_u32_e32 v1, s19, v1
	v_ashrrev_i32_e32 v2, 31, v1
	v_mul_lo_u32 v3, v1, s18
	s_delay_alu instid0(VALU_DEP_2) | instskip(NEXT) | instid1(VALU_DEP_2)
	v_lshlrev_b64 v[7:8], 4, v[1:2]
	v_sub_nc_u32_e32 v3, v0, v3
	s_delay_alu instid0(VALU_DEP_2) | instskip(NEXT) | instid1(VALU_DEP_3)
	v_add_co_u32 v5, vcc_lo, v7, 16
	v_add_co_ci_u32_e32 v6, vcc_lo, 0, v8, vcc_lo
	s_delay_alu instid0(VALU_DEP_1) | instskip(SKIP_4) | instid1(VALU_DEP_3)
	v_cmp_gt_i64_e32 vcc_lo, s[8:9], v[5:6]
	v_cndmask_b32_e32 v6, s9, v6, vcc_lo
	v_cndmask_b32_e32 v5, s8, v5, vcc_lo
	v_add_co_u32 v7, vcc_lo, v7, v3
	v_add_co_ci_u32_e32 v8, vcc_lo, 0, v8, vcc_lo
	v_ashrrev_i32_e32 v10, 31, v5
	v_mov_b32_e32 v9, v5
	s_mov_b32 s9, exec_lo
	s_delay_alu instid0(VALU_DEP_1)
	v_cmpx_lt_i64_e64 v[7:8], v[9:10]
	s_cbranch_execz .LBB41_26
; %bb.17:
	v_lshlrev_b64 v[11:12], 8, v[1:2]
	v_lshlrev_b64 v[13:14], 4, v[3:4]
	v_mov_b32_e32 v4, 0
	s_lshl_b64 s[20:21], s[18:19], 6
	s_mul_hi_i32 s17, s18, 3
	s_mul_i32 s28, s18, 3
	s_lshl_b64 s[22:23], s[18:19], 1
	v_add_co_u32 v19, vcc_lo, v11, v13
	v_add_co_ci_u32_e32 v20, vcc_lo, v12, v14, vcc_lo
	v_dual_mov_b32 v12, v8 :: v_dual_mov_b32 v11, v7
	s_lshl_b64 s[24:25], s[18:19], 4
	s_mov_b32 s29, 0
                                        ; implicit-def: $sgpr30
	s_branch .LBB41_21
.LBB41_18:                              ;   in Loop: Header=BB41_21 Depth=1
	s_or_b32 exec_lo, exec_lo, s34
	s_delay_alu instid0(SALU_CYCLE_1)
	s_or_not1_b32 s3, s3, exec_lo
.LBB41_19:                              ;   in Loop: Header=BB41_21 Depth=1
	s_or_b32 exec_lo, exec_lo, s33
	s_delay_alu instid0(SALU_CYCLE_1) | instskip(SKIP_1) | instid1(SALU_CYCLE_1)
	s_and_not1_b32 s30, s30, exec_lo
	s_and_b32 s3, s3, exec_lo
	s_or_b32 s30, s30, s3
.LBB41_20:                              ;   in Loop: Header=BB41_21 Depth=1
	s_or_b32 exec_lo, exec_lo, s31
	s_delay_alu instid0(SALU_CYCLE_1) | instskip(NEXT) | instid1(SALU_CYCLE_1)
	s_and_b32 s3, exec_lo, s30
	s_or_b32 s29, s3, s29
	s_delay_alu instid0(SALU_CYCLE_1)
	s_and_not1_b32 exec_lo, exec_lo, s29
	s_cbranch_execz .LBB41_25
.LBB41_21:                              ; =>This Inner Loop Header: Depth=1
	v_add_co_u32 v15, vcc_lo, s14, v19
	v_add_co_ci_u32_e32 v16, vcc_lo, s26, v20, vcc_lo
	v_add_co_u32 v17, vcc_lo, s10, v19
	v_add_co_ci_u32_e32 v18, vcc_lo, s11, v20, vcc_lo
	s_or_b32 s30, s30, exec_lo
	global_load_b128 v[21:24], v[15:16], off
	global_load_b128 v[29:32], v[17:18], off
	s_mov_b32 s31, exec_lo
	s_waitcnt vmcnt(1) lgkmcnt(0)
	v_mul_f32_e32 v14, v28, v22
	v_mul_f32_e32 v13, v28, v21
	;; [unrolled: 1-line block ×3, first 2 shown]
	s_waitcnt vmcnt(0)
	s_delay_alu instid0(VALU_DEP_3) | instskip(NEXT) | instid1(VALU_DEP_2)
	v_dual_mul_f32 v21, v28, v23 :: v_dual_mul_f32 v24, v14, v30
	v_dual_mul_f32 v23, v13, v29 :: v_dual_mul_f32 v22, v22, v32
	s_delay_alu instid0(VALU_DEP_2) | instskip(SKIP_1) | instid1(VALU_DEP_3)
	v_mul_f32_e32 v21, v21, v31
	v_add_co_u32 v13, vcc_lo, v11, s18
	v_max3_f32 v4, v4, |v23|, |v24|
	v_add_co_ci_u32_e32 v14, vcc_lo, s19, v12, vcc_lo
	s_delay_alu instid0(VALU_DEP_2) | instskip(NEXT) | instid1(VALU_DEP_2)
	v_max3_f32 v4, v4, |v21|, |v22|
	v_cmpx_lt_i64_e64 v[13:14], v[9:10]
	s_cbranch_execz .LBB41_20
; %bb.22:                               ;   in Loop: Header=BB41_21 Depth=1
	v_add_co_u32 v15, vcc_lo, v15, s24
	v_add_co_ci_u32_e32 v16, vcc_lo, s25, v16, vcc_lo
	v_add_co_u32 v17, vcc_lo, v17, s24
	v_add_co_ci_u32_e32 v18, vcc_lo, s25, v18, vcc_lo
	s_mov_b32 s3, -1
	global_load_b128 v[21:24], v[15:16], off
	global_load_b128 v[29:32], v[17:18], off
	s_mov_b32 s33, exec_lo
	s_waitcnt vmcnt(1)
	v_mul_f32_e32 v22, v28, v22
	v_mul_f32_e32 v21, v28, v21
	;; [unrolled: 1-line block ×4, first 2 shown]
	s_waitcnt vmcnt(0)
	s_delay_alu instid0(VALU_DEP_3) | instskip(NEXT) | instid1(VALU_DEP_2)
	v_dual_mul_f32 v26, v22, v30 :: v_dual_mul_f32 v25, v21, v29
	v_dual_mul_f32 v23, v23, v31 :: v_dual_mul_f32 v24, v24, v32
	v_add_co_u32 v21, vcc_lo, s22, v11
	s_delay_alu instid0(VALU_DEP_3) | instskip(SKIP_1) | instid1(VALU_DEP_2)
	v_max3_f32 v4, v4, |v25|, |v26|
	v_add_co_ci_u32_e32 v22, vcc_lo, s23, v12, vcc_lo
	v_max3_f32 v4, v4, |v23|, |v24|
	s_delay_alu instid0(VALU_DEP_2)
	v_cmpx_lt_i64_e64 v[21:22], v[9:10]
	s_cbranch_execz .LBB41_19
; %bb.23:                               ;   in Loop: Header=BB41_21 Depth=1
	v_add_co_u32 v15, vcc_lo, v15, s24
	v_add_co_ci_u32_e32 v16, vcc_lo, s25, v16, vcc_lo
	v_add_co_u32 v17, vcc_lo, v17, s24
	v_add_co_ci_u32_e32 v18, vcc_lo, s25, v18, vcc_lo
	v_add_co_u32 v11, vcc_lo, s28, v11
	global_load_b128 v[21:24], v[15:16], off
	global_load_b128 v[29:32], v[17:18], off
	v_add_co_ci_u32_e32 v12, vcc_lo, s17, v12, vcc_lo
	s_delay_alu instid0(VALU_DEP_1)
	v_cmp_lt_i64_e32 vcc_lo, v[11:12], v[9:10]
                                        ; implicit-def: $vgpr11_vgpr12
	s_waitcnt vmcnt(1)
	v_mul_f32_e32 v22, v28, v22
	v_mul_f32_e32 v21, v28, v21
	;; [unrolled: 1-line block ×4, first 2 shown]
	s_waitcnt vmcnt(0)
	s_delay_alu instid0(VALU_DEP_3) | instskip(NEXT) | instid1(VALU_DEP_3)
	v_dual_mul_f32 v22, v22, v30 :: v_dual_mul_f32 v21, v21, v29
	v_mul_f32_e32 v23, v23, v31
	s_delay_alu instid0(VALU_DEP_2) | instskip(SKIP_1) | instid1(VALU_DEP_1)
	v_max3_f32 v4, v4, |v21|, |v22|
	v_mul_f32_e32 v21, v24, v32
	v_max3_f32 v4, v4, |v23|, |v21|
	s_and_saveexec_b32 s34, vcc_lo
	s_delay_alu instid0(SALU_CYCLE_1)
	s_xor_b32 s34, exec_lo, s34
	s_cbranch_execz .LBB41_18
; %bb.24:                               ;   in Loop: Header=BB41_21 Depth=1
	v_add_co_u32 v11, vcc_lo, v15, s24
	v_add_co_ci_u32_e32 v12, vcc_lo, s25, v16, vcc_lo
	v_add_co_u32 v21, vcc_lo, v17, s24
	v_add_co_ci_u32_e32 v22, vcc_lo, s25, v18, vcc_lo
	s_add_u32 s3, s18, s18
	global_load_b128 v[15:18], v[11:12], off
	global_load_b128 v[21:24], v[21:22], off
	s_addc_u32 s35, s19, s19
	s_add_u32 s3, s3, s18
	s_addc_u32 s35, s35, s19
	s_waitcnt vmcnt(1)
	v_mul_f32_e32 v11, v28, v15
	v_mul_f32_e32 v12, v28, v16
	;; [unrolled: 1-line block ×3, first 2 shown]
	s_waitcnt vmcnt(0)
	s_delay_alu instid0(VALU_DEP_3) | instskip(NEXT) | instid1(VALU_DEP_3)
	v_dual_mul_f32 v16, v28, v18 :: v_dual_mul_f32 v17, v11, v21
	v_mul_f32_e32 v18, v12, v22
	v_add_co_u32 v11, vcc_lo, s3, v13
	v_mul_f32_e32 v13, v15, v23
	v_add_co_ci_u32_e32 v12, vcc_lo, s35, v14, vcc_lo
	v_mul_f32_e32 v14, v16, v24
	v_max3_f32 v4, v4, |v17|, |v18|
	v_add_co_u32 v19, s3, v19, s20
	s_delay_alu instid0(VALU_DEP_4) | instskip(SKIP_1) | instid1(VALU_DEP_4)
	v_cmp_ge_i64_e32 vcc_lo, v[11:12], v[9:10]
	v_add_co_ci_u32_e64 v20, s3, s21, v20, s3
	v_max3_f32 v4, v4, |v13|, |v14|
	s_or_not1_b32 s3, vcc_lo, exec_lo
	s_branch .LBB41_18
.LBB41_25:
	s_or_b32 exec_lo, exec_lo, s29
.LBB41_26:
	s_delay_alu instid0(SALU_CYCLE_1)
	s_or_b32 exec_lo, exec_lo, s9
	s_lshr_b32 s9, s27, 5
	v_lshlrev_b32_e32 v29, 2, v0
	v_cvt_f32_u32_e32 v9, s9
	s_sub_i32 s17, 0, s9
	s_add_i32 s20, s16, s9
	s_delay_alu instid0(SALU_CYCLE_1) | instskip(NEXT) | instid1(VALU_DEP_1)
	s_add_i32 s20, s20, -1
	v_rcp_iflag_f32_e32 v9, v9
	s_abs_i32 s21, s20
	s_ashr_i32 s20, s20, 31
	ds_store_b32 v29, v4
	s_waitcnt lgkmcnt(0)
	s_barrier
	buffer_gl0_inv
	v_mul_f32_e32 v9, 0x4f7ffffe, v9
	s_delay_alu instid0(VALU_DEP_1) | instskip(NEXT) | instid1(VALU_DEP_1)
	v_cvt_u32_f32_e32 v9, v9
	v_readfirstlane_b32 s3, v9
	s_delay_alu instid0(VALU_DEP_1) | instskip(NEXT) | instid1(SALU_CYCLE_1)
	s_mul_i32 s17, s17, s3
	s_mul_hi_u32 s17, s3, s17
	s_delay_alu instid0(SALU_CYCLE_1) | instskip(SKIP_2) | instid1(SALU_CYCLE_1)
	s_add_i32 s3, s3, s17
	s_ashr_i32 s17, s16, 31
	s_mul_hi_u32 s3, s21, s3
	s_mul_i32 s22, s3, s9
	s_delay_alu instid0(SALU_CYCLE_1)
	s_sub_i32 s21, s21, s22
	s_add_i32 s22, s3, 1
	s_sub_i32 s23, s21, s9
	s_cmp_ge_u32 s21, s9
	s_cselect_b32 s3, s22, s3
	s_cselect_b32 s21, s23, s21
	s_add_i32 s22, s3, 1
	s_cmp_ge_u32 s21, s9
	s_cselect_b32 s3, s22, s3
	s_delay_alu instid0(SALU_CYCLE_1) | instskip(NEXT) | instid1(SALU_CYCLE_1)
	s_xor_b32 s3, s3, s20
	s_sub_i32 s20, s3, s20
	s_delay_alu instid0(SALU_CYCLE_1) | instskip(NEXT) | instid1(SALU_CYCLE_1)
	s_ashr_i32 s21, s20, 31
	v_cmp_lt_i64_e64 s3, s[20:21], 1
	s_delay_alu instid0(VALU_DEP_1)
	s_and_b32 vcc_lo, exec_lo, s3
	s_cbranch_vccnz .LBB41_46
; %bb.27:
	v_lshrrev_b32_e32 v9, 5, v0
	v_and_b32_e32 v4, 31, v0
	s_mov_b64 s[22:23], 0
	s_mov_b64 s[24:25], src_shared_base
	s_delay_alu instid0(VALU_DEP_2) | instskip(NEXT) | instid1(VALU_DEP_2)
	v_mul_lo_u32 v19, s18, v9
	v_add_co_u32 v11, s3, v4, 16
	s_delay_alu instid0(VALU_DEP_1) | instskip(SKIP_1) | instid1(VALU_DEP_1)
	v_add_co_ci_u32_e64 v12, null, 0, 0, s3
	v_add_co_u32 v13, s3, v4, 8
	v_add_co_ci_u32_e64 v14, null, 0, 0, s3
	v_add_co_u32 v15, s3, v4, 4
	v_dual_mov_b32 v10, 0 :: v_dual_lshlrev_b32 v21, 2, v19
	v_lshlrev_b32_e32 v22, 2, v4
	v_add_co_ci_u32_e64 v16, null, 0, 0, s3
	v_add_co_u32 v17, s3, v4, 2
	s_delay_alu instid0(VALU_DEP_1) | instskip(SKIP_1) | instid1(VALU_DEP_1)
	v_add_co_ci_u32_e64 v18, null, 0, 0, s3
	v_add_co_u32 v19, s3, v4, 1
	v_add_co_ci_u32_e64 v20, null, 0, 0, s3
	v_add3_u32 v30, v21, v22, 0x80
	s_mul_i32 s3, s18, s9
	s_delay_alu instid0(SALU_CYCLE_1)
	s_lshl_b32 s28, s3, 2
	s_branch .LBB41_30
.LBB41_28:                              ;   in Loop: Header=BB41_30 Depth=1
	s_or_b32 exec_lo, exec_lo, s3
	v_mov_b32_e32 v22, s25
	flat_load_b32 v21, v[21:22] glc dlc
	s_waitcnt vmcnt(0)
.LBB41_29:                              ;   in Loop: Header=BB41_30 Depth=1
	s_or_b32 exec_lo, exec_lo, s24
	s_add_u32 s22, s22, 1
	v_add_nc_u32_e32 v30, s28, v30
	s_addc_u32 s23, s23, 0
	s_delay_alu instid0(SALU_CYCLE_1)
	s_cmp_eq_u64 s[22:23], s[20:21]
	s_cbranch_scc1 .LBB41_46
.LBB41_30:                              ; =>This Loop Header: Depth=1
                                        ;     Child Loop BB41_33 Depth 2
	s_waitcnt lgkmcnt(0)
	v_mad_u64_u32 v[21:22], null, s22, s9, v[9:10]
	s_mov_b32 s24, exec_lo
	s_delay_alu instid0(VALU_DEP_1) | instskip(NEXT) | instid1(VALU_DEP_1)
	v_mad_u64_u32 v[23:24], null, s23, s9, v[22:23]
	v_mov_b32_e32 v22, v23
	s_delay_alu instid0(VALU_DEP_1)
	v_cmpx_gt_i64_e64 s[16:17], v[21:22]
	s_cbranch_execz .LBB41_29
; %bb.31:                               ;   in Loop: Header=BB41_30 Depth=1
	v_mul_lo_u32 v24, v22, s18
	v_mul_lo_u32 v25, v21, s19
	v_mad_u64_u32 v[22:23], null, v21, s18, 0
	s_delay_alu instid0(VALU_DEP_1) | instskip(NEXT) | instid1(VALU_DEP_2)
	v_add3_u32 v23, v23, v25, v24
	v_add_co_u32 v24, vcc_lo, v22, s18
	v_add_co_u32 v31, s3, v22, v4
	s_delay_alu instid0(VALU_DEP_3) | instskip(SKIP_2) | instid1(VALU_DEP_2)
	v_add_co_ci_u32_e32 v25, vcc_lo, s19, v23, vcc_lo
	v_add_co_ci_u32_e64 v21, s3, 0, v23, s3
	s_mov_b32 s3, exec_lo
	v_cmp_gt_i64_e32 vcc_lo, s[12:13], v[24:25]
	v_cndmask_b32_e32 v25, s13, v25, vcc_lo
	v_cndmask_b32_e32 v24, s12, v24, vcc_lo
	v_add_co_u32 v26, vcc_lo, v31, 32
	v_add_co_ci_u32_e32 v27, vcc_lo, 0, v21, vcc_lo
	v_lshlrev_b32_e32 v21, 2, v31
	s_delay_alu instid0(VALU_DEP_2)
	v_cmpx_lt_i64_e64 v[26:27], v[24:25]
	s_cbranch_execz .LBB41_34
; %bb.32:                               ;   in Loop: Header=BB41_30 Depth=1
	ds_load_b32 v33, v21
	v_mov_b32_e32 v32, v30
	s_mov_b32 s29, 0
.LBB41_33:                              ;   Parent Loop BB41_30 Depth=1
                                        ; =>  This Inner Loop Header: Depth=2
	ds_load_b32 v34, v32
	v_add_co_u32 v26, vcc_lo, v26, 32
	v_add_co_ci_u32_e32 v27, vcc_lo, 0, v27, vcc_lo
	s_waitcnt lgkmcnt(1)
	v_dual_max_f32 v33, v33, v33 :: v_dual_add_nc_u32 v32, 0x80, v32
	s_delay_alu instid0(VALU_DEP_2) | instskip(SKIP_3) | instid1(VALU_DEP_1)
	v_cmp_ge_i64_e32 vcc_lo, v[26:27], v[24:25]
	s_or_b32 s29, vcc_lo, s29
	s_waitcnt lgkmcnt(0)
	v_max_f32_e32 v34, v34, v34
	v_max_f32_e32 v33, v33, v34
	ds_store_b32 v21, v33
	s_and_not1_b32 exec_lo, exec_lo, s29
	s_cbranch_execnz .LBB41_33
.LBB41_34:                              ;   in Loop: Header=BB41_30 Depth=1
	s_or_b32 exec_lo, exec_lo, s3
	v_sub_co_u32 v22, vcc_lo, v24, v22
	v_sub_co_ci_u32_e32 v23, vcc_lo, v25, v23, vcc_lo
	s_mov_b32 s3, exec_lo
	s_delay_alu instid0(VALU_DEP_1) | instskip(SKIP_1) | instid1(VALU_DEP_1)
	v_cmp_gt_i64_e32 vcc_lo, 32, v[22:23]
	v_dual_cndmask_b32 v24, 0, v23 :: v_dual_cndmask_b32 v23, 32, v22
	v_cmpx_lt_i64_e64 v[11:12], v[23:24]
	s_cbranch_execz .LBB41_36
; %bb.35:                               ;   in Loop: Header=BB41_30 Depth=1
	v_dual_mov_b32 v22, s25 :: v_dual_add_nc_u32 v25, 64, v21
	v_mov_b32_e32 v26, s25
	flat_load_b32 v27, v[21:22] glc dlc
	s_waitcnt vmcnt(0)
	flat_load_b32 v25, v[25:26] glc dlc
	s_waitcnt vmcnt(0) lgkmcnt(0)
	v_dual_max_f32 v26, v27, v27 :: v_dual_max_f32 v25, v25, v25
	s_delay_alu instid0(VALU_DEP_1)
	v_max_f32_e32 v25, v26, v25
	flat_store_b32 v[21:22], v25 dlc
	s_waitcnt_vscnt null, 0x0
.LBB41_36:                              ;   in Loop: Header=BB41_30 Depth=1
	s_or_b32 exec_lo, exec_lo, s3
	s_delay_alu instid0(SALU_CYCLE_1)
	s_mov_b32 s3, exec_lo
	v_cmpx_lt_i64_e64 v[13:14], v[23:24]
	s_cbranch_execz .LBB41_38
; %bb.37:                               ;   in Loop: Header=BB41_30 Depth=1
	v_dual_mov_b32 v22, s25 :: v_dual_add_nc_u32 v25, 32, v21
	v_mov_b32_e32 v26, s25
	flat_load_b32 v27, v[21:22] glc dlc
	s_waitcnt vmcnt(0)
	flat_load_b32 v25, v[25:26] glc dlc
	s_waitcnt vmcnt(0) lgkmcnt(0)
	v_dual_max_f32 v26, v27, v27 :: v_dual_max_f32 v25, v25, v25
	s_delay_alu instid0(VALU_DEP_1)
	v_max_f32_e32 v25, v26, v25
	flat_store_b32 v[21:22], v25 dlc
	s_waitcnt_vscnt null, 0x0
.LBB41_38:                              ;   in Loop: Header=BB41_30 Depth=1
	s_or_b32 exec_lo, exec_lo, s3
	s_delay_alu instid0(SALU_CYCLE_1)
	s_mov_b32 s3, exec_lo
	v_cmpx_ge_i64_e64 v[15:16], v[23:24]
	s_xor_b32 s3, exec_lo, s3
; %bb.39:                               ;   in Loop: Header=BB41_30 Depth=1
                                        ; implicit-def: $vgpr21
; %bb.40:                               ;   in Loop: Header=BB41_30 Depth=1
	s_delay_alu instid0(SALU_CYCLE_1)
	s_and_not1_saveexec_b32 s3, s3
	s_cbranch_execz .LBB41_42
; %bb.41:                               ;   in Loop: Header=BB41_30 Depth=1
	v_dual_mov_b32 v22, s25 :: v_dual_add_nc_u32 v25, 16, v21
	v_mov_b32_e32 v26, s25
	flat_load_b32 v27, v[21:22] glc dlc
	s_waitcnt vmcnt(0)
	flat_load_b32 v25, v[25:26] glc dlc
	s_waitcnt vmcnt(0) lgkmcnt(0)
	v_dual_max_f32 v26, v27, v27 :: v_dual_max_f32 v25, v25, v25
	s_delay_alu instid0(VALU_DEP_1)
	v_max_f32_e32 v25, v26, v25
	flat_store_b32 v[21:22], v25 dlc
	s_waitcnt_vscnt null, 0x0
.LBB41_42:                              ;   in Loop: Header=BB41_30 Depth=1
	s_or_b32 exec_lo, exec_lo, s3
	v_lshlrev_b32_e32 v21, 2, v31
	s_mov_b32 s3, exec_lo
	v_cmpx_lt_i64_e64 v[17:18], v[23:24]
	s_cbranch_execz .LBB41_44
; %bb.43:                               ;   in Loop: Header=BB41_30 Depth=1
	s_delay_alu instid0(VALU_DEP_2)
	v_dual_mov_b32 v22, s25 :: v_dual_add_nc_u32 v25, 8, v21
	v_mov_b32_e32 v26, s25
	flat_load_b32 v27, v[21:22] glc dlc
	s_waitcnt vmcnt(0)
	flat_load_b32 v25, v[25:26] glc dlc
	s_waitcnt vmcnt(0) lgkmcnt(0)
	v_dual_max_f32 v26, v27, v27 :: v_dual_max_f32 v25, v25, v25
	s_delay_alu instid0(VALU_DEP_1)
	v_max_f32_e32 v25, v26, v25
	flat_store_b32 v[21:22], v25 dlc
	s_waitcnt_vscnt null, 0x0
.LBB41_44:                              ;   in Loop: Header=BB41_30 Depth=1
	s_or_b32 exec_lo, exec_lo, s3
	s_delay_alu instid0(SALU_CYCLE_1)
	s_mov_b32 s3, exec_lo
	v_cmpx_lt_i64_e64 v[19:20], v[23:24]
	s_cbranch_execz .LBB41_28
; %bb.45:                               ;   in Loop: Header=BB41_30 Depth=1
	v_dual_mov_b32 v22, s25 :: v_dual_add_nc_u32 v23, 4, v21
	v_mov_b32_e32 v24, s25
	flat_load_b32 v25, v[21:22] glc dlc
	s_waitcnt vmcnt(0)
	flat_load_b32 v23, v[23:24] glc dlc
	s_waitcnt vmcnt(0) lgkmcnt(0)
	v_dual_max_f32 v24, v25, v25 :: v_dual_max_f32 v23, v23, v23
	s_delay_alu instid0(VALU_DEP_1)
	v_max_f32_e32 v23, v24, v23
	flat_store_b32 v[21:22], v23 dlc
	s_waitcnt_vscnt null, 0x0
	s_branch .LBB41_28
.LBB41_46:
	v_cmp_lt_i64_e32 vcc_lo, v[7:8], v[5:6]
	v_cmp_eq_u32_e64 s3, 0, v3
	s_mul_i32 s9, s17, s15
	s_mul_hi_u32 s18, s16, s15
	s_mul_i32 s16, s16, s15
	s_waitcnt lgkmcnt(0)
	s_and_b32 s17, s3, vcc_lo
	s_barrier
	buffer_gl0_inv
	s_and_saveexec_b32 s3, s17
	s_cbranch_execz .LBB41_50
; %bb.47:
	s_load_b64 s[0:1], s[0:1], 0x20
	ds_load_b32 v3, v29
	s_waitcnt lgkmcnt(0)
	s_cmp_eq_u64 s[0:1], 0
	s_cbranch_scc1 .LBB41_49
; %bb.48:
	s_load_b32 s0, s[0:1], 0x0
	v_max_f32_e32 v3, v3, v3
	s_waitcnt lgkmcnt(0)
	v_max_f32_e64 v4, s0, s0
	s_delay_alu instid0(VALU_DEP_1)
	v_min_f32_e32 v3, v3, v4
.LBB41_49:
	s_delay_alu instid0(VALU_DEP_1) | instskip(SKIP_2) | instid1(VALU_DEP_2)
	v_div_scale_f32 v4, null, 0x42fe0000, 0x42fe0000, v3
	v_div_scale_f32 v7, vcc_lo, v3, 0x42fe0000, v3
	s_add_i32 s17, s18, s9
	v_rcp_f32_e32 v5, v4
	v_lshlrev_b64 v[1:2], 2, v[1:2]
	s_lshl_b64 s[0:1], s[16:17], 2
	s_delay_alu instid0(SALU_CYCLE_1) | instskip(SKIP_3) | instid1(VALU_DEP_1)
	s_add_u32 s0, s6, s0
	s_addc_u32 s1, s7, s1
	s_waitcnt_depctr 0xfff
	v_fma_f32 v6, -v4, v5, 1.0
	v_fmac_f32_e32 v5, v6, v5
	s_delay_alu instid0(VALU_DEP_1) | instskip(NEXT) | instid1(VALU_DEP_1)
	v_mul_f32_e32 v6, v7, v5
	v_fma_f32 v8, -v4, v6, v7
	s_delay_alu instid0(VALU_DEP_1) | instskip(NEXT) | instid1(VALU_DEP_1)
	v_fmac_f32_e32 v6, v8, v5
	v_fma_f32 v4, -v4, v6, v7
	s_delay_alu instid0(VALU_DEP_1) | instskip(SKIP_2) | instid1(VALU_DEP_3)
	v_div_fmas_f32 v4, v4, v5, v6
	v_add_co_u32 v1, vcc_lo, s0, v1
	v_add_co_ci_u32_e32 v2, vcc_lo, s1, v2, vcc_lo
	v_div_fixup_f32 v3, v4, 0x42fe0000, v3
	s_delay_alu instid0(VALU_DEP_1)
	v_max_f32_e32 v3, 0x34000000, v3
	global_store_b32 v[1:2], v3, off
.LBB41_50:
	s_or_b32 exec_lo, exec_lo, s3
	s_waitcnt_vscnt null, 0x0
	s_barrier
	buffer_gl0_inv
	s_and_saveexec_b32 s0, s2
	s_cbranch_execz .LBB41_59
; %bb.51:
	s_mul_i32 s0, s13, s15
	s_mul_hi_u32 s1, s12, s15
	s_mul_i32 s2, s12, s15
	s_add_i32 s1, s1, s0
	s_add_u32 s2, s4, s2
	s_addc_u32 s3, s5, s1
	s_add_i32 s17, s18, s9
	v_mov_b32_e32 v1, 0
	s_lshl_b64 s[0:1], s[16:17], 2
	s_mul_i32 s4, s27, 3
	s_add_u32 s0, s6, s0
	s_addc_u32 s1, s7, s1
	s_lshl_b32 s5, s27, 1
	s_mov_b32 s6, 0
	s_add_i32 s7, s27, s27
                                        ; implicit-def: $sgpr9
	s_branch .LBB41_55
.LBB41_52:                              ;   in Loop: Header=BB41_55 Depth=1
	s_or_b32 exec_lo, exec_lo, s15
	s_delay_alu instid0(SALU_CYCLE_1)
	s_or_not1_b32 s15, s16, exec_lo
.LBB41_53:                              ;   in Loop: Header=BB41_55 Depth=1
	s_or_b32 exec_lo, exec_lo, s13
	s_delay_alu instid0(SALU_CYCLE_1) | instskip(SKIP_1) | instid1(SALU_CYCLE_1)
	s_and_not1_b32 s9, s9, exec_lo
	s_and_b32 s13, s15, exec_lo
	s_or_b32 s9, s9, s13
.LBB41_54:                              ;   in Loop: Header=BB41_55 Depth=1
	s_or_b32 exec_lo, exec_lo, s12
	s_delay_alu instid0(SALU_CYCLE_1) | instskip(NEXT) | instid1(SALU_CYCLE_1)
	s_and_b32 s12, exec_lo, s9
	s_or_b32 s6, s12, s6
	s_delay_alu instid0(SALU_CYCLE_1)
	s_and_not1_b32 exec_lo, exec_lo, s6
	s_cbranch_execz .LBB41_59
.LBB41_55:                              ; =>This Inner Loop Header: Depth=1
	v_lshrrev_b32_e32 v2, 2, v0
	v_lshlrev_b64 v[6:7], 4, v[0:1]
	s_or_b32 s9, s9, exec_lo
	s_mov_b32 s12, exec_lo
	s_delay_alu instid0(VALU_DEP_2)
	v_and_b32_e32 v2, 0xffffffc, v2
	global_load_b32 v10, v2, s[0:1]
	v_add_co_u32 v2, vcc_lo, s14, v6
	v_add_co_ci_u32_e32 v3, vcc_lo, s26, v7, vcc_lo
	v_add_co_u32 v6, vcc_lo, s10, v6
	v_add_co_ci_u32_e32 v7, vcc_lo, s11, v7, vcc_lo
	global_load_b128 v[2:5], v[2:3], off
	global_load_b128 v[6:9], v[6:7], off
	s_waitcnt vmcnt(2)
	v_div_scale_f32 v11, null, v10, v10, 1.0
	v_div_scale_f32 v14, vcc_lo, 1.0, v10, 1.0
	s_delay_alu instid0(VALU_DEP_2)
	v_rcp_f32_e32 v12, v11
	s_waitcnt vmcnt(1)
	v_mul_f32_e32 v3, v28, v3
	v_mul_f32_e32 v4, v28, v4
	;; [unrolled: 1-line block ×4, first 2 shown]
	s_waitcnt vmcnt(0)
	v_mul_f32_e32 v3, v3, v7
	s_waitcnt_depctr 0xfff
	v_fma_f32 v13, -v11, v12, 1.0
	v_mul_f32_e32 v2, v2, v6
	v_dual_mul_f32 v4, v4, v8 :: v_dual_mul_f32 v5, v5, v9
	s_delay_alu instid0(VALU_DEP_3) | instskip(NEXT) | instid1(VALU_DEP_1)
	v_fmac_f32_e32 v12, v13, v12
	v_mul_f32_e32 v13, v14, v12
	s_delay_alu instid0(VALU_DEP_1) | instskip(NEXT) | instid1(VALU_DEP_1)
	v_fma_f32 v15, -v11, v13, v14
	v_fmac_f32_e32 v13, v15, v12
	s_delay_alu instid0(VALU_DEP_1) | instskip(NEXT) | instid1(VALU_DEP_1)
	v_fma_f32 v11, -v11, v13, v14
	v_div_fmas_f32 v11, v11, v12, v13
	s_delay_alu instid0(VALU_DEP_1) | instskip(NEXT) | instid1(VALU_DEP_1)
	v_div_fixup_f32 v8, v11, v10, 1.0
	v_mul_f32_e32 v2, v2, v8
	s_delay_alu instid0(VALU_DEP_1) | instskip(SKIP_1) | instid1(VALU_DEP_1)
	v_rndne_f32_e32 v2, v2
	v_mul_f32_e32 v4, v4, v8
	v_rndne_f32_e32 v4, v4
	s_delay_alu instid0(VALU_DEP_1) | instskip(SKIP_3) | instid1(VALU_DEP_2)
	v_cmp_nlt_f32_e32 vcc_lo, 0x42fe0000, v4
	v_cndmask_b32_e32 v6, 0x42fe0000, v4, vcc_lo
	v_mul_f32_e32 v3, v3, v8
	v_cmp_nlt_f32_e32 vcc_lo, 0x42fe0000, v2
	v_rndne_f32_e32 v3, v3
	v_cndmask_b32_e32 v7, 0x42fe0000, v2, vcc_lo
	s_delay_alu instid0(VALU_DEP_2) | instskip(SKIP_2) | instid1(VALU_DEP_2)
	v_cmp_nlt_f32_e32 vcc_lo, 0x42fe0000, v3
	v_dual_mul_f32 v5, v5, v8 :: v_dual_cndmask_b32 v8, 0x42fe0000, v3
	v_cmp_ngt_f32_e32 vcc_lo, 0xc3000000, v4
	v_rndne_f32_e32 v5, v5
	v_cndmask_b32_e32 v4, 0xc3000000, v6, vcc_lo
	s_delay_alu instid0(VALU_DEP_2) | instskip(NEXT) | instid1(VALU_DEP_2)
	v_cmp_nlt_f32_e32 vcc_lo, 0x42fe0000, v5
	v_cvt_i32_f32_e32 v4, v4
	s_delay_alu instid0(VALU_DEP_1) | instskip(SKIP_4) | instid1(VALU_DEP_2)
	v_and_b32_e32 v4, 0xff, v4
	v_cndmask_b32_e32 v6, 0x42fe0000, v5, vcc_lo
	v_cmp_ngt_f32_e32 vcc_lo, 0xc3000000, v3
	v_cndmask_b32_e32 v3, 0xc3000000, v8, vcc_lo
	v_cmp_ngt_f32_e32 vcc_lo, 0xc3000000, v2
	v_cvt_i32_f32_e32 v3, v3
	v_cndmask_b32_e32 v2, 0xc3000000, v7, vcc_lo
	v_cmp_ngt_f32_e32 vcc_lo, 0xc3000000, v5
	v_lshlrev_b32_e32 v7, 16, v4
	s_delay_alu instid0(VALU_DEP_3) | instskip(SKIP_3) | instid1(VALU_DEP_4)
	v_cvt_i32_f32_e32 v2, v2
	v_cndmask_b32_e32 v5, 0xc3000000, v6, vcc_lo
	v_and_b32_e32 v6, 0xff, v3
	v_lshlrev_b64 v[3:4], 2, v[0:1]
	v_and_b32_e32 v8, 0xff, v2
	s_delay_alu instid0(VALU_DEP_4) | instskip(NEXT) | instid1(VALU_DEP_4)
	v_cvt_i32_f32_e32 v5, v5
	v_lshlrev_b32_e32 v6, 8, v6
	v_add_nc_u32_e32 v2, s27, v0
	v_add_co_u32 v3, vcc_lo, s2, v3
	s_delay_alu instid0(VALU_DEP_4) | instskip(SKIP_1) | instid1(VALU_DEP_2)
	v_lshl_or_b32 v5, v5, 24, v7
	v_add_co_ci_u32_e32 v4, vcc_lo, s3, v4, vcc_lo
	v_or3_b32 v5, v5, v6, v8
	global_store_b32 v[3:4], v5, off
	v_cmpx_gt_u32_e64 s8, v2
	s_cbranch_execz .LBB41_54
; %bb.56:                               ;   in Loop: Header=BB41_55 Depth=1
	v_lshrrev_b32_e32 v3, 2, v2
	s_mov_b32 s15, -1
	s_mov_b32 s13, exec_lo
	s_delay_alu instid0(VALU_DEP_1) | instskip(SKIP_2) | instid1(VALU_DEP_1)
	v_and_b32_e32 v3, 0xffffffc, v3
	global_load_b32 v12, v3, s[0:1]
	v_mov_b32_e32 v3, v1
	v_lshlrev_b64 v[8:9], 4, v[2:3]
	s_delay_alu instid0(VALU_DEP_1) | instskip(NEXT) | instid1(VALU_DEP_2)
	v_add_co_u32 v4, vcc_lo, s14, v8
	v_add_co_ci_u32_e32 v5, vcc_lo, s26, v9, vcc_lo
	v_add_co_u32 v8, vcc_lo, s10, v8
	v_add_co_ci_u32_e32 v9, vcc_lo, s11, v9, vcc_lo
	global_load_b128 v[4:7], v[4:5], off
	global_load_b128 v[8:11], v[8:9], off
	s_waitcnt vmcnt(2)
	v_div_scale_f32 v13, null, v12, v12, 1.0
	v_div_scale_f32 v16, vcc_lo, 1.0, v12, 1.0
	s_delay_alu instid0(VALU_DEP_2) | instskip(SKIP_4) | instid1(VALU_DEP_2)
	v_rcp_f32_e32 v14, v13
	s_waitcnt_depctr 0xfff
	v_fma_f32 v15, -v13, v14, 1.0
	s_waitcnt vmcnt(1)
	v_mul_f32_e32 v6, v28, v6
	v_dual_fmac_f32 v14, v15, v14 :: v_dual_mul_f32 v5, v28, v5
	v_mul_f32_e32 v4, v28, v4
	s_waitcnt vmcnt(0)
	s_delay_alu instid0(VALU_DEP_3) | instskip(NEXT) | instid1(VALU_DEP_3)
	v_mul_f32_e32 v6, v6, v10
	v_mul_f32_e32 v15, v16, v14
	s_delay_alu instid0(VALU_DEP_3) | instskip(NEXT) | instid1(VALU_DEP_2)
	v_dual_mul_f32 v5, v5, v9 :: v_dual_mul_f32 v4, v4, v8
	v_fma_f32 v17, -v13, v15, v16
	s_delay_alu instid0(VALU_DEP_1) | instskip(NEXT) | instid1(VALU_DEP_1)
	v_fmac_f32_e32 v15, v17, v14
	v_fma_f32 v13, -v13, v15, v16
	s_delay_alu instid0(VALU_DEP_1) | instskip(NEXT) | instid1(VALU_DEP_1)
	v_div_fmas_f32 v13, v13, v14, v15
	v_div_fixup_f32 v10, v13, v12, 1.0
	s_delay_alu instid0(VALU_DEP_1) | instskip(NEXT) | instid1(VALU_DEP_1)
	v_dual_mul_f32 v7, v28, v7 :: v_dual_mul_f32 v6, v6, v10
	v_dual_mul_f32 v7, v7, v11 :: v_dual_mul_f32 v4, v4, v10
	s_delay_alu instid0(VALU_DEP_2) | instskip(NEXT) | instid1(VALU_DEP_2)
	v_rndne_f32_e32 v6, v6
	v_rndne_f32_e32 v4, v4
	s_delay_alu instid0(VALU_DEP_2) | instskip(SKIP_2) | instid1(VALU_DEP_4)
	v_cmp_nlt_f32_e32 vcc_lo, 0x42fe0000, v6
	v_cndmask_b32_e32 v8, 0x42fe0000, v6, vcc_lo
	v_mul_f32_e32 v5, v5, v10
	v_cmp_nlt_f32_e32 vcc_lo, 0x42fe0000, v4
	s_delay_alu instid0(VALU_DEP_2) | instskip(SKIP_2) | instid1(VALU_DEP_3)
	v_rndne_f32_e32 v5, v5
	v_cndmask_b32_e32 v9, 0x42fe0000, v4, vcc_lo
	v_mul_f32_e32 v7, v7, v10
	v_cmp_nlt_f32_e32 vcc_lo, 0x42fe0000, v5
	s_delay_alu instid0(VALU_DEP_2) | instskip(SKIP_3) | instid1(VALU_DEP_4)
	v_rndne_f32_e32 v7, v7
	v_cndmask_b32_e32 v10, 0x42fe0000, v5, vcc_lo
	v_cmp_ngt_f32_e32 vcc_lo, 0xc3000000, v6
	v_cndmask_b32_e32 v6, 0xc3000000, v8, vcc_lo
	v_cmp_nlt_f32_e32 vcc_lo, 0x42fe0000, v7
	s_delay_alu instid0(VALU_DEP_2) | instskip(SKIP_2) | instid1(VALU_DEP_3)
	v_cvt_i32_f32_e32 v6, v6
	v_cndmask_b32_e32 v8, 0x42fe0000, v7, vcc_lo
	v_cmp_ngt_f32_e32 vcc_lo, 0xc3000000, v5
	v_and_b32_e32 v6, 0xff, v6
	v_cndmask_b32_e32 v5, 0xc3000000, v10, vcc_lo
	v_cmp_ngt_f32_e32 vcc_lo, 0xc3000000, v4
	s_delay_alu instid0(VALU_DEP_3) | instskip(NEXT) | instid1(VALU_DEP_3)
	v_lshlrev_b32_e32 v6, 16, v6
	v_cvt_i32_f32_e32 v5, v5
	v_cndmask_b32_e32 v4, 0xc3000000, v9, vcc_lo
	v_cmp_ngt_f32_e32 vcc_lo, 0xc3000000, v7
	s_delay_alu instid0(VALU_DEP_3) | instskip(SKIP_1) | instid1(VALU_DEP_4)
	v_and_b32_e32 v9, 0xff, v5
	v_cndmask_b32_e32 v7, 0xc3000000, v8, vcc_lo
	v_cvt_i32_f32_e32 v8, v4
	v_lshlrev_b64 v[4:5], 2, v[2:3]
	s_delay_alu instid0(VALU_DEP_4) | instskip(SKIP_4) | instid1(VALU_DEP_3)
	v_lshlrev_b32_e32 v9, 8, v9
	v_add_nc_u32_e32 v3, s5, v0
	v_cvt_i32_f32_e32 v7, v7
	v_and_b32_e32 v8, 0xff, v8
	v_add_co_u32 v4, vcc_lo, s2, v4
	v_lshl_or_b32 v6, v7, 24, v6
	v_add_co_ci_u32_e32 v5, vcc_lo, s3, v5, vcc_lo
	s_delay_alu instid0(VALU_DEP_2)
	v_or3_b32 v6, v6, v9, v8
	global_store_b32 v[4:5], v6, off
	v_cmpx_gt_u32_e64 s8, v3
	s_cbranch_execz .LBB41_53
; %bb.57:                               ;   in Loop: Header=BB41_55 Depth=1
	v_lshrrev_b32_e32 v4, 2, v3
	v_add_nc_u32_e32 v0, s4, v0
	s_mov_b32 s16, -1
	s_mov_b32 s15, exec_lo
	s_delay_alu instid0(VALU_DEP_2) | instskip(SKIP_2) | instid1(VALU_DEP_1)
	v_and_b32_e32 v4, 0xffffffc, v4
	global_load_b32 v13, v4, s[0:1]
	v_mov_b32_e32 v4, v1
	v_lshlrev_b64 v[9:10], 4, v[3:4]
	s_delay_alu instid0(VALU_DEP_1) | instskip(NEXT) | instid1(VALU_DEP_2)
	v_add_co_u32 v5, vcc_lo, s14, v9
	v_add_co_ci_u32_e32 v6, vcc_lo, s26, v10, vcc_lo
	v_add_co_u32 v9, vcc_lo, s10, v9
	v_add_co_ci_u32_e32 v10, vcc_lo, s11, v10, vcc_lo
	global_load_b128 v[5:8], v[5:6], off
	global_load_b128 v[9:12], v[9:10], off
	s_waitcnt vmcnt(2)
	v_div_scale_f32 v14, null, v13, v13, 1.0
	v_div_scale_f32 v17, vcc_lo, 1.0, v13, 1.0
	s_delay_alu instid0(VALU_DEP_2) | instskip(SKIP_4) | instid1(VALU_DEP_2)
	v_rcp_f32_e32 v15, v14
	s_waitcnt_depctr 0xfff
	v_fma_f32 v16, -v14, v15, 1.0
	s_waitcnt vmcnt(1)
	v_mul_f32_e32 v7, v28, v7
	v_fmac_f32_e32 v15, v16, v15
	v_mul_f32_e32 v6, v28, v6
	v_lshlrev_b64 v[3:4], 2, v[3:4]
	v_mul_f32_e32 v5, v28, v5
	s_waitcnt vmcnt(0)
	v_mul_f32_e32 v7, v7, v11
	v_mul_f32_e32 v16, v17, v15
	s_delay_alu instid0(VALU_DEP_3) | instskip(NEXT) | instid1(VALU_DEP_2)
	v_mul_f32_e32 v5, v5, v9
	v_fma_f32 v18, -v14, v16, v17
	s_delay_alu instid0(VALU_DEP_1) | instskip(NEXT) | instid1(VALU_DEP_1)
	v_fmac_f32_e32 v16, v18, v15
	v_fma_f32 v14, -v14, v16, v17
	s_delay_alu instid0(VALU_DEP_1) | instskip(NEXT) | instid1(VALU_DEP_1)
	v_div_fmas_f32 v14, v14, v15, v16
	v_div_fixup_f32 v11, v14, v13, 1.0
	v_mul_f32_e32 v8, v28, v8
	s_delay_alu instid0(VALU_DEP_2) | instskip(SKIP_1) | instid1(VALU_DEP_2)
	v_dual_mul_f32 v6, v6, v10 :: v_dual_mul_f32 v5, v5, v11
	v_mul_f32_e32 v7, v7, v11
	v_rndne_f32_e32 v5, v5
	s_delay_alu instid0(VALU_DEP_2) | instskip(NEXT) | instid1(VALU_DEP_1)
	v_rndne_f32_e32 v7, v7
	v_cmp_nlt_f32_e32 vcc_lo, 0x42fe0000, v7
	v_dual_mul_f32 v8, v8, v12 :: v_dual_cndmask_b32 v9, 0x42fe0000, v7
	v_mul_f32_e32 v6, v6, v11
	v_cmp_nlt_f32_e32 vcc_lo, 0x42fe0000, v5
	s_delay_alu instid0(VALU_DEP_2) | instskip(SKIP_1) | instid1(VALU_DEP_2)
	v_rndne_f32_e32 v6, v6
	v_cndmask_b32_e32 v10, 0x42fe0000, v5, vcc_lo
	v_cmp_nlt_f32_e32 vcc_lo, 0x42fe0000, v6
	v_dual_mul_f32 v8, v8, v11 :: v_dual_cndmask_b32 v11, 0x42fe0000, v6
	s_delay_alu instid0(VALU_DEP_1) | instskip(SKIP_2) | instid1(VALU_DEP_3)
	v_rndne_f32_e32 v8, v8
	v_cmp_ngt_f32_e32 vcc_lo, 0xc3000000, v7
	v_cndmask_b32_e32 v7, 0xc3000000, v9, vcc_lo
	v_cmp_nlt_f32_e32 vcc_lo, 0x42fe0000, v8
	s_delay_alu instid0(VALU_DEP_2) | instskip(SKIP_2) | instid1(VALU_DEP_3)
	v_cvt_i32_f32_e32 v7, v7
	v_cndmask_b32_e32 v9, 0x42fe0000, v8, vcc_lo
	v_cmp_ngt_f32_e32 vcc_lo, 0xc3000000, v6
	v_and_b32_e32 v7, 0xff, v7
	v_cndmask_b32_e32 v6, 0xc3000000, v11, vcc_lo
	v_cmp_ngt_f32_e32 vcc_lo, 0xc3000000, v5
	s_delay_alu instid0(VALU_DEP_3) | instskip(NEXT) | instid1(VALU_DEP_3)
	v_lshlrev_b32_e32 v7, 16, v7
	v_cvt_i32_f32_e32 v6, v6
	v_cndmask_b32_e32 v5, 0xc3000000, v10, vcc_lo
	v_cmp_ngt_f32_e32 vcc_lo, 0xc3000000, v8
	s_delay_alu instid0(VALU_DEP_3) | instskip(NEXT) | instid1(VALU_DEP_3)
	v_and_b32_e32 v6, 0xff, v6
	v_cvt_i32_f32_e32 v5, v5
	s_delay_alu instid0(VALU_DEP_2) | instskip(SKIP_1) | instid1(VALU_DEP_3)
	v_lshlrev_b32_e32 v6, 8, v6
	v_cndmask_b32_e32 v8, 0xc3000000, v9, vcc_lo
	v_and_b32_e32 v5, 0xff, v5
	v_add_co_u32 v3, vcc_lo, s2, v3
	v_add_co_ci_u32_e32 v4, vcc_lo, s3, v4, vcc_lo
	s_delay_alu instid0(VALU_DEP_4) | instskip(NEXT) | instid1(VALU_DEP_1)
	v_cvt_i32_f32_e32 v8, v8
	v_lshl_or_b32 v7, v8, 24, v7
	s_delay_alu instid0(VALU_DEP_1)
	v_or3_b32 v5, v7, v6, v5
	global_store_b32 v[3:4], v5, off
	v_cmpx_gt_u32_e64 s8, v0
	s_cbranch_execz .LBB41_52
; %bb.58:                               ;   in Loop: Header=BB41_55 Depth=1
	v_lshrrev_b32_e32 v3, 2, v0
	v_lshlrev_b64 v[7:8], 4, v[0:1]
	s_delay_alu instid0(VALU_DEP_2)
	v_and_b32_e32 v3, 0xffffffc, v3
	global_load_b32 v11, v3, s[0:1]
	v_add_co_u32 v3, vcc_lo, s14, v7
	v_add_co_ci_u32_e32 v4, vcc_lo, s26, v8, vcc_lo
	v_add_co_u32 v7, vcc_lo, s10, v7
	v_add_co_ci_u32_e32 v8, vcc_lo, s11, v8, vcc_lo
	global_load_b128 v[3:6], v[3:4], off
	global_load_b128 v[7:10], v[7:8], off
	s_waitcnt vmcnt(2)
	v_div_scale_f32 v12, null, v11, v11, 1.0
	v_div_scale_f32 v15, vcc_lo, 1.0, v11, 1.0
	s_delay_alu instid0(VALU_DEP_2)
	v_rcp_f32_e32 v13, v12
	s_waitcnt vmcnt(1)
	v_mul_f32_e32 v6, v28, v6
	v_mul_f32_e32 v5, v28, v5
	v_mul_f32_e32 v4, v28, v4
	s_waitcnt vmcnt(0)
	s_delay_alu instid0(VALU_DEP_3) | instskip(SKIP_4) | instid1(VALU_DEP_3)
	v_mul_f32_e32 v6, v6, v10
	s_waitcnt_depctr 0xfff
	v_fma_f32 v14, -v12, v13, 1.0
	v_mul_f32_e32 v3, v28, v3
	v_mul_f32_e32 v5, v5, v9
	v_fmac_f32_e32 v13, v14, v13
	s_delay_alu instid0(VALU_DEP_3) | instskip(NEXT) | instid1(VALU_DEP_2)
	v_mul_f32_e32 v3, v3, v7
	v_mul_f32_e32 v14, v15, v13
	s_delay_alu instid0(VALU_DEP_1) | instskip(NEXT) | instid1(VALU_DEP_1)
	v_fma_f32 v16, -v12, v14, v15
	v_fmac_f32_e32 v14, v16, v13
	s_delay_alu instid0(VALU_DEP_1) | instskip(NEXT) | instid1(VALU_DEP_1)
	v_fma_f32 v12, -v12, v14, v15
	v_div_fmas_f32 v12, v12, v13, v14
	s_delay_alu instid0(VALU_DEP_1) | instskip(NEXT) | instid1(VALU_DEP_1)
	v_div_fixup_f32 v9, v12, v11, 1.0
	v_dual_mul_f32 v4, v4, v8 :: v_dual_mul_f32 v5, v5, v9
	v_mul_f32_e32 v3, v3, v9
	v_mul_f32_e32 v6, v6, v9
	s_delay_alu instid0(VALU_DEP_3) | instskip(NEXT) | instid1(VALU_DEP_3)
	v_rndne_f32_e32 v5, v5
	v_rndne_f32_e32 v3, v3
	s_delay_alu instid0(VALU_DEP_3) | instskip(NEXT) | instid1(VALU_DEP_3)
	v_rndne_f32_e32 v6, v6
	v_cmp_nlt_f32_e32 vcc_lo, 0x42fe0000, v5
	v_cndmask_b32_e32 v7, 0x42fe0000, v5, vcc_lo
	v_mul_f32_e32 v4, v4, v9
	v_cmp_nlt_f32_e32 vcc_lo, 0x42fe0000, v3
	s_delay_alu instid0(VALU_DEP_2) | instskip(SKIP_1) | instid1(VALU_DEP_2)
	v_rndne_f32_e32 v4, v4
	v_cndmask_b32_e32 v8, 0x42fe0000, v3, vcc_lo
	v_cmp_nlt_f32_e32 vcc_lo, 0x42fe0000, v4
	v_cndmask_b32_e32 v9, 0x42fe0000, v4, vcc_lo
	v_cmp_ngt_f32_e32 vcc_lo, 0xc3000000, v5
	v_cndmask_b32_e32 v5, 0xc3000000, v7, vcc_lo
	v_cmp_nlt_f32_e32 vcc_lo, 0x42fe0000, v6
	s_delay_alu instid0(VALU_DEP_2) | instskip(SKIP_2) | instid1(VALU_DEP_3)
	v_cvt_i32_f32_e32 v5, v5
	v_cndmask_b32_e32 v7, 0x42fe0000, v6, vcc_lo
	v_cmp_ngt_f32_e32 vcc_lo, 0xc3000000, v4
	v_and_b32_e32 v5, 0xff, v5
	v_cndmask_b32_e32 v4, 0xc3000000, v9, vcc_lo
	v_cmp_ngt_f32_e32 vcc_lo, 0xc3000000, v3
	s_delay_alu instid0(VALU_DEP_3) | instskip(NEXT) | instid1(VALU_DEP_3)
	v_lshlrev_b32_e32 v5, 16, v5
	v_cvt_i32_f32_e32 v4, v4
	v_cndmask_b32_e32 v3, 0xc3000000, v8, vcc_lo
	v_cmp_ngt_f32_e32 vcc_lo, 0xc3000000, v6
	s_delay_alu instid0(VALU_DEP_3) | instskip(SKIP_1) | instid1(VALU_DEP_4)
	v_and_b32_e32 v8, 0xff, v4
	v_cndmask_b32_e32 v6, 0xc3000000, v7, vcc_lo
	v_cvt_i32_f32_e32 v7, v3
	v_lshlrev_b64 v[3:4], 2, v[0:1]
	v_add3_u32 v0, s7, s27, v2
	v_lshlrev_b32_e32 v8, 8, v8
	v_cvt_i32_f32_e32 v6, v6
	v_and_b32_e32 v7, 0xff, v7
	v_add_co_u32 v2, vcc_lo, s2, v3
	s_delay_alu instid0(VALU_DEP_3) | instskip(SKIP_2) | instid1(VALU_DEP_3)
	v_lshl_or_b32 v5, v6, 24, v5
	v_add_co_ci_u32_e32 v3, vcc_lo, s3, v4, vcc_lo
	v_cmp_le_u32_e32 vcc_lo, s8, v0
	v_or3_b32 v4, v5, v8, v7
	s_or_not1_b32 s16, vcc_lo, exec_lo
	global_store_b32 v[2:3], v4, off
	s_branch .LBB41_52
.LBB41_59:
	s_nop 0
	s_sendmsg sendmsg(MSG_DEALLOC_VGPRS)
	s_endpgm
	.section	.rodata,"a",@progbits
	.p2align	6, 0x0
	.amdhsa_kernel _ZN4vllm31rms_norm_per_block_quant_kernelIfaLb0ELb0ELi64EEEvPT0_PfPKT_S6_PKffiiPS4_l
		.amdhsa_group_segment_fixed_size 4228
		.amdhsa_private_segment_fixed_size 0
		.amdhsa_kernarg_size 328
		.amdhsa_user_sgpr_count 15
		.amdhsa_user_sgpr_dispatch_ptr 0
		.amdhsa_user_sgpr_queue_ptr 0
		.amdhsa_user_sgpr_kernarg_segment_ptr 1
		.amdhsa_user_sgpr_dispatch_id 0
		.amdhsa_user_sgpr_private_segment_size 0
		.amdhsa_wavefront_size32 1
		.amdhsa_uses_dynamic_stack 0
		.amdhsa_enable_private_segment 0
		.amdhsa_system_sgpr_workgroup_id_x 1
		.amdhsa_system_sgpr_workgroup_id_y 0
		.amdhsa_system_sgpr_workgroup_id_z 0
		.amdhsa_system_sgpr_workgroup_info 0
		.amdhsa_system_vgpr_workitem_id 0
		.amdhsa_next_free_vgpr 35
		.amdhsa_next_free_sgpr 36
		.amdhsa_reserve_vcc 1
		.amdhsa_float_round_mode_32 0
		.amdhsa_float_round_mode_16_64 0
		.amdhsa_float_denorm_mode_32 3
		.amdhsa_float_denorm_mode_16_64 3
		.amdhsa_dx10_clamp 1
		.amdhsa_ieee_mode 1
		.amdhsa_fp16_overflow 0
		.amdhsa_workgroup_processor_mode 1
		.amdhsa_memory_ordered 1
		.amdhsa_forward_progress 0
		.amdhsa_shared_vgpr_count 0
		.amdhsa_exception_fp_ieee_invalid_op 0
		.amdhsa_exception_fp_denorm_src 0
		.amdhsa_exception_fp_ieee_div_zero 0
		.amdhsa_exception_fp_ieee_overflow 0
		.amdhsa_exception_fp_ieee_underflow 0
		.amdhsa_exception_fp_ieee_inexact 0
		.amdhsa_exception_int_div_zero 0
	.end_amdhsa_kernel
	.section	.text._ZN4vllm31rms_norm_per_block_quant_kernelIfaLb0ELb0ELi64EEEvPT0_PfPKT_S6_PKffiiPS4_l,"axG",@progbits,_ZN4vllm31rms_norm_per_block_quant_kernelIfaLb0ELb0ELi64EEEvPT0_PfPKT_S6_PKffiiPS4_l,comdat
.Lfunc_end41:
	.size	_ZN4vllm31rms_norm_per_block_quant_kernelIfaLb0ELb0ELi64EEEvPT0_PfPKT_S6_PKffiiPS4_l, .Lfunc_end41-_ZN4vllm31rms_norm_per_block_quant_kernelIfaLb0ELb0ELi64EEEvPT0_PfPKT_S6_PKffiiPS4_l
                                        ; -- End function
	.section	.AMDGPU.csdata,"",@progbits
; Kernel info:
; codeLenInByte = 6172
; NumSgprs: 38
; NumVgprs: 35
; ScratchSize: 0
; MemoryBound: 0
; FloatMode: 240
; IeeeMode: 1
; LDSByteSize: 4228 bytes/workgroup (compile time only)
; SGPRBlocks: 4
; VGPRBlocks: 4
; NumSGPRsForWavesPerEU: 38
; NumVGPRsForWavesPerEU: 35
; Occupancy: 16
; WaveLimiterHint : 0
; COMPUTE_PGM_RSRC2:SCRATCH_EN: 0
; COMPUTE_PGM_RSRC2:USER_SGPR: 15
; COMPUTE_PGM_RSRC2:TRAP_HANDLER: 0
; COMPUTE_PGM_RSRC2:TGID_X_EN: 1
; COMPUTE_PGM_RSRC2:TGID_Y_EN: 0
; COMPUTE_PGM_RSRC2:TGID_Z_EN: 0
; COMPUTE_PGM_RSRC2:TIDIG_COMP_CNT: 0
	.section	.text._ZN4vllm31rms_norm_per_block_quant_kernelIN3c104HalfENS1_13Float8_e4m3fnELb1ELb1ELi128EEEvPT0_PfPKT_S9_PKffiiPS7_l,"axG",@progbits,_ZN4vllm31rms_norm_per_block_quant_kernelIN3c104HalfENS1_13Float8_e4m3fnELb1ELb1ELi128EEEvPT0_PfPKT_S9_PKffiiPS7_l,comdat
	.protected	_ZN4vllm31rms_norm_per_block_quant_kernelIN3c104HalfENS1_13Float8_e4m3fnELb1ELb1ELi128EEEvPT0_PfPKT_S9_PKffiiPS7_l ; -- Begin function _ZN4vllm31rms_norm_per_block_quant_kernelIN3c104HalfENS1_13Float8_e4m3fnELb1ELb1ELi128EEEvPT0_PfPKT_S9_PKffiiPS7_l
	.globl	_ZN4vllm31rms_norm_per_block_quant_kernelIN3c104HalfENS1_13Float8_e4m3fnELb1ELb1ELi128EEEvPT0_PfPKT_S9_PKffiiPS7_l
	.p2align	8
	.type	_ZN4vllm31rms_norm_per_block_quant_kernelIN3c104HalfENS1_13Float8_e4m3fnELb1ELb1ELi128EEEvPT0_PfPKT_S9_PKffiiPS7_l,@function
_ZN4vllm31rms_norm_per_block_quant_kernelIN3c104HalfENS1_13Float8_e4m3fnELb1ELb1ELi128EEEvPT0_PfPKT_S9_PKffiiPS7_l: ; @_ZN4vllm31rms_norm_per_block_quant_kernelIN3c104HalfENS1_13Float8_e4m3fnELb1ELb1ELi128EEEvPT0_PfPKT_S9_PKffiiPS7_l
; %bb.0:
	s_mov_b32 s16, s15
	s_clause 0x3
	s_load_b128 s[12:15], s[0:1], 0x28
	s_load_b256 s[4:11], s[0:1], 0x0
	s_load_b64 s[2:3], s[0:1], 0x38
	s_load_b32 s34, s[0:1], 0x48
	v_mov_b32_e32 v6, 0
	s_waitcnt lgkmcnt(0)
	s_ashr_i32 s15, s14, 31
	s_mul_hi_u32 s17, s14, s16
	s_mul_i32 s15, s15, s16
	s_ashr_i32 s19, s13, 31
	s_mul_i32 s20, s14, s16
	s_add_i32 s21, s17, s15
	s_mul_hi_u32 s18, s13, s16
	s_mul_i32 s15, s19, s16
	s_lshl_b64 s[20:21], s[20:21], 1
	s_mul_i32 s14, s13, s16
	s_add_i32 s15, s18, s15
	s_add_u32 s28, s8, s20
	s_addc_u32 s29, s9, s21
	s_lshl_b64 s[8:9], s[14:15], 1
	s_mov_b32 s17, 0
	s_add_u32 s30, s2, s8
	s_addc_u32 s31, s3, s9
	s_ashr_i32 s8, s13, 2
	s_add_u32 s20, s0, 0x48
	v_cmp_gt_u32_e64 s2, s8, v0
	s_mov_b32 s18, s13
	s_addc_u32 s21, s1, 0
	s_delay_alu instid0(VALU_DEP_1)
	s_and_saveexec_b32 s3, s2
	s_cbranch_execz .LBB42_10
; %bb.1:
	s_cmp_lt_u32 s16, s34
	v_mov_b32_e32 v2, 0
	s_cselect_b32 s9, 12, 18
                                        ; implicit-def: $sgpr13
	v_mov_b32_e32 v1, v0
	s_add_u32 s22, s20, s9
	s_addc_u32 s23, s21, 0
	s_mov_b32 s9, s17
	global_load_u16 v7, v2, s[22:23]
	s_waitcnt vmcnt(0)
	v_lshlrev_b32_e32 v9, 1, v7
	v_mul_lo_u32 v8, v7, 3
	v_add_nc_u32_e32 v10, v7, v7
	v_mov_b32_e32 v6, v2
	s_branch .LBB42_5
.LBB42_2:                               ;   in Loop: Header=BB42_5 Depth=1
	s_or_b32 exec_lo, exec_lo, s24
	s_delay_alu instid0(SALU_CYCLE_1)
	s_or_not1_b32 s24, s25, exec_lo
.LBB42_3:                               ;   in Loop: Header=BB42_5 Depth=1
	s_or_b32 exec_lo, exec_lo, s23
	s_delay_alu instid0(SALU_CYCLE_1) | instskip(SKIP_1) | instid1(SALU_CYCLE_1)
	s_and_not1_b32 s13, s13, exec_lo
	s_and_b32 s23, s24, exec_lo
	s_or_b32 s13, s13, s23
.LBB42_4:                               ;   in Loop: Header=BB42_5 Depth=1
	s_or_b32 exec_lo, exec_lo, s22
	s_delay_alu instid0(SALU_CYCLE_1) | instskip(NEXT) | instid1(SALU_CYCLE_1)
	s_and_b32 s22, exec_lo, s13
	s_or_b32 s9, s22, s9
	s_delay_alu instid0(SALU_CYCLE_1)
	s_and_not1_b32 exec_lo, exec_lo, s9
	s_cbranch_execz .LBB42_9
.LBB42_5:                               ; =>This Inner Loop Header: Depth=1
	v_lshlrev_b64 v[3:4], 3, v[1:2]
	s_or_b32 s13, s13, exec_lo
	s_mov_b32 s22, exec_lo
	s_delay_alu instid0(VALU_DEP_1) | instskip(NEXT) | instid1(VALU_DEP_2)
	v_add_co_u32 v11, vcc_lo, s28, v3
	v_add_co_ci_u32_e32 v12, vcc_lo, s29, v4, vcc_lo
	v_add_co_u32 v3, vcc_lo, s30, v3
	v_add_co_ci_u32_e32 v4, vcc_lo, s31, v4, vcc_lo
	global_load_b64 v[11:12], v[11:12], off
	global_load_b64 v[3:4], v[3:4], off
	s_waitcnt vmcnt(1)
	v_lshrrev_b32_e32 v5, 16, v11
	s_waitcnt vmcnt(0)
	v_lshrrev_b32_e32 v13, 16, v3
	v_cvt_f32_f16_e32 v11, v11
	v_cvt_f32_f16_e32 v3, v3
	v_lshrrev_b32_e32 v14, 16, v12
	v_cvt_f32_f16_e32 v5, v5
	v_cvt_f32_f16_e32 v13, v13
	s_delay_alu instid0(VALU_DEP_1) | instskip(SKIP_4) | instid1(VALU_DEP_4)
	v_add_f32_e32 v5, v5, v13
	v_add_f32_e32 v3, v11, v3
	v_cvt_f32_f16_e32 v11, v12
	v_lshrrev_b32_e32 v12, 16, v4
	v_cvt_f32_f16_e32 v4, v4
	v_fmac_f32_e32 v6, v3, v3
	v_cvt_f32_f16_e32 v3, v14
	s_delay_alu instid0(VALU_DEP_3) | instskip(SKIP_1) | instid1(VALU_DEP_1)
	v_add_f32_e32 v4, v11, v4
	v_cvt_f32_f16_e32 v11, v12
	v_dual_fmac_f32 v6, v5, v5 :: v_dual_add_f32 v5, v3, v11
	s_delay_alu instid0(VALU_DEP_1) | instskip(NEXT) | instid1(VALU_DEP_1)
	v_dual_fmac_f32 v6, v4, v4 :: v_dual_add_nc_u32 v3, v1, v7
	v_fmac_f32_e32 v6, v5, v5
	s_delay_alu instid0(VALU_DEP_2)
	v_cmpx_gt_u32_e64 s8, v3
	s_cbranch_execz .LBB42_4
; %bb.6:                                ;   in Loop: Header=BB42_5 Depth=1
	v_mov_b32_e32 v4, v2
	s_mov_b32 s24, -1
	s_mov_b32 s23, exec_lo
	s_delay_alu instid0(VALU_DEP_1) | instskip(NEXT) | instid1(VALU_DEP_1)
	v_lshlrev_b64 v[4:5], 3, v[3:4]
	v_add_co_u32 v11, vcc_lo, s28, v4
	s_delay_alu instid0(VALU_DEP_2)
	v_add_co_ci_u32_e32 v12, vcc_lo, s29, v5, vcc_lo
	v_add_co_u32 v4, vcc_lo, s30, v4
	v_add_co_ci_u32_e32 v5, vcc_lo, s31, v5, vcc_lo
	global_load_b64 v[11:12], v[11:12], off
	global_load_b64 v[4:5], v[4:5], off
	s_waitcnt vmcnt(1)
	v_lshrrev_b32_e32 v13, 16, v11
	v_cvt_f32_f16_e32 v11, v11
	s_waitcnt vmcnt(0)
	v_lshrrev_b32_e32 v14, 16, v4
	v_cvt_f32_f16_e32 v4, v4
	v_lshrrev_b32_e32 v15, 16, v12
	v_cvt_f32_f16_e32 v13, v13
	s_delay_alu instid0(VALU_DEP_4) | instskip(NEXT) | instid1(VALU_DEP_4)
	v_cvt_f32_f16_e32 v14, v14
	v_add_f32_e32 v4, v11, v4
	v_cvt_f32_f16_e32 v11, v12
	v_lshrrev_b32_e32 v12, 16, v5
	v_cvt_f32_f16_e32 v5, v5
	s_delay_alu instid0(VALU_DEP_4) | instskip(SKIP_1) | instid1(VALU_DEP_3)
	v_dual_add_f32 v13, v13, v14 :: v_dual_fmac_f32 v6, v4, v4
	v_cvt_f32_f16_e32 v4, v15
	v_add_f32_e32 v5, v11, v5
	v_cvt_f32_f16_e32 v11, v12
	s_delay_alu instid0(VALU_DEP_1) | instskip(NEXT) | instid1(VALU_DEP_1)
	v_dual_fmac_f32 v6, v13, v13 :: v_dual_add_f32 v11, v4, v11
	v_fmac_f32_e32 v6, v5, v5
	v_add_nc_u32_e32 v4, v9, v1
	s_delay_alu instid0(VALU_DEP_2) | instskip(NEXT) | instid1(VALU_DEP_2)
	v_fmac_f32_e32 v6, v11, v11
	v_cmpx_gt_u32_e64 s8, v4
	s_cbranch_execz .LBB42_3
; %bb.7:                                ;   in Loop: Header=BB42_5 Depth=1
	v_mov_b32_e32 v5, v2
	v_add_nc_u32_e32 v1, v8, v1
	s_mov_b32 s25, -1
	s_mov_b32 s24, exec_lo
	s_delay_alu instid0(VALU_DEP_2) | instskip(NEXT) | instid1(VALU_DEP_1)
	v_lshlrev_b64 v[4:5], 3, v[4:5]
	v_add_co_u32 v11, vcc_lo, s28, v4
	s_delay_alu instid0(VALU_DEP_2)
	v_add_co_ci_u32_e32 v12, vcc_lo, s29, v5, vcc_lo
	v_add_co_u32 v4, vcc_lo, s30, v4
	v_add_co_ci_u32_e32 v5, vcc_lo, s31, v5, vcc_lo
	global_load_b64 v[11:12], v[11:12], off
	global_load_b64 v[4:5], v[4:5], off
	s_waitcnt vmcnt(1)
	v_lshrrev_b32_e32 v13, 16, v11
	v_cvt_f32_f16_e32 v11, v11
	s_waitcnt vmcnt(0)
	v_lshrrev_b32_e32 v14, 16, v4
	v_cvt_f32_f16_e32 v4, v4
	v_lshrrev_b32_e32 v15, 16, v12
	v_cvt_f32_f16_e32 v13, v13
	s_delay_alu instid0(VALU_DEP_4) | instskip(NEXT) | instid1(VALU_DEP_4)
	v_cvt_f32_f16_e32 v14, v14
	v_add_f32_e32 v4, v11, v4
	v_cvt_f32_f16_e32 v11, v12
	v_lshrrev_b32_e32 v12, 16, v5
	v_cvt_f32_f16_e32 v5, v5
	s_delay_alu instid0(VALU_DEP_4) | instskip(SKIP_1) | instid1(VALU_DEP_3)
	v_dual_add_f32 v13, v13, v14 :: v_dual_fmac_f32 v6, v4, v4
	v_cvt_f32_f16_e32 v4, v15
	v_add_f32_e32 v5, v11, v5
	v_cvt_f32_f16_e32 v11, v12
	s_delay_alu instid0(VALU_DEP_4) | instskip(NEXT) | instid1(VALU_DEP_2)
	v_fmac_f32_e32 v6, v13, v13
	v_add_f32_e32 v4, v4, v11
	s_delay_alu instid0(VALU_DEP_2) | instskip(NEXT) | instid1(VALU_DEP_1)
	v_fmac_f32_e32 v6, v5, v5
	v_fmac_f32_e32 v6, v4, v4
	v_cmpx_gt_u32_e64 s8, v1
	s_xor_b32 s24, exec_lo, s24
	s_cbranch_execz .LBB42_2
; %bb.8:                                ;   in Loop: Header=BB42_5 Depth=1
	v_lshlrev_b64 v[4:5], 3, v[1:2]
	s_delay_alu instid0(VALU_DEP_1) | instskip(NEXT) | instid1(VALU_DEP_2)
	v_add_co_u32 v11, vcc_lo, s28, v4
	v_add_co_ci_u32_e32 v12, vcc_lo, s29, v5, vcc_lo
	v_add_co_u32 v4, vcc_lo, s30, v4
	v_add_co_ci_u32_e32 v5, vcc_lo, s31, v5, vcc_lo
	global_load_b64 v[11:12], v[11:12], off
	global_load_b64 v[4:5], v[4:5], off
	s_waitcnt vmcnt(1)
	v_lshrrev_b32_e32 v1, 16, v11
	v_cvt_f32_f16_e32 v11, v11
	s_waitcnt vmcnt(0)
	v_lshrrev_b32_e32 v13, 16, v4
	v_cvt_f32_f16_e32 v4, v4
	v_lshrrev_b32_e32 v14, 16, v12
	v_cvt_f32_f16_e32 v1, v1
	s_delay_alu instid0(VALU_DEP_4) | instskip(NEXT) | instid1(VALU_DEP_4)
	v_cvt_f32_f16_e32 v13, v13
	v_add_f32_e32 v4, v11, v4
	v_cvt_f32_f16_e32 v11, v12
	v_lshrrev_b32_e32 v12, 16, v5
	v_cvt_f32_f16_e32 v5, v5
	s_delay_alu instid0(VALU_DEP_4) | instskip(SKIP_1) | instid1(VALU_DEP_3)
	v_dual_add_f32 v1, v1, v13 :: v_dual_fmac_f32 v6, v4, v4
	v_cvt_f32_f16_e32 v4, v14
	v_add_f32_e32 v5, v11, v5
	v_cvt_f32_f16_e32 v11, v12
	s_delay_alu instid0(VALU_DEP_4) | instskip(SKIP_1) | instid1(VALU_DEP_2)
	v_fmac_f32_e32 v6, v1, v1
	v_add3_u32 v1, v10, v7, v3
	v_dual_add_f32 v3, v4, v11 :: v_dual_fmac_f32 v6, v5, v5
	s_delay_alu instid0(VALU_DEP_2) | instskip(NEXT) | instid1(VALU_DEP_2)
	v_cmp_le_u32_e32 vcc_lo, s8, v1
	v_fmac_f32_e32 v6, v3, v3
	s_or_not1_b32 s25, vcc_lo, exec_lo
	s_branch .LBB42_2
.LBB42_9:
	s_or_b32 exec_lo, exec_lo, s9
.LBB42_10:
	s_delay_alu instid0(SALU_CYCLE_1) | instskip(SKIP_4) | instid1(VALU_DEP_2)
	s_or_b32 exec_lo, exec_lo, s3
	v_mbcnt_lo_u32_b32 v1, -1, 0
	s_load_b32 s3, s[20:21], 0xc
	v_and_b32_e32 v7, 0x3e0, v0
	s_mov_b32 s9, exec_lo
	v_cmp_ne_u32_e32 vcc_lo, 31, v1
	v_add_nc_u32_e32 v3, 1, v1
	v_add_co_ci_u32_e32 v2, vcc_lo, 0, v1, vcc_lo
	v_cmp_gt_u32_e32 vcc_lo, 30, v1
	s_delay_alu instid0(VALU_DEP_2)
	v_lshlrev_b32_e32 v2, 2, v2
	v_cndmask_b32_e64 v5, 0, 1, vcc_lo
	ds_bpermute_b32 v4, v2, v6
	s_waitcnt lgkmcnt(0)
	s_and_b32 s3, s3, 0xffff
	v_lshlrev_b32_e32 v5, 1, v5
	v_sub_nc_u32_e64 v12, s3, v7 clamp
	s_delay_alu instid0(VALU_DEP_1) | instskip(SKIP_1) | instid1(VALU_DEP_4)
	v_cmp_lt_u32_e32 vcc_lo, v3, v12
	v_add_f32_e32 v7, v6, v4
	v_add_lshl_u32 v4, v5, v1, 2
	s_delay_alu instid0(VALU_DEP_2) | instskip(SKIP_2) | instid1(VALU_DEP_1)
	v_cndmask_b32_e32 v7, v6, v7, vcc_lo
	v_cmp_gt_u32_e32 vcc_lo, 28, v1
	v_cndmask_b32_e64 v5, 0, 1, vcc_lo
	v_lshlrev_b32_e32 v8, 2, v5
	ds_bpermute_b32 v6, v4, v7
	v_add_nc_u32_e32 v5, 2, v1
	s_delay_alu instid0(VALU_DEP_1) | instskip(SKIP_3) | instid1(VALU_DEP_2)
	v_cmp_lt_u32_e32 vcc_lo, v5, v12
	s_waitcnt lgkmcnt(0)
	v_add_f32_e32 v9, v7, v6
	v_add_lshl_u32 v6, v8, v1, 2
	v_cndmask_b32_e32 v9, v7, v9, vcc_lo
	v_cmp_gt_u32_e32 vcc_lo, 24, v1
	ds_bpermute_b32 v8, v6, v9
	v_cndmask_b32_e64 v7, 0, 1, vcc_lo
	s_delay_alu instid0(VALU_DEP_1) | instskip(SKIP_1) | instid1(VALU_DEP_1)
	v_lshlrev_b32_e32 v10, 3, v7
	v_add_nc_u32_e32 v7, 4, v1
	v_cmp_lt_u32_e32 vcc_lo, v7, v12
	s_waitcnt lgkmcnt(0)
	v_add_f32_e32 v11, v9, v8
	v_add_lshl_u32 v8, v10, v1, 2
	s_delay_alu instid0(VALU_DEP_2) | instskip(SKIP_3) | instid1(VALU_DEP_1)
	v_cndmask_b32_e32 v11, v9, v11, vcc_lo
	v_cmp_gt_u32_e32 vcc_lo, 16, v1
	ds_bpermute_b32 v10, v8, v11
	v_cndmask_b32_e64 v9, 0, 1, vcc_lo
	v_lshlrev_b32_e32 v13, 4, v9
	v_add_nc_u32_e32 v9, 8, v1
	s_delay_alu instid0(VALU_DEP_1) | instskip(SKIP_3) | instid1(VALU_DEP_2)
	v_cmp_lt_u32_e32 vcc_lo, v9, v12
	s_waitcnt lgkmcnt(0)
	v_add_f32_e32 v14, v11, v10
	v_add_lshl_u32 v10, v13, v1, 2
	v_cndmask_b32_e32 v13, v11, v14, vcc_lo
	v_add_nc_u32_e32 v11, 16, v1
	ds_bpermute_b32 v14, v10, v13
	v_cmp_lt_u32_e32 vcc_lo, v11, v12
	s_waitcnt lgkmcnt(0)
	v_add_f32_e32 v14, v13, v14
	s_delay_alu instid0(VALU_DEP_1)
	v_cndmask_b32_e32 v12, v13, v14, vcc_lo
	v_cmpx_eq_u32_e32 0, v1
	s_cbranch_execz .LBB42_12
; %bb.11:
	v_lshrrev_b32_e32 v13, 3, v0
	s_delay_alu instid0(VALU_DEP_1)
	v_and_b32_e32 v13, 0x7c, v13
	ds_store_b32 v13, v12 offset:4096
.LBB42_12:
	s_or_b32 exec_lo, exec_lo, s9
	s_delay_alu instid0(SALU_CYCLE_1)
	s_mov_b32 s9, exec_lo
	s_waitcnt lgkmcnt(0)
	s_barrier
	buffer_gl0_inv
	v_cmpx_gt_u32_e32 32, v0
	s_cbranch_execz .LBB42_14
; %bb.13:
	v_lshlrev_b32_e32 v1, 2, v1
	s_add_i32 s3, s3, 31
	s_delay_alu instid0(SALU_CYCLE_1) | instskip(NEXT) | instid1(SALU_CYCLE_1)
	s_lshr_b32 s3, s3, 5
	v_cmp_gt_u32_e32 vcc_lo, s3, v3
	ds_load_b32 v1, v1 offset:4096
	s_waitcnt lgkmcnt(0)
	ds_bpermute_b32 v2, v2, v1
	s_waitcnt lgkmcnt(0)
	v_add_f32_e32 v2, v1, v2
	s_delay_alu instid0(VALU_DEP_1) | instskip(SKIP_4) | instid1(VALU_DEP_1)
	v_cndmask_b32_e32 v1, v1, v2, vcc_lo
	v_cmp_gt_u32_e32 vcc_lo, s3, v5
	ds_bpermute_b32 v2, v4, v1
	s_waitcnt lgkmcnt(0)
	v_add_f32_e32 v2, v1, v2
	v_cndmask_b32_e32 v1, v1, v2, vcc_lo
	v_cmp_gt_u32_e32 vcc_lo, s3, v7
	ds_bpermute_b32 v2, v6, v1
	s_waitcnt lgkmcnt(0)
	v_add_f32_e32 v2, v1, v2
	s_delay_alu instid0(VALU_DEP_1) | instskip(SKIP_4) | instid1(VALU_DEP_1)
	v_cndmask_b32_e32 v1, v1, v2, vcc_lo
	v_cmp_gt_u32_e32 vcc_lo, s3, v9
	ds_bpermute_b32 v2, v8, v1
	s_waitcnt lgkmcnt(0)
	v_add_f32_e32 v2, v1, v2
	v_cndmask_b32_e32 v1, v1, v2, vcc_lo
	v_cmp_gt_u32_e32 vcc_lo, s3, v11
	ds_bpermute_b32 v2, v10, v1
	s_waitcnt lgkmcnt(0)
	v_add_f32_e32 v2, v1, v2
	s_delay_alu instid0(VALU_DEP_1)
	v_cndmask_b32_e32 v12, v1, v2, vcc_lo
.LBB42_14:
	s_or_b32 exec_lo, exec_lo, s9
	s_delay_alu instid0(SALU_CYCLE_1)
	s_mov_b32 s3, exec_lo
	v_cmpx_eq_u32_e32 0, v0
	s_cbranch_execz .LBB42_16
; %bb.15:
	v_cvt_f32_i32_e32 v1, s18
	s_delay_alu instid0(VALU_DEP_1) | instskip(SKIP_1) | instid1(VALU_DEP_2)
	v_div_scale_f32 v2, null, v1, v1, v12
	v_div_scale_f32 v5, vcc_lo, v12, v1, v12
	v_rcp_f32_e32 v3, v2
	s_waitcnt_depctr 0xfff
	v_fma_f32 v4, -v2, v3, 1.0
	s_delay_alu instid0(VALU_DEP_1) | instskip(NEXT) | instid1(VALU_DEP_1)
	v_fmac_f32_e32 v3, v4, v3
	v_mul_f32_e32 v4, v5, v3
	s_delay_alu instid0(VALU_DEP_1) | instskip(NEXT) | instid1(VALU_DEP_1)
	v_fma_f32 v6, -v2, v4, v5
	v_fmac_f32_e32 v4, v6, v3
	s_delay_alu instid0(VALU_DEP_1) | instskip(NEXT) | instid1(VALU_DEP_1)
	v_fma_f32 v2, -v2, v4, v5
	v_div_fmas_f32 v2, v2, v3, v4
	s_delay_alu instid0(VALU_DEP_1) | instskip(NEXT) | instid1(VALU_DEP_1)
	v_div_fixup_f32 v1, v2, v1, v12
	v_add_f32_e32 v1, s12, v1
	s_delay_alu instid0(VALU_DEP_1) | instskip(SKIP_1) | instid1(VALU_DEP_2)
	v_mul_f32_e32 v2, 0x4b800000, v1
	v_cmp_gt_f32_e32 vcc_lo, 0x800000, v1
	v_cndmask_b32_e32 v1, v1, v2, vcc_lo
	s_delay_alu instid0(VALU_DEP_1) | instskip(SKIP_2) | instid1(VALU_DEP_1)
	v_rsq_f32_e32 v1, v1
	s_waitcnt_depctr 0xfff
	v_mul_f32_e32 v2, 0x45800000, v1
	v_dual_cndmask_b32 v1, v1, v2 :: v_dual_mov_b32 v2, 0
	ds_store_b32 v2, v1 offset:4224
.LBB42_16:
	s_or_b32 exec_lo, exec_lo, s3
	s_ashr_i32 s3, s18, 31
	v_mov_b32_e32 v4, 0
	s_lshr_b32 s3, s3, 25
	s_waitcnt lgkmcnt(0)
	s_add_i32 s3, s18, s3
	s_barrier
	s_ashr_i32 s12, s3, 7
	s_cmp_lt_u32 s16, s34
	buffer_gl0_inv
	s_cselect_b32 s9, 12, 18
	ds_load_b32 v28, v4 offset:4224
	s_add_u32 s20, s20, s9
	s_addc_u32 s21, s21, 0
	s_abs_i32 s9, s12
	global_load_u16 v1, v4, s[20:21]
	v_cvt_f32_u32_e32 v2, s9
	s_sub_i32 s20, 0, s9
	s_ashr_i32 s3, s3, 31
	s_delay_alu instid0(VALU_DEP_1) | instskip(SKIP_2) | instid1(VALU_DEP_1)
	v_rcp_iflag_f32_e32 v2, v2
	s_waitcnt_depctr 0xfff
	v_mul_f32_e32 v2, 0x4f7ffffe, v2
	v_cvt_u32_f32_e32 v2, v2
	s_delay_alu instid0(VALU_DEP_1) | instskip(NEXT) | instid1(VALU_DEP_1)
	v_readfirstlane_b32 s13, v2
	s_mul_i32 s20, s20, s13
	s_delay_alu instid0(SALU_CYCLE_1) | instskip(NEXT) | instid1(SALU_CYCLE_1)
	s_mul_hi_u32 s20, s13, s20
	s_add_i32 s13, s13, s20
	s_waitcnt vmcnt(0)
	v_readfirstlane_b32 s33, v1
	s_delay_alu instid0(VALU_DEP_1) | instskip(NEXT) | instid1(SALU_CYCLE_1)
	s_mul_hi_u32 s13, s33, s13
	s_mul_i32 s20, s13, s9
	s_add_i32 s21, s13, 1
	s_sub_i32 s20, s33, s20
	s_delay_alu instid0(SALU_CYCLE_1)
	s_sub_i32 s22, s20, s9
	s_cmp_ge_u32 s20, s9
	s_cselect_b32 s13, s21, s13
	s_cselect_b32 s20, s22, s20
	s_add_i32 s21, s13, 1
	s_cmp_ge_u32 s20, s9
	s_cselect_b32 s9, s21, s13
	s_delay_alu instid0(SALU_CYCLE_1) | instskip(NEXT) | instid1(SALU_CYCLE_1)
	s_xor_b32 s9, s9, s3
	s_sub_i32 s20, s9, s3
	s_delay_alu instid0(SALU_CYCLE_1) | instskip(SKIP_3) | instid1(VALU_DEP_1)
	s_abs_i32 s3, s20
	s_ashr_i32 s21, s20, 31
	v_cvt_f32_u32_e32 v1, s3
	s_sub_i32 s9, 0, s3
	v_rcp_iflag_f32_e32 v1, v1
	s_waitcnt_depctr 0xfff
	v_mul_f32_e32 v1, 0x4f7ffffe, v1
	s_delay_alu instid0(VALU_DEP_1) | instskip(NEXT) | instid1(VALU_DEP_1)
	v_cvt_u32_f32_e32 v1, v1
	v_mul_lo_u32 v2, s9, v1
	s_ashr_i32 s9, s8, 31
	s_delay_alu instid0(VALU_DEP_1) | instskip(NEXT) | instid1(VALU_DEP_1)
	v_mul_hi_u32 v2, v1, v2
	v_add_nc_u32_e32 v1, v1, v2
	s_delay_alu instid0(VALU_DEP_1) | instskip(NEXT) | instid1(VALU_DEP_1)
	v_mul_hi_u32 v1, v0, v1
	v_mul_lo_u32 v2, v1, s3
	v_add_nc_u32_e32 v3, 1, v1
	s_delay_alu instid0(VALU_DEP_2) | instskip(NEXT) | instid1(VALU_DEP_1)
	v_sub_nc_u32_e32 v2, v0, v2
	v_subrev_nc_u32_e32 v5, s3, v2
	v_cmp_le_u32_e32 vcc_lo, s3, v2
	s_delay_alu instid0(VALU_DEP_2) | instskip(NEXT) | instid1(VALU_DEP_1)
	v_dual_cndmask_b32 v2, v2, v5 :: v_dual_cndmask_b32 v1, v1, v3
	v_cmp_le_u32_e32 vcc_lo, s3, v2
	s_delay_alu instid0(VALU_DEP_2) | instskip(NEXT) | instid1(VALU_DEP_1)
	v_add_nc_u32_e32 v3, 1, v1
	v_cndmask_b32_e32 v1, v1, v3, vcc_lo
	s_delay_alu instid0(VALU_DEP_1) | instskip(NEXT) | instid1(VALU_DEP_1)
	v_xor_b32_e32 v1, s21, v1
	v_subrev_nc_u32_e32 v1, s21, v1
	s_delay_alu instid0(VALU_DEP_1) | instskip(SKIP_1) | instid1(VALU_DEP_2)
	v_ashrrev_i32_e32 v2, 31, v1
	v_mul_lo_u32 v3, v1, s20
	v_lshlrev_b64 v[7:8], 5, v[1:2]
	s_delay_alu instid0(VALU_DEP_2) | instskip(NEXT) | instid1(VALU_DEP_2)
	v_sub_nc_u32_e32 v3, v0, v3
	v_add_co_u32 v5, vcc_lo, v7, 32
	s_delay_alu instid0(VALU_DEP_3) | instskip(NEXT) | instid1(VALU_DEP_1)
	v_add_co_ci_u32_e32 v6, vcc_lo, 0, v8, vcc_lo
	v_cmp_gt_i64_e32 vcc_lo, s[8:9], v[5:6]
	v_cndmask_b32_e32 v6, s9, v6, vcc_lo
	v_cndmask_b32_e32 v5, s8, v5, vcc_lo
	v_add_co_u32 v7, vcc_lo, v7, v3
	v_add_co_ci_u32_e32 v8, vcc_lo, 0, v8, vcc_lo
	s_delay_alu instid0(VALU_DEP_3) | instskip(SKIP_2) | instid1(VALU_DEP_1)
	v_ashrrev_i32_e32 v10, 31, v5
	v_mov_b32_e32 v9, v5
	s_mov_b32 s9, exec_lo
	v_cmpx_lt_i64_e64 v[7:8], v[9:10]
	s_cbranch_execz .LBB42_26
; %bb.17:
	v_lshlrev_b64 v[11:12], 8, v[1:2]
	v_lshlrev_b64 v[13:14], 3, v[3:4]
	v_mov_b32_e32 v4, 0
	s_lshl_b64 s[22:23], s[20:21], 5
	s_mul_hi_i32 s13, s20, 3
	s_mul_i32 s35, s20, 3
	s_lshl_b64 s[24:25], s[20:21], 1
	v_add_co_u32 v21, vcc_lo, v11, v13
	v_add_co_ci_u32_e32 v22, vcc_lo, v12, v14, vcc_lo
	v_dual_mov_b32 v12, v8 :: v_dual_mov_b32 v11, v7
	s_lshl_b64 s[26:27], s[20:21], 3
	s_mov_b32 s36, 0
                                        ; implicit-def: $sgpr37
	s_branch .LBB42_21
.LBB42_18:                              ;   in Loop: Header=BB42_21 Depth=1
	s_or_b32 exec_lo, exec_lo, s40
	s_delay_alu instid0(SALU_CYCLE_1)
	s_or_not1_b32 s3, s3, exec_lo
.LBB42_19:                              ;   in Loop: Header=BB42_21 Depth=1
	s_or_b32 exec_lo, exec_lo, s39
	s_delay_alu instid0(SALU_CYCLE_1) | instskip(SKIP_1) | instid1(SALU_CYCLE_1)
	s_and_not1_b32 s37, s37, exec_lo
	s_and_b32 s3, s3, exec_lo
	s_or_b32 s37, s37, s3
.LBB42_20:                              ;   in Loop: Header=BB42_21 Depth=1
	s_or_b32 exec_lo, exec_lo, s38
	s_delay_alu instid0(SALU_CYCLE_1) | instskip(NEXT) | instid1(SALU_CYCLE_1)
	s_and_b32 s3, exec_lo, s37
	s_or_b32 s36, s3, s36
	s_delay_alu instid0(SALU_CYCLE_1)
	s_and_not1_b32 exec_lo, exec_lo, s36
	s_cbranch_execz .LBB42_25
.LBB42_21:                              ; =>This Inner Loop Header: Depth=1
	v_add_co_u32 v15, vcc_lo, s28, v21
	v_add_co_ci_u32_e32 v16, vcc_lo, s29, v22, vcc_lo
	v_add_co_u32 v19, vcc_lo, s30, v21
	v_add_co_ci_u32_e32 v20, vcc_lo, s31, v22, vcc_lo
	v_add_co_u32 v17, vcc_lo, s10, v21
	global_load_b64 v[13:14], v[15:16], off
	global_load_b64 v[23:24], v[19:20], off
	v_add_co_ci_u32_e32 v18, vcc_lo, s11, v22, vcc_lo
	s_or_b32 s37, s37, exec_lo
	s_mov_b32 s38, exec_lo
	global_load_b64 v[25:26], v[17:18], off
	s_waitcnt vmcnt(2)
	v_lshrrev_b32_e32 v27, 16, v13
	s_waitcnt vmcnt(1)
	v_lshrrev_b32_e32 v30, 16, v23
	v_lshrrev_b32_e32 v29, 16, v14
	v_cvt_f32_f16_e32 v13, v13
	v_lshrrev_b32_e32 v31, 16, v24
	v_cvt_f32_f16_e32 v23, v23
	v_cvt_f32_f16_e32 v27, v27
	;; [unrolled: 1-line block ×6, first 2 shown]
	v_add_f32_e32 v13, v13, v23
	v_cvt_f32_f16_e32 v23, v31
	s_delay_alu instid0(VALU_DEP_4)
	v_dual_add_f32 v27, v27, v30 :: v_dual_add_f32 v14, v14, v24
	s_waitcnt vmcnt(0)
	v_lshrrev_b32_e32 v30, 16, v25
	s_waitcnt lgkmcnt(0)
	v_fma_mixlo_f16 v13, v28, v13, 0
	v_add_f32_e32 v23, v29, v23
	v_fma_mixlo_f16 v24, v28, v27, 0
	v_lshrrev_b32_e32 v27, 16, v26
	v_fma_mixlo_f16 v14, v28, v14, 0
	v_mul_f16_e32 v13, v25, v13
	v_fma_mixlo_f16 v23, v28, v23, 0
	v_mul_f16_e32 v24, v30, v24
	s_delay_alu instid0(VALU_DEP_4) | instskip(NEXT) | instid1(VALU_DEP_4)
	v_mul_f16_e32 v25, v26, v14
	v_cvt_f32_f16_e64 v26, |v13|
	s_delay_alu instid0(VALU_DEP_4) | instskip(NEXT) | instid1(VALU_DEP_4)
	v_mul_f16_e32 v23, v27, v23
	v_cvt_f32_f16_e64 v24, |v24|
	v_add_co_u32 v13, vcc_lo, v11, s20
	v_cvt_f32_f16_e64 v25, |v25|
	s_delay_alu instid0(VALU_DEP_4) | instskip(NEXT) | instid1(VALU_DEP_4)
	v_cvt_f32_f16_e64 v23, |v23|
	v_max3_f32 v4, v4, v26, v24
	v_add_co_ci_u32_e32 v14, vcc_lo, s21, v12, vcc_lo
	s_delay_alu instid0(VALU_DEP_2) | instskip(NEXT) | instid1(VALU_DEP_2)
	v_max3_f32 v4, v4, v25, v23
	v_cmpx_lt_i64_e64 v[13:14], v[9:10]
	s_cbranch_execz .LBB42_20
; %bb.22:                               ;   in Loop: Header=BB42_21 Depth=1
	v_add_co_u32 v15, vcc_lo, v15, s26
	v_add_co_ci_u32_e32 v16, vcc_lo, s27, v16, vcc_lo
	v_add_co_u32 v19, vcc_lo, v19, s26
	v_add_co_ci_u32_e32 v20, vcc_lo, s27, v20, vcc_lo
	v_add_co_u32 v17, vcc_lo, v17, s26
	global_load_b64 v[23:24], v[15:16], off
	global_load_b64 v[25:26], v[19:20], off
	v_add_co_ci_u32_e32 v18, vcc_lo, s27, v18, vcc_lo
	s_mov_b32 s3, -1
	s_mov_b32 s39, exec_lo
	global_load_b64 v[29:30], v[17:18], off
	s_waitcnt vmcnt(2)
	v_lshrrev_b32_e32 v27, 16, v23
	s_waitcnt vmcnt(1)
	v_lshrrev_b32_e32 v32, 16, v25
	v_lshrrev_b32_e32 v31, 16, v24
	v_cvt_f32_f16_e32 v23, v23
	v_lshrrev_b32_e32 v33, 16, v26
	v_cvt_f32_f16_e32 v25, v25
	v_cvt_f32_f16_e32 v27, v27
	;; [unrolled: 1-line block ×6, first 2 shown]
	v_add_f32_e32 v23, v23, v25
	v_cvt_f32_f16_e32 v25, v33
	s_delay_alu instid0(VALU_DEP_4)
	v_dual_add_f32 v27, v27, v32 :: v_dual_add_f32 v24, v24, v26
	s_waitcnt vmcnt(0)
	v_lshrrev_b32_e32 v32, 16, v29
	v_fma_mixlo_f16 v23, v28, v23, 0
	v_add_f32_e32 v25, v31, v25
	v_fma_mixlo_f16 v26, v28, v27, 0
	v_lshrrev_b32_e32 v27, 16, v30
	v_fma_mixlo_f16 v24, v28, v24, 0
	v_mul_f16_e32 v23, v29, v23
	v_fma_mixlo_f16 v25, v28, v25, 0
	v_mul_f16_e32 v26, v32, v26
	s_delay_alu instid0(VALU_DEP_4) | instskip(NEXT) | instid1(VALU_DEP_4)
	v_mul_f16_e32 v29, v30, v24
	v_cvt_f32_f16_e64 v30, |v23|
	s_delay_alu instid0(VALU_DEP_4) | instskip(NEXT) | instid1(VALU_DEP_4)
	v_mul_f16_e32 v25, v27, v25
	v_cvt_f32_f16_e64 v26, |v26|
	v_add_co_u32 v23, vcc_lo, s24, v11
	v_cvt_f32_f16_e64 v27, |v29|
	s_delay_alu instid0(VALU_DEP_4) | instskip(NEXT) | instid1(VALU_DEP_4)
	v_cvt_f32_f16_e64 v25, |v25|
	v_max3_f32 v4, v4, v30, v26
	v_add_co_ci_u32_e32 v24, vcc_lo, s25, v12, vcc_lo
	s_delay_alu instid0(VALU_DEP_2) | instskip(NEXT) | instid1(VALU_DEP_2)
	v_max3_f32 v4, v4, v27, v25
	v_cmpx_lt_i64_e64 v[23:24], v[9:10]
	s_cbranch_execz .LBB42_19
; %bb.23:                               ;   in Loop: Header=BB42_21 Depth=1
	v_add_co_u32 v15, vcc_lo, v15, s26
	v_add_co_ci_u32_e32 v16, vcc_lo, s27, v16, vcc_lo
	v_add_co_u32 v19, vcc_lo, v19, s26
	v_add_co_ci_u32_e32 v20, vcc_lo, s27, v20, vcc_lo
	v_add_co_u32 v17, vcc_lo, v17, s26
	global_load_b64 v[23:24], v[15:16], off
	global_load_b64 v[25:26], v[19:20], off
	v_add_co_ci_u32_e32 v18, vcc_lo, s27, v18, vcc_lo
	v_add_co_u32 v11, vcc_lo, s35, v11
	v_add_co_ci_u32_e32 v12, vcc_lo, s13, v12, vcc_lo
	global_load_b64 v[29:30], v[17:18], off
	v_cmp_lt_i64_e32 vcc_lo, v[11:12], v[9:10]
                                        ; implicit-def: $vgpr11_vgpr12
	s_waitcnt vmcnt(2)
	v_lshrrev_b32_e32 v27, 16, v23
	s_waitcnt vmcnt(1)
	v_lshrrev_b32_e32 v32, 16, v25
	v_lshrrev_b32_e32 v31, 16, v24
	v_cvt_f32_f16_e32 v23, v23
	v_lshrrev_b32_e32 v33, 16, v26
	v_cvt_f32_f16_e32 v25, v25
	v_cvt_f32_f16_e32 v27, v27
	;; [unrolled: 1-line block ×6, first 2 shown]
	v_add_f32_e32 v23, v23, v25
	v_cvt_f32_f16_e32 v25, v33
	s_delay_alu instid0(VALU_DEP_4)
	v_dual_add_f32 v27, v27, v32 :: v_dual_add_f32 v24, v24, v26
	s_waitcnt vmcnt(0)
	v_lshrrev_b32_e32 v32, 16, v29
	v_fma_mixlo_f16 v23, v28, v23, 0
	v_add_f32_e32 v25, v31, v25
	v_fma_mixlo_f16 v26, v28, v27, 0
	v_lshrrev_b32_e32 v27, 16, v30
	v_fma_mixlo_f16 v24, v28, v24, 0
	v_mul_f16_e32 v23, v29, v23
	v_fma_mixlo_f16 v25, v28, v25, 0
	v_mul_f16_e32 v26, v32, v26
	s_delay_alu instid0(VALU_DEP_4) | instskip(NEXT) | instid1(VALU_DEP_4)
	v_mul_f16_e32 v24, v30, v24
	v_cvt_f32_f16_e64 v23, |v23|
	s_delay_alu instid0(VALU_DEP_4) | instskip(NEXT) | instid1(VALU_DEP_4)
	v_mul_f16_e32 v25, v27, v25
	v_cvt_f32_f16_e64 v26, |v26|
	s_delay_alu instid0(VALU_DEP_4) | instskip(NEXT) | instid1(VALU_DEP_2)
	v_cvt_f32_f16_e64 v24, |v24|
	v_max3_f32 v4, v4, v23, v26
	s_delay_alu instid0(VALU_DEP_4) | instskip(NEXT) | instid1(VALU_DEP_1)
	v_cvt_f32_f16_e64 v23, |v25|
	v_max3_f32 v4, v4, v24, v23
	s_and_saveexec_b32 s40, vcc_lo
	s_delay_alu instid0(SALU_CYCLE_1)
	s_xor_b32 s40, exec_lo, s40
	s_cbranch_execz .LBB42_18
; %bb.24:                               ;   in Loop: Header=BB42_21 Depth=1
	v_add_co_u32 v11, vcc_lo, v15, s26
	v_add_co_ci_u32_e32 v12, vcc_lo, s27, v16, vcc_lo
	v_add_co_u32 v15, vcc_lo, v19, s26
	v_add_co_ci_u32_e32 v16, vcc_lo, s27, v20, vcc_lo
	v_add_co_u32 v17, vcc_lo, v17, s26
	global_load_b64 v[11:12], v[11:12], off
	global_load_b64 v[15:16], v[15:16], off
	v_add_co_ci_u32_e32 v18, vcc_lo, s27, v18, vcc_lo
	s_add_u32 s3, s20, s20
	s_addc_u32 s41, s21, s21
	s_add_u32 s3, s3, s20
	global_load_b64 v[17:18], v[17:18], off
	s_addc_u32 s41, s41, s21
	s_waitcnt vmcnt(2)
	v_lshrrev_b32_e32 v19, 16, v11
	s_waitcnt vmcnt(1)
	v_lshrrev_b32_e32 v23, 16, v15
	v_lshrrev_b32_e32 v20, 16, v12
	v_cvt_f32_f16_e32 v11, v11
	v_lshrrev_b32_e32 v24, 16, v16
	v_cvt_f32_f16_e32 v15, v15
	v_cvt_f32_f16_e32 v19, v19
	;; [unrolled: 1-line block ×6, first 2 shown]
	v_add_f32_e32 v11, v11, v15
	v_cvt_f32_f16_e32 v15, v24
	s_delay_alu instid0(VALU_DEP_4)
	v_dual_add_f32 v19, v19, v23 :: v_dual_add_f32 v12, v12, v16
	s_waitcnt vmcnt(0)
	v_lshrrev_b32_e32 v23, 16, v17
	v_fma_mixlo_f16 v11, v28, v11, 0
	v_add_f32_e32 v15, v20, v15
	v_fma_mixlo_f16 v16, v28, v19, 0
	v_lshrrev_b32_e32 v19, 16, v18
	v_fma_mixlo_f16 v12, v28, v12, 0
	v_mul_f16_e32 v11, v17, v11
	v_fma_mixlo_f16 v15, v28, v15, 0
	v_mul_f16_e32 v16, v23, v16
	s_delay_alu instid0(VALU_DEP_4) | instskip(NEXT) | instid1(VALU_DEP_4)
	v_mul_f16_e32 v17, v18, v12
	v_cvt_f32_f16_e64 v18, |v11|
	s_delay_alu instid0(VALU_DEP_4) | instskip(NEXT) | instid1(VALU_DEP_4)
	v_mul_f16_e32 v15, v19, v15
	v_cvt_f32_f16_e64 v16, |v16|
	v_add_co_u32 v11, vcc_lo, s3, v13
	v_add_co_ci_u32_e32 v12, vcc_lo, s41, v14, vcc_lo
	v_cvt_f32_f16_e64 v13, |v17|
	v_cvt_f32_f16_e64 v14, |v15|
	v_max3_f32 v4, v4, v18, v16
	s_delay_alu instid0(VALU_DEP_4) | instskip(SKIP_1) | instid1(VALU_DEP_1)
	v_cmp_ge_i64_e32 vcc_lo, v[11:12], v[9:10]
	v_add_co_u32 v21, s3, v21, s22
	v_add_co_ci_u32_e64 v22, s3, s23, v22, s3
	s_delay_alu instid0(VALU_DEP_4)
	v_max3_f32 v4, v4, v13, v14
	s_or_not1_b32 s3, vcc_lo, exec_lo
	s_branch .LBB42_18
.LBB42_25:
	s_or_b32 exec_lo, exec_lo, s36
.LBB42_26:
	s_delay_alu instid0(SALU_CYCLE_1)
	s_or_b32 exec_lo, exec_lo, s9
	s_lshr_b32 s9, s33, 5
	v_lshlrev_b32_e32 v29, 2, v0
	v_cvt_f32_u32_e32 v9, s9
	s_sub_i32 s13, 0, s9
	s_add_i32 s22, s12, s9
	s_delay_alu instid0(SALU_CYCLE_1) | instskip(NEXT) | instid1(VALU_DEP_1)
	s_add_i32 s22, s22, -1
	v_rcp_iflag_f32_e32 v9, v9
	s_abs_i32 s23, s22
	s_ashr_i32 s22, s22, 31
	ds_store_b32 v29, v4
	s_waitcnt lgkmcnt(0)
	s_barrier
	buffer_gl0_inv
	v_mul_f32_e32 v9, 0x4f7ffffe, v9
	s_delay_alu instid0(VALU_DEP_1) | instskip(NEXT) | instid1(VALU_DEP_1)
	v_cvt_u32_f32_e32 v9, v9
	v_readfirstlane_b32 s3, v9
	s_delay_alu instid0(VALU_DEP_1) | instskip(NEXT) | instid1(SALU_CYCLE_1)
	s_mul_i32 s13, s13, s3
	s_mul_hi_u32 s13, s3, s13
	s_delay_alu instid0(SALU_CYCLE_1) | instskip(NEXT) | instid1(SALU_CYCLE_1)
	s_add_i32 s3, s3, s13
	s_mul_hi_u32 s3, s23, s3
	s_delay_alu instid0(SALU_CYCLE_1) | instskip(NEXT) | instid1(SALU_CYCLE_1)
	s_mul_i32 s13, s3, s9
	s_sub_i32 s13, s23, s13
	s_add_i32 s23, s3, 1
	s_sub_i32 s24, s13, s9
	s_cmp_ge_u32 s13, s9
	s_cselect_b32 s3, s23, s3
	s_cselect_b32 s13, s24, s13
	s_add_i32 s23, s3, 1
	s_cmp_ge_u32 s13, s9
	s_cselect_b32 s3, s23, s3
	s_delay_alu instid0(SALU_CYCLE_1) | instskip(NEXT) | instid1(SALU_CYCLE_1)
	s_xor_b32 s3, s3, s22
	s_sub_i32 s22, s3, s22
	s_delay_alu instid0(SALU_CYCLE_1) | instskip(NEXT) | instid1(SALU_CYCLE_1)
	s_ashr_i32 s23, s22, 31
	v_cmp_lt_i64_e64 s3, s[22:23], 1
	s_delay_alu instid0(VALU_DEP_1)
	s_and_b32 vcc_lo, exec_lo, s3
	s_cbranch_vccnz .LBB42_46
; %bb.27:
	v_lshrrev_b32_e32 v9, 5, v0
	v_and_b32_e32 v4, 31, v0
	s_ashr_i32 s13, s12, 31
	s_mov_b64 s[24:25], 0
	s_mov_b64 s[26:27], src_shared_base
	v_mul_lo_u32 v19, s20, v9
	v_add_co_u32 v11, s3, v4, 16
	s_delay_alu instid0(VALU_DEP_1) | instskip(SKIP_1) | instid1(VALU_DEP_1)
	v_add_co_ci_u32_e64 v12, null, 0, 0, s3
	v_add_co_u32 v13, s3, v4, 8
	v_add_co_ci_u32_e64 v14, null, 0, 0, s3
	v_add_co_u32 v15, s3, v4, 4
	v_dual_mov_b32 v10, 0 :: v_dual_lshlrev_b32 v21, 2, v19
	v_lshlrev_b32_e32 v22, 2, v4
	v_add_co_ci_u32_e64 v16, null, 0, 0, s3
	v_add_co_u32 v17, s3, v4, 2
	s_delay_alu instid0(VALU_DEP_1) | instskip(SKIP_1) | instid1(VALU_DEP_1)
	v_add_co_ci_u32_e64 v18, null, 0, 0, s3
	v_add_co_u32 v19, s3, v4, 1
	v_add_co_ci_u32_e64 v20, null, 0, 0, s3
	v_add3_u32 v30, v21, v22, 0x80
	s_mul_i32 s3, s20, s9
	s_delay_alu instid0(SALU_CYCLE_1)
	s_lshl_b32 s35, s3, 2
	s_branch .LBB42_30
.LBB42_28:                              ;   in Loop: Header=BB42_30 Depth=1
	s_or_b32 exec_lo, exec_lo, s3
	v_mov_b32_e32 v22, s27
	flat_load_b32 v21, v[21:22] glc dlc
	s_waitcnt vmcnt(0)
.LBB42_29:                              ;   in Loop: Header=BB42_30 Depth=1
	s_or_b32 exec_lo, exec_lo, s26
	s_add_u32 s24, s24, 1
	v_add_nc_u32_e32 v30, s35, v30
	s_addc_u32 s25, s25, 0
	s_delay_alu instid0(SALU_CYCLE_1)
	s_cmp_eq_u64 s[24:25], s[22:23]
	s_cbranch_scc1 .LBB42_46
.LBB42_30:                              ; =>This Loop Header: Depth=1
                                        ;     Child Loop BB42_33 Depth 2
	s_waitcnt lgkmcnt(0)
	v_mad_u64_u32 v[21:22], null, s24, s9, v[9:10]
	s_mov_b32 s26, exec_lo
	s_delay_alu instid0(VALU_DEP_1) | instskip(NEXT) | instid1(VALU_DEP_1)
	v_mad_u64_u32 v[23:24], null, s25, s9, v[22:23]
	v_mov_b32_e32 v22, v23
	s_delay_alu instid0(VALU_DEP_1)
	v_cmpx_gt_i64_e64 s[12:13], v[21:22]
	s_cbranch_execz .LBB42_29
; %bb.31:                               ;   in Loop: Header=BB42_30 Depth=1
	v_mul_lo_u32 v24, v22, s20
	v_mul_lo_u32 v25, v21, s21
	v_mad_u64_u32 v[22:23], null, v21, s20, 0
	s_delay_alu instid0(VALU_DEP_1) | instskip(NEXT) | instid1(VALU_DEP_2)
	v_add3_u32 v23, v23, v25, v24
	v_add_co_u32 v24, vcc_lo, v22, s20
	v_add_co_u32 v31, s3, v22, v4
	s_delay_alu instid0(VALU_DEP_3) | instskip(SKIP_2) | instid1(VALU_DEP_2)
	v_add_co_ci_u32_e32 v25, vcc_lo, s21, v23, vcc_lo
	v_add_co_ci_u32_e64 v21, s3, 0, v23, s3
	s_mov_b32 s3, exec_lo
	v_cmp_gt_i64_e32 vcc_lo, s[18:19], v[24:25]
	v_cndmask_b32_e32 v25, s19, v25, vcc_lo
	v_cndmask_b32_e32 v24, s18, v24, vcc_lo
	v_add_co_u32 v26, vcc_lo, v31, 32
	v_add_co_ci_u32_e32 v27, vcc_lo, 0, v21, vcc_lo
	v_lshlrev_b32_e32 v21, 2, v31
	s_delay_alu instid0(VALU_DEP_2)
	v_cmpx_lt_i64_e64 v[26:27], v[24:25]
	s_cbranch_execz .LBB42_34
; %bb.32:                               ;   in Loop: Header=BB42_30 Depth=1
	ds_load_b32 v33, v21
	v_mov_b32_e32 v32, v30
	s_mov_b32 s36, 0
.LBB42_33:                              ;   Parent Loop BB42_30 Depth=1
                                        ; =>  This Inner Loop Header: Depth=2
	ds_load_b32 v34, v32
	v_add_co_u32 v26, vcc_lo, v26, 32
	v_add_co_ci_u32_e32 v27, vcc_lo, 0, v27, vcc_lo
	s_waitcnt lgkmcnt(1)
	v_dual_max_f32 v33, v33, v33 :: v_dual_add_nc_u32 v32, 0x80, v32
	s_delay_alu instid0(VALU_DEP_2) | instskip(SKIP_3) | instid1(VALU_DEP_1)
	v_cmp_ge_i64_e32 vcc_lo, v[26:27], v[24:25]
	s_or_b32 s36, vcc_lo, s36
	s_waitcnt lgkmcnt(0)
	v_max_f32_e32 v34, v34, v34
	v_max_f32_e32 v33, v33, v34
	ds_store_b32 v21, v33
	s_and_not1_b32 exec_lo, exec_lo, s36
	s_cbranch_execnz .LBB42_33
.LBB42_34:                              ;   in Loop: Header=BB42_30 Depth=1
	s_or_b32 exec_lo, exec_lo, s3
	v_sub_co_u32 v22, vcc_lo, v24, v22
	v_sub_co_ci_u32_e32 v23, vcc_lo, v25, v23, vcc_lo
	s_mov_b32 s3, exec_lo
	s_delay_alu instid0(VALU_DEP_1) | instskip(SKIP_1) | instid1(VALU_DEP_1)
	v_cmp_gt_i64_e32 vcc_lo, 32, v[22:23]
	v_dual_cndmask_b32 v24, 0, v23 :: v_dual_cndmask_b32 v23, 32, v22
	v_cmpx_lt_i64_e64 v[11:12], v[23:24]
	s_cbranch_execz .LBB42_36
; %bb.35:                               ;   in Loop: Header=BB42_30 Depth=1
	v_dual_mov_b32 v22, s27 :: v_dual_add_nc_u32 v25, 64, v21
	v_mov_b32_e32 v26, s27
	flat_load_b32 v27, v[21:22] glc dlc
	s_waitcnt vmcnt(0)
	flat_load_b32 v25, v[25:26] glc dlc
	s_waitcnt vmcnt(0) lgkmcnt(0)
	v_dual_max_f32 v26, v27, v27 :: v_dual_max_f32 v25, v25, v25
	s_delay_alu instid0(VALU_DEP_1)
	v_max_f32_e32 v25, v26, v25
	flat_store_b32 v[21:22], v25 dlc
	s_waitcnt_vscnt null, 0x0
.LBB42_36:                              ;   in Loop: Header=BB42_30 Depth=1
	s_or_b32 exec_lo, exec_lo, s3
	s_delay_alu instid0(SALU_CYCLE_1)
	s_mov_b32 s3, exec_lo
	v_cmpx_lt_i64_e64 v[13:14], v[23:24]
	s_cbranch_execz .LBB42_38
; %bb.37:                               ;   in Loop: Header=BB42_30 Depth=1
	v_dual_mov_b32 v22, s27 :: v_dual_add_nc_u32 v25, 32, v21
	v_mov_b32_e32 v26, s27
	flat_load_b32 v27, v[21:22] glc dlc
	s_waitcnt vmcnt(0)
	flat_load_b32 v25, v[25:26] glc dlc
	s_waitcnt vmcnt(0) lgkmcnt(0)
	v_dual_max_f32 v26, v27, v27 :: v_dual_max_f32 v25, v25, v25
	s_delay_alu instid0(VALU_DEP_1)
	v_max_f32_e32 v25, v26, v25
	flat_store_b32 v[21:22], v25 dlc
	s_waitcnt_vscnt null, 0x0
.LBB42_38:                              ;   in Loop: Header=BB42_30 Depth=1
	s_or_b32 exec_lo, exec_lo, s3
	s_delay_alu instid0(SALU_CYCLE_1)
	s_mov_b32 s3, exec_lo
	v_cmpx_ge_i64_e64 v[15:16], v[23:24]
	s_xor_b32 s3, exec_lo, s3
; %bb.39:                               ;   in Loop: Header=BB42_30 Depth=1
                                        ; implicit-def: $vgpr21
; %bb.40:                               ;   in Loop: Header=BB42_30 Depth=1
	s_delay_alu instid0(SALU_CYCLE_1)
	s_and_not1_saveexec_b32 s3, s3
	s_cbranch_execz .LBB42_42
; %bb.41:                               ;   in Loop: Header=BB42_30 Depth=1
	v_dual_mov_b32 v22, s27 :: v_dual_add_nc_u32 v25, 16, v21
	v_mov_b32_e32 v26, s27
	flat_load_b32 v27, v[21:22] glc dlc
	s_waitcnt vmcnt(0)
	flat_load_b32 v25, v[25:26] glc dlc
	s_waitcnt vmcnt(0) lgkmcnt(0)
	v_dual_max_f32 v26, v27, v27 :: v_dual_max_f32 v25, v25, v25
	s_delay_alu instid0(VALU_DEP_1)
	v_max_f32_e32 v25, v26, v25
	flat_store_b32 v[21:22], v25 dlc
	s_waitcnt_vscnt null, 0x0
.LBB42_42:                              ;   in Loop: Header=BB42_30 Depth=1
	s_or_b32 exec_lo, exec_lo, s3
	v_lshlrev_b32_e32 v21, 2, v31
	s_mov_b32 s3, exec_lo
	v_cmpx_lt_i64_e64 v[17:18], v[23:24]
	s_cbranch_execz .LBB42_44
; %bb.43:                               ;   in Loop: Header=BB42_30 Depth=1
	s_delay_alu instid0(VALU_DEP_2)
	v_dual_mov_b32 v22, s27 :: v_dual_add_nc_u32 v25, 8, v21
	v_mov_b32_e32 v26, s27
	flat_load_b32 v27, v[21:22] glc dlc
	s_waitcnt vmcnt(0)
	flat_load_b32 v25, v[25:26] glc dlc
	s_waitcnt vmcnt(0) lgkmcnt(0)
	v_dual_max_f32 v26, v27, v27 :: v_dual_max_f32 v25, v25, v25
	s_delay_alu instid0(VALU_DEP_1)
	v_max_f32_e32 v25, v26, v25
	flat_store_b32 v[21:22], v25 dlc
	s_waitcnt_vscnt null, 0x0
.LBB42_44:                              ;   in Loop: Header=BB42_30 Depth=1
	s_or_b32 exec_lo, exec_lo, s3
	s_delay_alu instid0(SALU_CYCLE_1)
	s_mov_b32 s3, exec_lo
	v_cmpx_lt_i64_e64 v[19:20], v[23:24]
	s_cbranch_execz .LBB42_28
; %bb.45:                               ;   in Loop: Header=BB42_30 Depth=1
	v_dual_mov_b32 v22, s27 :: v_dual_add_nc_u32 v23, 4, v21
	v_mov_b32_e32 v24, s27
	flat_load_b32 v25, v[21:22] glc dlc
	s_waitcnt vmcnt(0)
	flat_load_b32 v23, v[23:24] glc dlc
	s_waitcnt vmcnt(0) lgkmcnt(0)
	v_dual_max_f32 v24, v25, v25 :: v_dual_max_f32 v23, v23, v23
	s_delay_alu instid0(VALU_DEP_1)
	v_max_f32_e32 v23, v24, v23
	flat_store_b32 v[21:22], v23 dlc
	s_waitcnt_vscnt null, 0x0
	s_branch .LBB42_28
.LBB42_46:
	s_load_b64 s[12:13], s[0:1], 0x40
	v_cmp_lt_i64_e32 vcc_lo, v[7:8], v[5:6]
	v_cmp_eq_u32_e64 s3, 0, v3
	s_waitcnt lgkmcnt(0)
	s_barrier
	buffer_gl0_inv
	s_and_b32 s9, s3, vcc_lo
	s_delay_alu instid0(SALU_CYCLE_1)
	s_and_saveexec_b32 s3, s9
	s_cbranch_execz .LBB42_53
; %bb.47:
	s_load_b64 s[0:1], s[0:1], 0x20
	ds_load_b32 v5, v29
	s_waitcnt lgkmcnt(0)
	s_cmp_eq_u64 s[0:1], 0
	s_cbranch_scc1 .LBB42_49
; %bb.48:
	s_load_b32 s0, s[0:1], 0x0
	v_max_f32_e32 v3, v5, v5
	s_waitcnt lgkmcnt(0)
	v_max_f32_e64 v4, s0, s0
	s_delay_alu instid0(VALU_DEP_1)
	v_min_f32_e32 v5, v3, v4
.LBB42_49:
	s_add_u32 s0, s12, s34
	s_addc_u32 s1, s13, 0
	s_add_u32 s18, s0, -1
	s_addc_u32 s19, s1, -1
	s_delay_alu instid0(SALU_CYCLE_1) | instskip(SKIP_1) | instid1(SALU_CYCLE_1)
	s_or_b64 s[20:21], s[18:19], s[12:13]
	s_mov_b32 s20, 0
	s_cmp_lg_u64 s[20:21], 0
	s_cbranch_scc0 .LBB42_162
; %bb.50:
	s_ashr_i32 s0, s13, 31
	s_delay_alu instid0(SALU_CYCLE_1) | instskip(SKIP_2) | instid1(SALU_CYCLE_1)
	s_add_u32 s22, s12, s0
	s_mov_b32 s1, s0
	s_addc_u32 s23, s13, s0
	s_xor_b64 s[0:1], s[22:23], s[0:1]
	s_delay_alu instid0(SALU_CYCLE_1) | instskip(SKIP_3) | instid1(VALU_DEP_1)
	v_cvt_f32_u32_e32 v3, s0
	v_cvt_f32_u32_e32 v4, s1
	s_sub_u32 s22, 0, s0
	s_subb_u32 s23, 0, s1
	v_fmamk_f32 v3, v4, 0x4f800000, v3
	s_delay_alu instid0(VALU_DEP_1) | instskip(SKIP_2) | instid1(VALU_DEP_1)
	v_rcp_f32_e32 v3, v3
	s_waitcnt_depctr 0xfff
	v_mul_f32_e32 v3, 0x5f7ffffc, v3
	v_mul_f32_e32 v4, 0x2f800000, v3
	s_delay_alu instid0(VALU_DEP_1) | instskip(NEXT) | instid1(VALU_DEP_1)
	v_trunc_f32_e32 v4, v4
	v_fmamk_f32 v3, v4, 0xcf800000, v3
	v_cvt_u32_f32_e32 v4, v4
	s_delay_alu instid0(VALU_DEP_2) | instskip(NEXT) | instid1(VALU_DEP_2)
	v_cvt_u32_f32_e32 v3, v3
	v_readfirstlane_b32 s9, v4
	s_delay_alu instid0(VALU_DEP_2) | instskip(NEXT) | instid1(VALU_DEP_2)
	v_readfirstlane_b32 s21, v3
	s_mul_i32 s24, s22, s9
	s_delay_alu instid0(VALU_DEP_1)
	s_mul_hi_u32 s26, s22, s21
	s_mul_i32 s25, s23, s21
	s_add_i32 s24, s26, s24
	s_mul_i32 s27, s22, s21
	s_add_i32 s24, s24, s25
	s_mul_hi_u32 s26, s21, s27
	s_mul_hi_u32 s35, s9, s27
	s_mul_i32 s25, s9, s27
	s_mul_hi_u32 s27, s21, s24
	s_mul_i32 s21, s21, s24
	s_mul_hi_u32 s36, s9, s24
	s_add_u32 s21, s26, s21
	s_addc_u32 s26, 0, s27
	s_add_u32 s21, s21, s25
	s_mul_i32 s24, s9, s24
	s_addc_u32 s21, s26, s35
	s_addc_u32 s25, s36, 0
	s_add_u32 s21, s21, s24
	s_addc_u32 s24, 0, s25
	v_add_co_u32 v3, s21, v3, s21
	s_delay_alu instid0(VALU_DEP_1) | instskip(SKIP_1) | instid1(VALU_DEP_1)
	s_cmp_lg_u32 s21, 0
	s_addc_u32 s9, s9, s24
	v_readfirstlane_b32 s21, v3
	s_mul_i32 s24, s22, s9
	s_delay_alu instid0(VALU_DEP_1)
	s_mul_hi_u32 s25, s22, s21
	s_mul_i32 s23, s23, s21
	s_add_i32 s24, s25, s24
	s_mul_i32 s22, s22, s21
	s_add_i32 s24, s24, s23
	s_mul_hi_u32 s25, s9, s22
	s_mul_i32 s26, s9, s22
	s_mul_hi_u32 s22, s21, s22
	s_mul_hi_u32 s27, s21, s24
	s_mul_i32 s21, s21, s24
	s_mul_hi_u32 s23, s9, s24
	s_add_u32 s21, s22, s21
	s_addc_u32 s22, 0, s27
	s_add_u32 s21, s21, s26
	s_mul_i32 s24, s9, s24
	s_addc_u32 s21, s22, s25
	s_addc_u32 s22, s23, 0
	s_add_u32 s21, s21, s24
	s_addc_u32 s22, 0, s22
	v_add_co_u32 v3, s21, v3, s21
	s_delay_alu instid0(VALU_DEP_1) | instskip(SKIP_2) | instid1(VALU_DEP_1)
	s_cmp_lg_u32 s21, 0
	s_addc_u32 s9, s9, s22
	s_ashr_i32 s22, s19, 31
	v_readfirstlane_b32 s21, v3
	s_add_u32 s24, s18, s22
	s_mov_b32 s23, s22
	s_addc_u32 s25, s19, s22
	s_delay_alu instid0(SALU_CYCLE_1) | instskip(NEXT) | instid1(SALU_CYCLE_1)
	s_xor_b64 s[24:25], s[24:25], s[22:23]
	s_mul_i32 s26, s24, s9
	s_mul_hi_u32 s27, s24, s21
	s_mul_hi_u32 s23, s24, s9
	;; [unrolled: 1-line block ×3, first 2 shown]
	s_mul_i32 s21, s25, s21
	s_add_u32 s26, s27, s26
	s_addc_u32 s23, 0, s23
	s_mul_hi_u32 s35, s25, s9
	s_add_u32 s21, s26, s21
	s_mul_i32 s9, s25, s9
	s_addc_u32 s21, s23, s36
	s_addc_u32 s23, s35, 0
	s_add_u32 s9, s21, s9
	s_addc_u32 s21, 0, s23
	s_mul_hi_u32 s23, s0, s9
	s_mul_i32 s21, s0, s21
	s_mul_i32 s26, s1, s9
	;; [unrolled: 1-line block ×3, first 2 shown]
	s_add_i32 s21, s23, s21
	v_sub_co_u32 v3, s9, s24, s9
	s_add_i32 s21, s21, s26
	s_delay_alu instid0(SALU_CYCLE_1) | instskip(SKIP_1) | instid1(VALU_DEP_1)
	s_sub_i32 s23, s25, s21
	s_cmp_lg_u32 s9, 0
	v_sub_co_u32 v4, s24, v3, s0
	s_subb_u32 s23, s23, s1
	s_cmp_lg_u32 s24, 0
	s_subb_u32 s26, s23, 0
	s_delay_alu instid0(VALU_DEP_1)
	v_cmp_le_u32_e32 vcc_lo, s0, v4
	s_cmp_ge_u32 s26, s1
	s_cselect_b32 s27, -1, 0
	s_cmp_eq_u32 s26, s1
	v_cndmask_b32_e64 v6, 0, -1, vcc_lo
	s_cselect_b32 vcc_lo, -1, 0
	s_cmp_lg_u32 s24, 0
	v_sub_co_u32 v7, s24, v4, s0
	s_subb_u32 s23, s23, s1
	s_cmp_lg_u32 s24, 0
	v_cndmask_b32_e32 v6, s27, v6, vcc_lo
	s_subb_u32 s23, s23, 0
	s_cmp_lg_u32 s9, 0
	v_cmp_le_u32_e32 vcc_lo, s0, v3
	s_subb_u32 s9, s25, s21
	s_delay_alu instid0(SALU_CYCLE_1)
	s_cmp_ge_u32 s9, s1
	v_cndmask_b32_e64 v8, 0, -1, vcc_lo
	s_cselect_b32 s21, -1, 0
	s_cmp_eq_u32 s9, s1
	v_cmp_ne_u32_e32 vcc_lo, 0, v6
	v_mov_b32_e32 v6, s23
	s_cselect_b32 s0, -1, 0
	s_delay_alu instid0(SALU_CYCLE_1) | instskip(SKIP_1) | instid1(VALU_DEP_3)
	v_cndmask_b32_e64 v8, s21, v8, s0
	v_cndmask_b32_e32 v4, v4, v7, vcc_lo
	v_cndmask_b32_e32 v6, s26, v6, vcc_lo
	s_delay_alu instid0(VALU_DEP_3) | instskip(NEXT) | instid1(VALU_DEP_3)
	v_cmp_ne_u32_e32 vcc_lo, 0, v8
	v_cndmask_b32_e32 v3, v3, v4, vcc_lo
	s_delay_alu instid0(VALU_DEP_3) | instskip(NEXT) | instid1(VALU_DEP_2)
	v_cndmask_b32_e32 v6, s9, v6, vcc_lo
	v_xor_b32_e32 v3, s22, v3
	s_delay_alu instid0(VALU_DEP_2) | instskip(NEXT) | instid1(VALU_DEP_2)
	v_xor_b32_e32 v4, s22, v6
	v_sub_co_u32 v3, vcc_lo, v3, s22
	s_delay_alu instid0(VALU_DEP_2)
	v_subrev_co_ci_u32_e32 v4, vcc_lo, s22, v4, vcc_lo
	s_and_not1_b32 vcc_lo, exec_lo, s20
	s_cbranch_vccnz .LBB42_52
.LBB42_51:
	v_cvt_f32_u32_e32 v3, s12
	s_sub_i32 s0, 0, s12
	s_delay_alu instid0(VALU_DEP_1) | instskip(SKIP_2) | instid1(VALU_DEP_1)
	v_rcp_iflag_f32_e32 v3, v3
	s_waitcnt_depctr 0xfff
	v_mul_f32_e32 v3, 0x4f7ffffe, v3
	v_cvt_u32_f32_e32 v3, v3
	s_delay_alu instid0(VALU_DEP_1) | instskip(NEXT) | instid1(VALU_DEP_1)
	v_mul_lo_u32 v4, s0, v3
	v_mul_hi_u32 v4, v3, v4
	s_delay_alu instid0(VALU_DEP_1) | instskip(NEXT) | instid1(VALU_DEP_1)
	v_add_nc_u32_e32 v3, v3, v4
	v_mul_hi_u32 v3, s18, v3
	s_delay_alu instid0(VALU_DEP_1) | instskip(NEXT) | instid1(VALU_DEP_1)
	v_mul_lo_u32 v3, v3, s12
	v_sub_nc_u32_e32 v3, s18, v3
	s_delay_alu instid0(VALU_DEP_1) | instskip(SKIP_1) | instid1(VALU_DEP_2)
	v_subrev_nc_u32_e32 v4, s12, v3
	v_cmp_le_u32_e32 vcc_lo, s12, v3
	v_cndmask_b32_e32 v3, v3, v4, vcc_lo
	s_delay_alu instid0(VALU_DEP_1) | instskip(SKIP_1) | instid1(VALU_DEP_2)
	v_subrev_nc_u32_e32 v4, s12, v3
	v_cmp_le_u32_e32 vcc_lo, s12, v3
	v_dual_cndmask_b32 v3, v3, v4 :: v_dual_mov_b32 v4, 0
.LBB42_52:
	v_div_scale_f32 v6, null, 0x43e00000, 0x43e00000, v5
	v_div_scale_f32 v9, vcc_lo, v5, 0x43e00000, v5
	s_delay_alu instid0(VALU_DEP_3) | instskip(NEXT) | instid1(VALU_DEP_3)
	v_sub_co_u32 v10, s0, s18, v3
	v_rcp_f32_e32 v7, v6
	v_sub_co_ci_u32_e64 v3, s0, s19, v4, s0
	s_lshl_b64 s[0:1], s[16:17], 2
	s_delay_alu instid0(SALU_CYCLE_1) | instskip(NEXT) | instid1(VALU_DEP_1)
	s_add_u32 s0, s0, s6
	v_mul_lo_u32 v11, v3, v1
	s_addc_u32 s1, s1, s7
	s_waitcnt_depctr 0xfff
	v_fma_f32 v8, -v6, v7, 1.0
	s_delay_alu instid0(VALU_DEP_1) | instskip(NEXT) | instid1(VALU_DEP_1)
	v_fmac_f32_e32 v7, v8, v7
	v_mul_f32_e32 v8, v9, v7
	s_delay_alu instid0(VALU_DEP_1) | instskip(NEXT) | instid1(VALU_DEP_1)
	v_fma_f32 v4, -v6, v8, v9
	v_fmac_f32_e32 v8, v4, v7
	v_mul_lo_u32 v4, v10, v2
	v_mad_u64_u32 v[2:3], null, v10, v1, 0
	s_delay_alu instid0(VALU_DEP_3) | instskip(NEXT) | instid1(VALU_DEP_2)
	v_fma_f32 v1, -v6, v8, v9
	v_add3_u32 v3, v3, v4, v11
	s_delay_alu instid0(VALU_DEP_2) | instskip(NEXT) | instid1(VALU_DEP_1)
	v_div_fmas_f32 v1, v1, v7, v8
	v_div_fixup_f32 v4, v1, 0x43e00000, v5
	s_delay_alu instid0(VALU_DEP_3) | instskip(NEXT) | instid1(VALU_DEP_2)
	v_lshlrev_b64 v[1:2], 2, v[2:3]
	v_max_f32_e32 v3, 0x36924925, v4
	s_delay_alu instid0(VALU_DEP_2) | instskip(NEXT) | instid1(VALU_DEP_3)
	v_add_co_u32 v1, vcc_lo, s0, v1
	v_add_co_ci_u32_e32 v2, vcc_lo, s1, v2, vcc_lo
	global_store_b32 v[1:2], v3, off
.LBB42_53:
	s_or_b32 exec_lo, exec_lo, s3
	s_waitcnt_vscnt null, 0x0
	s_barrier
	buffer_gl0_inv
	s_and_saveexec_b32 s0, s2
	s_cbranch_execz .LBB42_161
; %bb.54:
	s_add_u32 s0, s12, s34
	s_addc_u32 s1, s13, 0
	s_add_u32 s2, s0, -1
	s_addc_u32 s3, s1, -1
	s_delay_alu instid0(SALU_CYCLE_1) | instskip(SKIP_1) | instid1(SALU_CYCLE_1)
	s_or_b64 s[18:19], s[2:3], s[12:13]
	s_mov_b32 s18, 0
	s_cmp_lg_u64 s[18:19], 0
	s_cbranch_scc0 .LBB42_163
; %bb.55:
	s_ashr_i32 s0, s13, 31
	s_delay_alu instid0(SALU_CYCLE_1) | instskip(SKIP_2) | instid1(SALU_CYCLE_1)
	s_add_u32 s20, s12, s0
	s_mov_b32 s1, s0
	s_addc_u32 s21, s13, s0
	s_xor_b64 s[0:1], s[20:21], s[0:1]
	s_delay_alu instid0(SALU_CYCLE_1) | instskip(SKIP_3) | instid1(VALU_DEP_1)
	v_cvt_f32_u32_e32 v1, s0
	v_cvt_f32_u32_e32 v2, s1
	s_sub_u32 s19, 0, s0
	s_subb_u32 s20, 0, s1
	v_fmamk_f32 v1, v2, 0x4f800000, v1
	s_delay_alu instid0(VALU_DEP_1) | instskip(SKIP_2) | instid1(VALU_DEP_1)
	v_rcp_f32_e32 v1, v1
	s_waitcnt_depctr 0xfff
	v_mul_f32_e32 v1, 0x5f7ffffc, v1
	v_mul_f32_e32 v2, 0x2f800000, v1
	s_delay_alu instid0(VALU_DEP_1) | instskip(NEXT) | instid1(VALU_DEP_1)
	v_trunc_f32_e32 v2, v2
	v_fmamk_f32 v1, v2, 0xcf800000, v1
	v_cvt_u32_f32_e32 v2, v2
	s_delay_alu instid0(VALU_DEP_2) | instskip(NEXT) | instid1(VALU_DEP_2)
	v_cvt_u32_f32_e32 v1, v1
	v_readfirstlane_b32 s9, v2
	s_delay_alu instid0(VALU_DEP_2) | instskip(NEXT) | instid1(VALU_DEP_2)
	v_readfirstlane_b32 s13, v1
	s_mul_i32 s21, s19, s9
	s_delay_alu instid0(VALU_DEP_1)
	s_mul_hi_u32 s23, s19, s13
	s_mul_i32 s22, s20, s13
	s_add_i32 s21, s23, s21
	s_mul_i32 s24, s19, s13
	s_add_i32 s21, s21, s22
	s_mul_hi_u32 s23, s13, s24
	s_mul_hi_u32 s25, s9, s24
	s_mul_i32 s22, s9, s24
	s_mul_hi_u32 s24, s13, s21
	s_mul_i32 s13, s13, s21
	s_mul_hi_u32 s26, s9, s21
	s_add_u32 s13, s23, s13
	s_addc_u32 s23, 0, s24
	s_add_u32 s13, s13, s22
	s_mul_i32 s21, s9, s21
	s_addc_u32 s13, s23, s25
	s_addc_u32 s22, s26, 0
	s_add_u32 s13, s13, s21
	s_addc_u32 s21, 0, s22
	v_add_co_u32 v1, s13, v1, s13
	s_delay_alu instid0(VALU_DEP_1) | instskip(SKIP_1) | instid1(VALU_DEP_1)
	s_cmp_lg_u32 s13, 0
	s_addc_u32 s9, s9, s21
	v_readfirstlane_b32 s13, v1
	s_mul_i32 s21, s19, s9
	s_delay_alu instid0(VALU_DEP_1)
	s_mul_hi_u32 s22, s19, s13
	s_mul_i32 s20, s20, s13
	s_add_i32 s21, s22, s21
	s_mul_i32 s19, s19, s13
	s_add_i32 s21, s21, s20
	s_mul_hi_u32 s22, s9, s19
	s_mul_i32 s23, s9, s19
	s_mul_hi_u32 s19, s13, s19
	s_mul_hi_u32 s24, s13, s21
	s_mul_i32 s13, s13, s21
	s_mul_hi_u32 s20, s9, s21
	s_add_u32 s13, s19, s13
	s_addc_u32 s19, 0, s24
	s_add_u32 s13, s13, s23
	s_mul_i32 s21, s9, s21
	s_addc_u32 s13, s19, s22
	s_addc_u32 s19, s20, 0
	s_add_u32 s13, s13, s21
	s_addc_u32 s19, 0, s19
	v_add_co_u32 v1, s13, v1, s13
	s_delay_alu instid0(VALU_DEP_1) | instskip(SKIP_2) | instid1(VALU_DEP_1)
	s_cmp_lg_u32 s13, 0
	s_addc_u32 s9, s9, s19
	s_ashr_i32 s20, s3, 31
	v_readfirstlane_b32 s13, v1
	s_add_u32 s22, s2, s20
	s_mov_b32 s21, s20
	s_addc_u32 s23, s3, s20
	s_delay_alu instid0(SALU_CYCLE_1) | instskip(NEXT) | instid1(SALU_CYCLE_1)
	s_xor_b64 s[22:23], s[22:23], s[20:21]
	s_mul_i32 s21, s22, s9
	s_mul_hi_u32 s24, s22, s13
	s_mul_hi_u32 s19, s22, s9
	;; [unrolled: 1-line block ×3, first 2 shown]
	s_mul_i32 s13, s23, s13
	s_add_u32 s21, s24, s21
	s_addc_u32 s19, 0, s19
	s_mul_hi_u32 s25, s23, s9
	s_add_u32 s13, s21, s13
	s_mul_i32 s9, s23, s9
	s_addc_u32 s13, s19, s26
	s_addc_u32 s19, s25, 0
	s_add_u32 s9, s13, s9
	s_addc_u32 s13, 0, s19
	s_mul_hi_u32 s19, s0, s9
	s_mul_i32 s13, s0, s13
	s_mul_i32 s21, s1, s9
	;; [unrolled: 1-line block ×3, first 2 shown]
	s_add_i32 s13, s19, s13
	v_sub_co_u32 v1, s9, s22, s9
	s_add_i32 s13, s13, s21
	s_delay_alu instid0(SALU_CYCLE_1) | instskip(SKIP_1) | instid1(VALU_DEP_1)
	s_sub_i32 s19, s23, s13
	s_cmp_lg_u32 s9, 0
	v_sub_co_u32 v2, s21, v1, s0
	s_subb_u32 s19, s19, s1
	s_cmp_lg_u32 s21, 0
	s_subb_u32 s22, s19, 0
	s_delay_alu instid0(VALU_DEP_1)
	v_cmp_le_u32_e32 vcc_lo, s0, v2
	s_cmp_ge_u32 s22, s1
	s_cselect_b32 s24, -1, 0
	s_cmp_eq_u32 s22, s1
	v_cndmask_b32_e64 v3, 0, -1, vcc_lo
	s_cselect_b32 vcc_lo, -1, 0
	s_cmp_lg_u32 s21, 0
	v_sub_co_u32 v4, s21, v2, s0
	s_subb_u32 s19, s19, s1
	s_cmp_lg_u32 s21, 0
	v_cndmask_b32_e32 v3, s24, v3, vcc_lo
	s_subb_u32 s19, s19, 0
	s_cmp_lg_u32 s9, 0
	v_cmp_le_u32_e32 vcc_lo, s0, v1
	s_subb_u32 s9, s23, s13
	s_delay_alu instid0(SALU_CYCLE_1)
	s_cmp_ge_u32 s9, s1
	v_cndmask_b32_e64 v5, 0, -1, vcc_lo
	s_cselect_b32 s13, -1, 0
	s_cmp_eq_u32 s9, s1
	v_cmp_ne_u32_e32 vcc_lo, 0, v3
	v_mov_b32_e32 v3, s19
	s_cselect_b32 s0, -1, 0
	s_delay_alu instid0(SALU_CYCLE_1) | instskip(SKIP_1) | instid1(VALU_DEP_3)
	v_cndmask_b32_e64 v5, s13, v5, s0
	v_cndmask_b32_e32 v2, v2, v4, vcc_lo
	v_cndmask_b32_e32 v3, s22, v3, vcc_lo
	s_delay_alu instid0(VALU_DEP_3) | instskip(NEXT) | instid1(VALU_DEP_3)
	v_cmp_ne_u32_e32 vcc_lo, 0, v5
	v_cndmask_b32_e32 v1, v1, v2, vcc_lo
	s_delay_alu instid0(VALU_DEP_3) | instskip(NEXT) | instid1(VALU_DEP_2)
	v_cndmask_b32_e32 v3, s9, v3, vcc_lo
	v_xor_b32_e32 v1, s20, v1
	s_delay_alu instid0(VALU_DEP_2) | instskip(NEXT) | instid1(VALU_DEP_2)
	v_xor_b32_e32 v2, s20, v3
	v_sub_co_u32 v1, vcc_lo, v1, s20
	s_delay_alu instid0(VALU_DEP_2)
	v_subrev_co_ci_u32_e32 v2, vcc_lo, s20, v2, vcc_lo
	s_and_not1_b32 vcc_lo, exec_lo, s18
	s_cbranch_vccnz .LBB42_57
.LBB42_56:
	v_cvt_f32_u32_e32 v1, s12
	s_sub_i32 s0, 0, s12
	s_delay_alu instid0(VALU_DEP_1) | instskip(SKIP_2) | instid1(VALU_DEP_1)
	v_rcp_iflag_f32_e32 v1, v1
	s_waitcnt_depctr 0xfff
	v_mul_f32_e32 v1, 0x4f7ffffe, v1
	v_cvt_u32_f32_e32 v1, v1
	s_delay_alu instid0(VALU_DEP_1) | instskip(NEXT) | instid1(VALU_DEP_1)
	v_mul_lo_u32 v2, s0, v1
	v_mul_hi_u32 v2, v1, v2
	s_delay_alu instid0(VALU_DEP_1) | instskip(NEXT) | instid1(VALU_DEP_1)
	v_add_nc_u32_e32 v1, v1, v2
	v_mul_hi_u32 v1, s2, v1
	s_delay_alu instid0(VALU_DEP_1) | instskip(NEXT) | instid1(VALU_DEP_1)
	v_mul_lo_u32 v1, v1, s12
	v_sub_nc_u32_e32 v1, s2, v1
	s_delay_alu instid0(VALU_DEP_1) | instskip(SKIP_1) | instid1(VALU_DEP_2)
	v_subrev_nc_u32_e32 v2, s12, v1
	v_cmp_le_u32_e32 vcc_lo, s12, v1
	v_cndmask_b32_e32 v1, v1, v2, vcc_lo
	s_delay_alu instid0(VALU_DEP_1) | instskip(SKIP_1) | instid1(VALU_DEP_2)
	v_subrev_nc_u32_e32 v2, s12, v1
	v_cmp_le_u32_e32 vcc_lo, s12, v1
	v_dual_cndmask_b32 v1, v1, v2 :: v_dual_mov_b32 v2, 0
.LBB42_57:
	s_delay_alu instid0(VALU_DEP_1)
	v_sub_co_u32 v7, vcc_lo, s2, v1
	s_add_u32 s0, s4, s14
	s_addc_u32 s1, s5, s15
	s_lshl_b64 s[4:5], s[16:17], 2
	v_sub_co_ci_u32_e32 v8, vcc_lo, s3, v2, vcc_lo
	v_mov_b32_e32 v1, 0
	s_add_u32 s4, s6, s4
	s_addc_u32 s5, s7, s5
	s_mul_i32 s2, s33, 3
	s_lshl_b32 s3, s33, 1
	s_mov_b32 s6, 0
	s_mov_b32 s7, 0x43e00000
	s_add_i32 s9, s33, s33
	s_branch .LBB42_63
.LBB42_58:                              ;   in Loop: Header=BB42_63 Depth=1
	s_or_b32 exec_lo, exec_lo, s16
.LBB42_59:                              ;   in Loop: Header=BB42_63 Depth=1
	s_delay_alu instid0(SALU_CYCLE_1)
	s_or_b32 exec_lo, exec_lo, s15
	v_lshrrev_b32_e32 v10, 24, v14
	v_lshrrev_b32_e32 v3, 24, v3
	v_lshlrev_b32_e32 v11, 24, v12
	v_and_b32_e32 v12, 0x80000000, v4
	v_lshrrev_b32_e32 v6, 24, v6
	v_and_b32_e32 v10, 0x80, v10
	v_and_b32_e32 v3, 0x80, v3
	;; [unrolled: 1-line block ×3, first 2 shown]
	s_delay_alu instid0(VALU_DEP_3) | instskip(NEXT) | instid1(VALU_DEP_3)
	v_and_or_b32 v10, 0xff, v13, v10
	v_and_or_b32 v5, 0xff, v5, v3
	v_lshlrev_b64 v[3:4], 2, v[0:1]
	v_add3_u32 v0, s9, s33, v2
	v_and_or_b32 v6, 0x80, v6, v9
	v_lshlrev_b32_e32 v10, 16, v10
	v_lshlrev_b32_e32 v5, 8, v5
	v_add_co_u32 v2, vcc_lo, s0, v3
	s_delay_alu instid0(VALU_DEP_3) | instskip(SKIP_2) | instid1(VALU_DEP_3)
	v_or3_b32 v9, v12, v11, v10
	v_add_co_ci_u32_e32 v3, vcc_lo, s1, v4, vcc_lo
	v_cmp_le_u32_e32 vcc_lo, s8, v0
	v_or3_b32 v4, v9, v5, v6
	s_or_not1_b32 s15, vcc_lo, exec_lo
	global_store_b32 v[2:3], v4, off
.LBB42_60:                              ;   in Loop: Header=BB42_63 Depth=1
	s_or_b32 exec_lo, exec_lo, s14
	s_delay_alu instid0(SALU_CYCLE_1)
	s_or_not1_b32 s14, s15, exec_lo
.LBB42_61:                              ;   in Loop: Header=BB42_63 Depth=1
	s_or_b32 exec_lo, exec_lo, s13
	s_delay_alu instid0(SALU_CYCLE_1)
	s_or_not1_b32 s13, s14, exec_lo
.LBB42_62:                              ;   in Loop: Header=BB42_63 Depth=1
	s_or_b32 exec_lo, exec_lo, s12
	s_delay_alu instid0(SALU_CYCLE_1) | instskip(NEXT) | instid1(SALU_CYCLE_1)
	s_and_b32 s12, exec_lo, s13
	s_or_b32 s6, s12, s6
	s_delay_alu instid0(SALU_CYCLE_1)
	s_and_not1_b32 exec_lo, exec_lo, s6
	s_cbranch_execz .LBB42_161
.LBB42_63:                              ; =>This Inner Loop Header: Depth=1
	v_lshlrev_b64 v[2:3], 3, v[0:1]
	v_bfe_u32 v6, v0, 5, 25
	s_mov_b32 s12, exec_lo
	s_delay_alu instid0(VALU_DEP_1) | instskip(NEXT) | instid1(VALU_DEP_3)
	v_mad_u64_u32 v[4:5], null, v7, v6, 0
	v_add_co_u32 v9, vcc_lo, s28, v2
	s_delay_alu instid0(VALU_DEP_4)
	v_add_co_ci_u32_e32 v10, vcc_lo, s29, v3, vcc_lo
	v_add_co_u32 v14, vcc_lo, s30, v2
	v_add_co_ci_u32_e32 v15, vcc_lo, s31, v3, vcc_lo
	v_mad_u64_u32 v[11:12], null, v8, v6, v[5:6]
	global_load_b64 v[12:13], v[9:10], off
	global_load_b64 v[16:17], v[14:15], off
	v_add_co_u32 v2, vcc_lo, s10, v2
	v_add_co_ci_u32_e32 v3, vcc_lo, s11, v3, vcc_lo
	v_mov_b32_e32 v5, v11
	global_load_b64 v[2:3], v[2:3], off
	v_lshlrev_b64 v[4:5], 2, v[4:5]
	s_delay_alu instid0(VALU_DEP_1) | instskip(NEXT) | instid1(VALU_DEP_2)
	v_add_co_u32 v4, vcc_lo, s4, v4
	v_add_co_ci_u32_e32 v5, vcc_lo, s5, v5, vcc_lo
	global_load_b32 v9, v[4:5], off
	s_waitcnt vmcnt(3)
	v_cvt_f32_f16_e32 v4, v12
	s_waitcnt vmcnt(2)
	v_cvt_f32_f16_e32 v5, v16
	v_lshrrev_b32_e32 v12, 16, v12
	v_lshrrev_b32_e32 v16, 16, v16
	s_delay_alu instid0(VALU_DEP_3) | instskip(NEXT) | instid1(VALU_DEP_3)
	v_add_f32_e32 v4, v4, v5
	v_cvt_f32_f16_e32 v12, v12
	s_delay_alu instid0(VALU_DEP_3) | instskip(NEXT) | instid1(VALU_DEP_3)
	v_cvt_f32_f16_e32 v16, v16
	v_fma_mixlo_f16 v5, v28, v4, 0
	s_delay_alu instid0(VALU_DEP_2) | instskip(SKIP_1) | instid1(VALU_DEP_2)
	v_add_f32_e32 v12, v12, v16
	s_waitcnt vmcnt(1)
	v_mul_f16_e32 v5, v2, v5
	s_delay_alu instid0(VALU_DEP_1) | instskip(SKIP_1) | instid1(VALU_DEP_1)
	v_cvt_f32_f16_e32 v5, v5
	s_waitcnt vmcnt(0)
	v_div_scale_f32 v6, null, v9, v9, v5
	v_div_scale_f32 v18, vcc_lo, v5, v9, v5
	s_delay_alu instid0(VALU_DEP_2) | instskip(SKIP_2) | instid1(VALU_DEP_1)
	v_rcp_f32_e32 v10, v6
	s_waitcnt_depctr 0xfff
	v_fma_f32 v11, -v6, v10, 1.0
	v_fmac_f32_e32 v10, v11, v10
	s_delay_alu instid0(VALU_DEP_1) | instskip(NEXT) | instid1(VALU_DEP_1)
	v_mul_f32_e32 v11, v18, v10
	v_fma_f32 v19, -v6, v11, v18
	s_delay_alu instid0(VALU_DEP_1) | instskip(SKIP_2) | instid1(VALU_DEP_3)
	v_fmac_f32_e32 v11, v19, v10
	v_lshrrev_b32_e32 v19, 16, v13
	v_cvt_f32_f16_e32 v13, v13
	v_fma_f32 v6, -v6, v11, v18
	v_lshrrev_b32_e32 v18, 16, v17
	v_cvt_f32_f16_e32 v17, v17
	s_delay_alu instid0(VALU_DEP_3) | instskip(SKIP_1) | instid1(VALU_DEP_4)
	v_div_fmas_f32 v6, v6, v10, v11
	v_cvt_f32_f16_e32 v10, v19
	v_cvt_f32_f16_e32 v18, v18
	s_delay_alu instid0(VALU_DEP_4) | instskip(NEXT) | instid1(VALU_DEP_4)
	v_add_f32_e32 v11, v13, v17
	v_div_fixup_f32 v5, v6, v9, v5
	v_cvt_f16_f32_e32 v6, v4
	s_delay_alu instid0(VALU_DEP_4) | instskip(NEXT) | instid1(VALU_DEP_4)
	v_add_f32_e32 v10, v10, v18
	v_cvt_f16_f32_e32 v16, v11
	v_cvt_f16_f32_e32 v18, v12
	v_minmax_f32 v5, v5, s7, 0xc3e00000
	v_mov_b32_e32 v4, 0x7f
	v_cvt_f16_f32_e32 v17, v10
	s_delay_alu instid0(VALU_DEP_3) | instskip(NEXT) | instid1(VALU_DEP_2)
	v_and_b32_e32 v13, 0x7fffffff, v5
	v_pack_b32_f16 v17, v16, v17
	v_pack_b32_f16 v16, v6, v18
	v_mov_b32_e32 v6, 0x7f
	global_store_b64 v[14:15], v[16:17], off
	v_cmpx_gt_u32_e32 0x43f00000, v13
	s_cbranch_execz .LBB42_69
; %bb.64:                               ;   in Loop: Header=BB42_63 Depth=1
	s_mov_b32 s13, exec_lo
                                        ; implicit-def: $vgpr6
	v_cmpx_lt_u32_e32 0x3c7fffff, v13
	s_xor_b32 s13, exec_lo, s13
; %bb.65:                               ;   in Loop: Header=BB42_63 Depth=1
	v_bfe_u32 v6, v5, 20, 1
	s_delay_alu instid0(VALU_DEP_1) | instskip(NEXT) | instid1(VALU_DEP_1)
	v_add3_u32 v6, v5, v6, 0x407ffff
	v_lshrrev_b32_e32 v6, 20, v6
; %bb.66:                               ;   in Loop: Header=BB42_63 Depth=1
	s_and_not1_saveexec_b32 s13, s13
; %bb.67:                               ;   in Loop: Header=BB42_63 Depth=1
	v_add_f32_e64 v6, 0x46800000, |v5|
; %bb.68:                               ;   in Loop: Header=BB42_63 Depth=1
	s_or_b32 exec_lo, exec_lo, s13
.LBB42_69:                              ;   in Loop: Header=BB42_63 Depth=1
	s_delay_alu instid0(SALU_CYCLE_1) | instskip(SKIP_3) | instid1(VALU_DEP_1)
	s_or_b32 exec_lo, exec_lo, s12
	v_lshrrev_b32_e32 v2, 16, v2
	v_fma_mixlo_f16 v12, v28, v12, 0
	s_mov_b32 s12, exec_lo
	v_mul_f16_e32 v2, v2, v12
	s_delay_alu instid0(VALU_DEP_1) | instskip(NEXT) | instid1(VALU_DEP_1)
	v_cvt_f32_f16_e32 v2, v2
	v_div_scale_f32 v12, null, v9, v9, v2
	s_delay_alu instid0(VALU_DEP_1) | instskip(SKIP_2) | instid1(VALU_DEP_1)
	v_rcp_f32_e32 v13, v12
	s_waitcnt_depctr 0xfff
	v_fma_f32 v14, -v12, v13, 1.0
	v_fmac_f32_e32 v13, v14, v13
	v_div_scale_f32 v14, vcc_lo, v2, v9, v2
	s_delay_alu instid0(VALU_DEP_1) | instskip(NEXT) | instid1(VALU_DEP_1)
	v_mul_f32_e32 v15, v14, v13
	v_fma_f32 v16, -v12, v15, v14
	s_delay_alu instid0(VALU_DEP_1) | instskip(NEXT) | instid1(VALU_DEP_1)
	v_fmac_f32_e32 v15, v16, v13
	v_fma_f32 v12, -v12, v15, v14
	s_delay_alu instid0(VALU_DEP_1) | instskip(NEXT) | instid1(VALU_DEP_1)
	v_div_fmas_f32 v12, v12, v13, v15
	v_div_fixup_f32 v2, v12, v9, v2
	s_delay_alu instid0(VALU_DEP_1) | instskip(NEXT) | instid1(VALU_DEP_1)
	v_minmax_f32 v2, v2, s7, 0xc3e00000
	v_and_b32_e32 v12, 0x7fffffff, v2
	s_delay_alu instid0(VALU_DEP_1)
	v_cmpx_gt_u32_e32 0x43f00000, v12
	s_cbranch_execz .LBB42_75
; %bb.70:                               ;   in Loop: Header=BB42_63 Depth=1
	s_mov_b32 s13, exec_lo
                                        ; implicit-def: $vgpr4
	v_cmpx_lt_u32_e32 0x3c7fffff, v12
	s_xor_b32 s13, exec_lo, s13
; %bb.71:                               ;   in Loop: Header=BB42_63 Depth=1
	v_bfe_u32 v4, v2, 20, 1
	s_delay_alu instid0(VALU_DEP_1) | instskip(NEXT) | instid1(VALU_DEP_1)
	v_add3_u32 v4, v2, v4, 0x407ffff
	v_lshrrev_b32_e32 v4, 20, v4
; %bb.72:                               ;   in Loop: Header=BB42_63 Depth=1
	s_and_not1_saveexec_b32 s13, s13
; %bb.73:                               ;   in Loop: Header=BB42_63 Depth=1
	v_add_f32_e64 v4, 0x46800000, |v2|
; %bb.74:                               ;   in Loop: Header=BB42_63 Depth=1
	s_or_b32 exec_lo, exec_lo, s13
.LBB42_75:                              ;   in Loop: Header=BB42_63 Depth=1
	s_delay_alu instid0(SALU_CYCLE_1) | instskip(SKIP_2) | instid1(VALU_DEP_1)
	s_or_b32 exec_lo, exec_lo, s12
	v_fma_mixlo_f16 v11, v28, v11, 0
	s_mov_b32 s12, exec_lo
	v_mul_f16_e32 v11, v3, v11
	s_delay_alu instid0(VALU_DEP_1) | instskip(NEXT) | instid1(VALU_DEP_1)
	v_cvt_f32_f16_e32 v11, v11
	v_div_scale_f32 v12, null, v9, v9, v11
	v_div_scale_f32 v15, vcc_lo, v11, v9, v11
	s_delay_alu instid0(VALU_DEP_2) | instskip(SKIP_2) | instid1(VALU_DEP_1)
	v_rcp_f32_e32 v13, v12
	s_waitcnt_depctr 0xfff
	v_fma_f32 v14, -v12, v13, 1.0
	v_fmac_f32_e32 v13, v14, v13
	s_delay_alu instid0(VALU_DEP_1) | instskip(NEXT) | instid1(VALU_DEP_1)
	v_mul_f32_e32 v14, v15, v13
	v_fma_f32 v16, -v12, v14, v15
	s_delay_alu instid0(VALU_DEP_1) | instskip(NEXT) | instid1(VALU_DEP_1)
	v_fmac_f32_e32 v14, v16, v13
	v_fma_f32 v12, -v12, v14, v15
	s_delay_alu instid0(VALU_DEP_1) | instskip(NEXT) | instid1(VALU_DEP_1)
	v_div_fmas_f32 v12, v12, v13, v14
	v_div_fixup_f32 v11, v12, v9, v11
	v_mov_b32_e32 v12, 0x7f
	s_delay_alu instid0(VALU_DEP_2) | instskip(SKIP_1) | instid1(VALU_DEP_2)
	v_minmax_f32 v13, v11, s7, 0xc3e00000
	v_mov_b32_e32 v11, 0x7f
	v_and_b32_e32 v14, 0x7fffffff, v13
	s_delay_alu instid0(VALU_DEP_1)
	v_cmpx_gt_u32_e32 0x43f00000, v14
	s_cbranch_execz .LBB42_81
; %bb.76:                               ;   in Loop: Header=BB42_63 Depth=1
	s_mov_b32 s13, exec_lo
                                        ; implicit-def: $vgpr12
	v_cmpx_lt_u32_e32 0x3c7fffff, v14
	s_xor_b32 s13, exec_lo, s13
; %bb.77:                               ;   in Loop: Header=BB42_63 Depth=1
	v_bfe_u32 v12, v13, 20, 1
	s_delay_alu instid0(VALU_DEP_1) | instskip(NEXT) | instid1(VALU_DEP_1)
	v_add3_u32 v12, v13, v12, 0x407ffff
	v_lshrrev_b32_e32 v12, 20, v12
; %bb.78:                               ;   in Loop: Header=BB42_63 Depth=1
	s_and_not1_saveexec_b32 s13, s13
; %bb.79:                               ;   in Loop: Header=BB42_63 Depth=1
	v_add_f32_e64 v12, 0x46800000, |v13|
; %bb.80:                               ;   in Loop: Header=BB42_63 Depth=1
	s_or_b32 exec_lo, exec_lo, s13
.LBB42_81:                              ;   in Loop: Header=BB42_63 Depth=1
	s_delay_alu instid0(SALU_CYCLE_1) | instskip(SKIP_3) | instid1(VALU_DEP_1)
	s_or_b32 exec_lo, exec_lo, s12
	v_lshrrev_b32_e32 v3, 16, v3
	v_fma_mixlo_f16 v10, v28, v10, 0
	s_mov_b32 s12, exec_lo
	v_mul_f16_e32 v3, v3, v10
	s_delay_alu instid0(VALU_DEP_1) | instskip(NEXT) | instid1(VALU_DEP_1)
	v_cvt_f32_f16_e32 v3, v3
	v_div_scale_f32 v10, null, v9, v9, v3
	s_delay_alu instid0(VALU_DEP_1) | instskip(SKIP_2) | instid1(VALU_DEP_1)
	v_rcp_f32_e32 v14, v10
	s_waitcnt_depctr 0xfff
	v_fma_f32 v15, -v10, v14, 1.0
	v_fmac_f32_e32 v14, v15, v14
	v_div_scale_f32 v15, vcc_lo, v3, v9, v3
	s_delay_alu instid0(VALU_DEP_1) | instskip(NEXT) | instid1(VALU_DEP_1)
	v_mul_f32_e32 v16, v15, v14
	v_fma_f32 v17, -v10, v16, v15
	s_delay_alu instid0(VALU_DEP_1) | instskip(NEXT) | instid1(VALU_DEP_1)
	v_fmac_f32_e32 v16, v17, v14
	v_fma_f32 v10, -v10, v16, v15
	s_delay_alu instid0(VALU_DEP_1) | instskip(NEXT) | instid1(VALU_DEP_1)
	v_div_fmas_f32 v10, v10, v14, v16
	v_div_fixup_f32 v3, v10, v9, v3
	s_delay_alu instid0(VALU_DEP_1) | instskip(NEXT) | instid1(VALU_DEP_1)
	v_minmax_f32 v3, v3, s7, 0xc3e00000
	v_and_b32_e32 v9, 0x7fffffff, v3
	s_delay_alu instid0(VALU_DEP_1)
	v_cmpx_gt_u32_e32 0x43f00000, v9
	s_cbranch_execz .LBB42_87
; %bb.82:                               ;   in Loop: Header=BB42_63 Depth=1
	s_mov_b32 s13, exec_lo
                                        ; implicit-def: $vgpr11
	v_cmpx_lt_u32_e32 0x3c7fffff, v9
	s_xor_b32 s13, exec_lo, s13
; %bb.83:                               ;   in Loop: Header=BB42_63 Depth=1
	v_bfe_u32 v9, v3, 20, 1
	s_delay_alu instid0(VALU_DEP_1) | instskip(NEXT) | instid1(VALU_DEP_1)
	v_add3_u32 v9, v3, v9, 0x407ffff
	v_lshrrev_b32_e32 v11, 20, v9
; %bb.84:                               ;   in Loop: Header=BB42_63 Depth=1
	s_and_not1_saveexec_b32 s13, s13
; %bb.85:                               ;   in Loop: Header=BB42_63 Depth=1
	v_add_f32_e64 v11, 0x46800000, |v3|
; %bb.86:                               ;   in Loop: Header=BB42_63 Depth=1
	s_or_b32 exec_lo, exec_lo, s13
.LBB42_87:                              ;   in Loop: Header=BB42_63 Depth=1
	s_delay_alu instid0(SALU_CYCLE_1)
	s_or_b32 exec_lo, exec_lo, s12
	v_lshrrev_b32_e32 v9, 24, v13
	v_lshrrev_b32_e32 v2, 24, v2
	;; [unrolled: 1-line block ×3, first 2 shown]
	v_lshlrev_b32_e32 v10, 24, v11
	v_and_b32_e32 v11, 0x80000000, v3
	v_and_b32_e32 v9, 0x80, v9
	;; [unrolled: 1-line block ×4, first 2 shown]
	s_mov_b32 s13, -1
	s_mov_b32 s12, exec_lo
	v_and_or_b32 v9, 0xff, v12, v9
	v_and_or_b32 v2, 0xff, v4, v2
	v_lshlrev_b64 v[3:4], 2, v[0:1]
	v_and_or_b32 v5, 0x80, v5, v6
	s_delay_alu instid0(VALU_DEP_4) | instskip(NEXT) | instid1(VALU_DEP_4)
	v_lshlrev_b32_e32 v9, 16, v9
	v_lshlrev_b32_e32 v6, 8, v2
	v_add_nc_u32_e32 v2, s33, v0
	v_add_co_u32 v3, vcc_lo, s0, v3
	s_delay_alu instid0(VALU_DEP_4) | instskip(SKIP_1) | instid1(VALU_DEP_2)
	v_or3_b32 v9, v11, v10, v9
	v_add_co_ci_u32_e32 v4, vcc_lo, s1, v4, vcc_lo
	v_or3_b32 v5, v9, v6, v5
	global_store_b32 v[3:4], v5, off
	v_cmpx_gt_u32_e64 s8, v2
	s_cbranch_execz .LBB42_62
; %bb.88:                               ;   in Loop: Header=BB42_63 Depth=1
	v_bfe_u32 v15, v2, 5, 25
	s_mov_b32 s13, exec_lo
	s_delay_alu instid0(VALU_DEP_1) | instskip(NEXT) | instid1(VALU_DEP_1)
	v_mad_u64_u32 v[9:10], null, v7, v15, 0
	v_dual_mov_b32 v3, v1 :: v_dual_mov_b32 v6, v10
	s_delay_alu instid0(VALU_DEP_1) | instskip(NEXT) | instid1(VALU_DEP_2)
	v_lshlrev_b64 v[4:5], 3, v[2:3]
	v_mad_u64_u32 v[13:14], null, v8, v15, v[6:7]
	s_delay_alu instid0(VALU_DEP_2) | instskip(NEXT) | instid1(VALU_DEP_3)
	v_add_co_u32 v11, vcc_lo, s28, v4
	v_add_co_ci_u32_e32 v12, vcc_lo, s29, v5, vcc_lo
	v_add_co_u32 v16, vcc_lo, s30, v4
	v_add_co_ci_u32_e32 v17, vcc_lo, s31, v5, vcc_lo
	global_load_b64 v[14:15], v[11:12], off
	global_load_b64 v[18:19], v[16:17], off
	v_mov_b32_e32 v10, v13
	v_add_co_u32 v4, vcc_lo, s10, v4
	v_add_co_ci_u32_e32 v5, vcc_lo, s11, v5, vcc_lo
	s_delay_alu instid0(VALU_DEP_3)
	v_lshlrev_b64 v[9:10], 2, v[9:10]
	global_load_b64 v[4:5], v[4:5], off
	v_add_co_u32 v9, vcc_lo, s4, v9
	v_add_co_ci_u32_e32 v10, vcc_lo, s5, v10, vcc_lo
	global_load_b32 v11, v[9:10], off
	s_waitcnt vmcnt(3)
	v_cvt_f32_f16_e32 v6, v14
	s_waitcnt vmcnt(2)
	v_cvt_f32_f16_e32 v9, v18
	v_lshrrev_b32_e32 v14, 16, v14
	v_lshrrev_b32_e32 v18, 16, v18
	s_delay_alu instid0(VALU_DEP_3) | instskip(NEXT) | instid1(VALU_DEP_3)
	v_add_f32_e32 v6, v6, v9
	v_cvt_f32_f16_e32 v14, v14
	s_delay_alu instid0(VALU_DEP_3) | instskip(NEXT) | instid1(VALU_DEP_3)
	v_cvt_f32_f16_e32 v18, v18
	v_fma_mixlo_f16 v9, v28, v6, 0
	s_delay_alu instid0(VALU_DEP_2) | instskip(SKIP_1) | instid1(VALU_DEP_2)
	v_add_f32_e32 v14, v14, v18
	s_waitcnt vmcnt(1)
	v_mul_f16_e32 v9, v4, v9
	s_delay_alu instid0(VALU_DEP_1) | instskip(SKIP_1) | instid1(VALU_DEP_1)
	v_cvt_f32_f16_e32 v9, v9
	s_waitcnt vmcnt(0)
	v_div_scale_f32 v10, null, v11, v11, v9
	v_div_scale_f32 v20, vcc_lo, v9, v11, v9
	s_delay_alu instid0(VALU_DEP_2) | instskip(SKIP_2) | instid1(VALU_DEP_1)
	v_rcp_f32_e32 v12, v10
	s_waitcnt_depctr 0xfff
	v_fma_f32 v13, -v10, v12, 1.0
	v_fmac_f32_e32 v12, v13, v12
	s_delay_alu instid0(VALU_DEP_1) | instskip(NEXT) | instid1(VALU_DEP_1)
	v_mul_f32_e32 v13, v20, v12
	v_fma_f32 v21, -v10, v13, v20
	s_delay_alu instid0(VALU_DEP_1) | instskip(SKIP_2) | instid1(VALU_DEP_3)
	v_fmac_f32_e32 v13, v21, v12
	v_lshrrev_b32_e32 v21, 16, v15
	v_cvt_f32_f16_e32 v15, v15
	v_fma_f32 v10, -v10, v13, v20
	v_lshrrev_b32_e32 v20, 16, v19
	v_cvt_f32_f16_e32 v19, v19
	s_delay_alu instid0(VALU_DEP_3) | instskip(SKIP_1) | instid1(VALU_DEP_3)
	v_div_fmas_f32 v10, v10, v12, v13
	v_cvt_f32_f16_e32 v12, v21
	v_add_f32_e32 v13, v15, v19
	v_cvt_f32_f16_e32 v20, v20
	s_delay_alu instid0(VALU_DEP_4) | instskip(SKIP_1) | instid1(VALU_DEP_4)
	v_div_fixup_f32 v9, v10, v11, v9
	v_cvt_f16_f32_e32 v10, v6
	v_cvt_f16_f32_e32 v18, v13
	v_mov_b32_e32 v6, 0x7f
	s_delay_alu instid0(VALU_DEP_4) | instskip(SKIP_2) | instid1(VALU_DEP_3)
	v_minmax_f32 v9, v9, s7, 0xc3e00000
	v_add_f32_e32 v12, v12, v20
	v_cvt_f16_f32_e32 v20, v14
	v_and_b32_e32 v15, 0x7fffffff, v9
	s_delay_alu instid0(VALU_DEP_3) | instskip(NEXT) | instid1(VALU_DEP_1)
	v_cvt_f16_f32_e32 v19, v12
	v_pack_b32_f16 v19, v18, v19
	s_delay_alu instid0(VALU_DEP_4)
	v_pack_b32_f16 v18, v10, v20
	v_mov_b32_e32 v10, 0x7f
	global_store_b64 v[16:17], v[18:19], off
	v_cmpx_gt_u32_e32 0x43f00000, v15
	s_cbranch_execz .LBB42_94
; %bb.89:                               ;   in Loop: Header=BB42_63 Depth=1
	s_mov_b32 s14, exec_lo
                                        ; implicit-def: $vgpr10
	v_cmpx_lt_u32_e32 0x3c7fffff, v15
	s_xor_b32 s14, exec_lo, s14
; %bb.90:                               ;   in Loop: Header=BB42_63 Depth=1
	v_bfe_u32 v10, v9, 20, 1
	s_delay_alu instid0(VALU_DEP_1) | instskip(NEXT) | instid1(VALU_DEP_1)
	v_add3_u32 v10, v9, v10, 0x407ffff
	v_lshrrev_b32_e32 v10, 20, v10
; %bb.91:                               ;   in Loop: Header=BB42_63 Depth=1
	s_and_not1_saveexec_b32 s14, s14
; %bb.92:                               ;   in Loop: Header=BB42_63 Depth=1
	v_add_f32_e64 v10, 0x46800000, |v9|
; %bb.93:                               ;   in Loop: Header=BB42_63 Depth=1
	s_or_b32 exec_lo, exec_lo, s14
.LBB42_94:                              ;   in Loop: Header=BB42_63 Depth=1
	s_delay_alu instid0(SALU_CYCLE_1) | instskip(SKIP_3) | instid1(VALU_DEP_1)
	s_or_b32 exec_lo, exec_lo, s13
	v_lshrrev_b32_e32 v4, 16, v4
	v_fma_mixlo_f16 v14, v28, v14, 0
	s_mov_b32 s13, exec_lo
	v_mul_f16_e32 v4, v4, v14
	s_delay_alu instid0(VALU_DEP_1) | instskip(NEXT) | instid1(VALU_DEP_1)
	v_cvt_f32_f16_e32 v4, v4
	v_div_scale_f32 v14, null, v11, v11, v4
	s_delay_alu instid0(VALU_DEP_1) | instskip(SKIP_2) | instid1(VALU_DEP_1)
	v_rcp_f32_e32 v15, v14
	s_waitcnt_depctr 0xfff
	v_fma_f32 v16, -v14, v15, 1.0
	v_fmac_f32_e32 v15, v16, v15
	v_div_scale_f32 v16, vcc_lo, v4, v11, v4
	s_delay_alu instid0(VALU_DEP_1) | instskip(NEXT) | instid1(VALU_DEP_1)
	v_mul_f32_e32 v17, v16, v15
	v_fma_f32 v18, -v14, v17, v16
	s_delay_alu instid0(VALU_DEP_1) | instskip(NEXT) | instid1(VALU_DEP_1)
	v_fmac_f32_e32 v17, v18, v15
	v_fma_f32 v14, -v14, v17, v16
	s_delay_alu instid0(VALU_DEP_1) | instskip(NEXT) | instid1(VALU_DEP_1)
	v_div_fmas_f32 v14, v14, v15, v17
	v_div_fixup_f32 v4, v14, v11, v4
	s_delay_alu instid0(VALU_DEP_1) | instskip(NEXT) | instid1(VALU_DEP_1)
	v_minmax_f32 v4, v4, s7, 0xc3e00000
	v_and_b32_e32 v14, 0x7fffffff, v4
	s_delay_alu instid0(VALU_DEP_1)
	v_cmpx_gt_u32_e32 0x43f00000, v14
	s_cbranch_execz .LBB42_100
; %bb.95:                               ;   in Loop: Header=BB42_63 Depth=1
	s_mov_b32 s14, exec_lo
                                        ; implicit-def: $vgpr6
	v_cmpx_lt_u32_e32 0x3c7fffff, v14
	s_xor_b32 s14, exec_lo, s14
; %bb.96:                               ;   in Loop: Header=BB42_63 Depth=1
	v_bfe_u32 v6, v4, 20, 1
	s_delay_alu instid0(VALU_DEP_1) | instskip(NEXT) | instid1(VALU_DEP_1)
	v_add3_u32 v6, v4, v6, 0x407ffff
	v_lshrrev_b32_e32 v6, 20, v6
; %bb.97:                               ;   in Loop: Header=BB42_63 Depth=1
	s_and_not1_saveexec_b32 s14, s14
; %bb.98:                               ;   in Loop: Header=BB42_63 Depth=1
	v_add_f32_e64 v6, 0x46800000, |v4|
; %bb.99:                               ;   in Loop: Header=BB42_63 Depth=1
	s_or_b32 exec_lo, exec_lo, s14
.LBB42_100:                             ;   in Loop: Header=BB42_63 Depth=1
	s_delay_alu instid0(SALU_CYCLE_1) | instskip(SKIP_2) | instid1(VALU_DEP_1)
	s_or_b32 exec_lo, exec_lo, s13
	v_fma_mixlo_f16 v13, v28, v13, 0
	s_mov_b32 s13, exec_lo
	v_mul_f16_e32 v13, v5, v13
	s_delay_alu instid0(VALU_DEP_1) | instskip(NEXT) | instid1(VALU_DEP_1)
	v_cvt_f32_f16_e32 v13, v13
	v_div_scale_f32 v14, null, v11, v11, v13
	v_div_scale_f32 v17, vcc_lo, v13, v11, v13
	s_delay_alu instid0(VALU_DEP_2) | instskip(SKIP_2) | instid1(VALU_DEP_1)
	v_rcp_f32_e32 v15, v14
	s_waitcnt_depctr 0xfff
	v_fma_f32 v16, -v14, v15, 1.0
	v_fmac_f32_e32 v15, v16, v15
	s_delay_alu instid0(VALU_DEP_1) | instskip(NEXT) | instid1(VALU_DEP_1)
	v_mul_f32_e32 v16, v17, v15
	v_fma_f32 v18, -v14, v16, v17
	s_delay_alu instid0(VALU_DEP_1) | instskip(NEXT) | instid1(VALU_DEP_1)
	v_fmac_f32_e32 v16, v18, v15
	v_fma_f32 v14, -v14, v16, v17
	s_delay_alu instid0(VALU_DEP_1) | instskip(NEXT) | instid1(VALU_DEP_1)
	v_div_fmas_f32 v14, v14, v15, v16
	v_div_fixup_f32 v13, v14, v11, v13
	v_mov_b32_e32 v14, 0x7f
	s_delay_alu instid0(VALU_DEP_2) | instskip(SKIP_1) | instid1(VALU_DEP_2)
	v_minmax_f32 v15, v13, s7, 0xc3e00000
	v_mov_b32_e32 v13, 0x7f
	v_and_b32_e32 v16, 0x7fffffff, v15
	s_delay_alu instid0(VALU_DEP_1)
	v_cmpx_gt_u32_e32 0x43f00000, v16
	s_cbranch_execz .LBB42_106
; %bb.101:                              ;   in Loop: Header=BB42_63 Depth=1
	s_mov_b32 s14, exec_lo
                                        ; implicit-def: $vgpr14
	v_cmpx_lt_u32_e32 0x3c7fffff, v16
	s_xor_b32 s14, exec_lo, s14
; %bb.102:                              ;   in Loop: Header=BB42_63 Depth=1
	v_bfe_u32 v14, v15, 20, 1
	s_delay_alu instid0(VALU_DEP_1) | instskip(NEXT) | instid1(VALU_DEP_1)
	v_add3_u32 v14, v15, v14, 0x407ffff
	v_lshrrev_b32_e32 v14, 20, v14
; %bb.103:                              ;   in Loop: Header=BB42_63 Depth=1
	s_and_not1_saveexec_b32 s14, s14
; %bb.104:                              ;   in Loop: Header=BB42_63 Depth=1
	v_add_f32_e64 v14, 0x46800000, |v15|
; %bb.105:                              ;   in Loop: Header=BB42_63 Depth=1
	s_or_b32 exec_lo, exec_lo, s14
.LBB42_106:                             ;   in Loop: Header=BB42_63 Depth=1
	s_delay_alu instid0(SALU_CYCLE_1) | instskip(SKIP_3) | instid1(VALU_DEP_1)
	s_or_b32 exec_lo, exec_lo, s13
	v_lshrrev_b32_e32 v5, 16, v5
	v_fma_mixlo_f16 v12, v28, v12, 0
	s_mov_b32 s13, exec_lo
	v_mul_f16_e32 v5, v5, v12
	s_delay_alu instid0(VALU_DEP_1) | instskip(NEXT) | instid1(VALU_DEP_1)
	v_cvt_f32_f16_e32 v5, v5
	v_div_scale_f32 v12, null, v11, v11, v5
	s_delay_alu instid0(VALU_DEP_1) | instskip(SKIP_2) | instid1(VALU_DEP_1)
	v_rcp_f32_e32 v16, v12
	s_waitcnt_depctr 0xfff
	v_fma_f32 v17, -v12, v16, 1.0
	v_fmac_f32_e32 v16, v17, v16
	v_div_scale_f32 v17, vcc_lo, v5, v11, v5
	s_delay_alu instid0(VALU_DEP_1) | instskip(NEXT) | instid1(VALU_DEP_1)
	v_mul_f32_e32 v18, v17, v16
	v_fma_f32 v19, -v12, v18, v17
	s_delay_alu instid0(VALU_DEP_1) | instskip(NEXT) | instid1(VALU_DEP_1)
	v_fmac_f32_e32 v18, v19, v16
	v_fma_f32 v12, -v12, v18, v17
	s_delay_alu instid0(VALU_DEP_1) | instskip(NEXT) | instid1(VALU_DEP_1)
	v_div_fmas_f32 v12, v12, v16, v18
	v_div_fixup_f32 v5, v12, v11, v5
	s_delay_alu instid0(VALU_DEP_1) | instskip(NEXT) | instid1(VALU_DEP_1)
	v_minmax_f32 v5, v5, s7, 0xc3e00000
	v_and_b32_e32 v11, 0x7fffffff, v5
	s_delay_alu instid0(VALU_DEP_1)
	v_cmpx_gt_u32_e32 0x43f00000, v11
	s_cbranch_execz .LBB42_112
; %bb.107:                              ;   in Loop: Header=BB42_63 Depth=1
	s_mov_b32 s14, exec_lo
                                        ; implicit-def: $vgpr13
	v_cmpx_lt_u32_e32 0x3c7fffff, v11
	s_xor_b32 s14, exec_lo, s14
; %bb.108:                              ;   in Loop: Header=BB42_63 Depth=1
	v_bfe_u32 v11, v5, 20, 1
	s_delay_alu instid0(VALU_DEP_1) | instskip(NEXT) | instid1(VALU_DEP_1)
	v_add3_u32 v11, v5, v11, 0x407ffff
	v_lshrrev_b32_e32 v13, 20, v11
; %bb.109:                              ;   in Loop: Header=BB42_63 Depth=1
	s_and_not1_saveexec_b32 s14, s14
; %bb.110:                              ;   in Loop: Header=BB42_63 Depth=1
	v_add_f32_e64 v13, 0x46800000, |v5|
; %bb.111:                              ;   in Loop: Header=BB42_63 Depth=1
	s_or_b32 exec_lo, exec_lo, s14
.LBB42_112:                             ;   in Loop: Header=BB42_63 Depth=1
	s_delay_alu instid0(SALU_CYCLE_1)
	s_or_b32 exec_lo, exec_lo, s13
	v_lshrrev_b32_e32 v11, 24, v15
	v_lshrrev_b32_e32 v4, 24, v4
	;; [unrolled: 1-line block ×3, first 2 shown]
	v_lshlrev_b32_e32 v12, 24, v13
	v_and_b32_e32 v13, 0x80000000, v5
	v_and_b32_e32 v11, 0x80, v11
	;; [unrolled: 1-line block ×4, first 2 shown]
	s_mov_b32 s14, -1
	s_mov_b32 s13, exec_lo
	v_and_or_b32 v11, 0xff, v14, v11
	v_and_or_b32 v6, 0xff, v6, v4
	v_lshlrev_b64 v[4:5], 2, v[2:3]
	v_and_or_b32 v9, 0x80, v9, v10
	v_add_nc_u32_e32 v3, s3, v0
	v_lshlrev_b32_e32 v11, 16, v11
	v_lshlrev_b32_e32 v6, 8, v6
	v_add_co_u32 v4, vcc_lo, s0, v4
	s_delay_alu instid0(VALU_DEP_3) | instskip(SKIP_1) | instid1(VALU_DEP_2)
	v_or3_b32 v10, v13, v12, v11
	v_add_co_ci_u32_e32 v5, vcc_lo, s1, v5, vcc_lo
	v_or3_b32 v6, v10, v6, v9
	global_store_b32 v[4:5], v6, off
	v_cmpx_gt_u32_e64 s8, v3
	s_cbranch_execz .LBB42_61
; %bb.113:                              ;   in Loop: Header=BB42_63 Depth=1
	v_mov_b32_e32 v4, v1
	v_bfe_u32 v15, v3, 5, 25
	s_mov_b32 s14, exec_lo
	s_delay_alu instid0(VALU_DEP_2) | instskip(NEXT) | instid1(VALU_DEP_2)
	v_lshlrev_b64 v[5:6], 3, v[3:4]
	v_mad_u64_u32 v[9:10], null, v7, v15, 0
	s_delay_alu instid0(VALU_DEP_2) | instskip(NEXT) | instid1(VALU_DEP_3)
	v_add_co_u32 v11, vcc_lo, s28, v5
	v_add_co_ci_u32_e32 v12, vcc_lo, s29, v6, vcc_lo
	v_add_co_u32 v17, vcc_lo, s30, v5
	v_add_co_ci_u32_e32 v18, vcc_lo, s31, v6, vcc_lo
	s_delay_alu instid0(VALU_DEP_4)
	v_mad_u64_u32 v[13:14], null, v8, v15, v[10:11]
	global_load_b64 v[14:15], v[11:12], off
	global_load_b64 v[19:20], v[17:18], off
	v_add_co_u32 v5, vcc_lo, s10, v5
	v_add_co_ci_u32_e32 v6, vcc_lo, s11, v6, vcc_lo
	v_mov_b32_e32 v10, v13
	global_load_b64 v[5:6], v[5:6], off
	v_lshlrev_b64 v[9:10], 2, v[9:10]
	s_delay_alu instid0(VALU_DEP_1) | instskip(NEXT) | instid1(VALU_DEP_2)
	v_add_co_u32 v9, vcc_lo, s4, v9
	v_add_co_ci_u32_e32 v10, vcc_lo, s5, v10, vcc_lo
	global_load_b32 v12, v[9:10], off
	s_waitcnt vmcnt(3)
	v_cvt_f32_f16_e32 v9, v14
	s_waitcnt vmcnt(2)
	v_cvt_f32_f16_e32 v10, v19
	v_lshrrev_b32_e32 v14, 16, v14
	v_lshrrev_b32_e32 v19, 16, v19
	s_delay_alu instid0(VALU_DEP_3) | instskip(NEXT) | instid1(VALU_DEP_2)
	v_add_f32_e32 v9, v9, v10
	v_cvt_f32_f16_e32 v19, v19
	s_delay_alu instid0(VALU_DEP_2) | instskip(SKIP_1) | instid1(VALU_DEP_1)
	v_fma_mixlo_f16 v10, v28, v9, 0
	s_waitcnt vmcnt(1)
	v_mul_f16_e32 v10, v5, v10
	s_delay_alu instid0(VALU_DEP_1) | instskip(SKIP_1) | instid1(VALU_DEP_1)
	v_cvt_f32_f16_e32 v10, v10
	s_waitcnt vmcnt(0)
	v_div_scale_f32 v11, null, v12, v12, v10
	v_div_scale_f32 v21, vcc_lo, v10, v12, v10
	s_delay_alu instid0(VALU_DEP_2) | instskip(SKIP_2) | instid1(VALU_DEP_1)
	v_rcp_f32_e32 v13, v11
	s_waitcnt_depctr 0xfff
	v_fma_f32 v16, -v11, v13, 1.0
	v_fmac_f32_e32 v13, v16, v13
	s_delay_alu instid0(VALU_DEP_1) | instskip(NEXT) | instid1(VALU_DEP_1)
	v_mul_f32_e32 v16, v21, v13
	v_fma_f32 v22, -v11, v16, v21
	s_delay_alu instid0(VALU_DEP_1) | instskip(SKIP_2) | instid1(VALU_DEP_3)
	v_fmac_f32_e32 v16, v22, v13
	v_lshrrev_b32_e32 v22, 16, v15
	v_cvt_f32_f16_e32 v15, v15
	v_fma_f32 v11, -v11, v16, v21
	v_lshrrev_b32_e32 v21, 16, v20
	v_cvt_f32_f16_e32 v20, v20
	s_delay_alu instid0(VALU_DEP_3)
	v_div_fmas_f32 v11, v11, v13, v16
	v_cvt_f32_f16_e32 v16, v14
	v_cvt_f32_f16_e32 v13, v22
	;; [unrolled: 1-line block ×3, first 2 shown]
	v_add_f32_e32 v14, v15, v20
	v_div_fixup_f32 v10, v11, v12, v10
	v_add_f32_e32 v15, v16, v19
	v_cvt_f16_f32_e32 v11, v9
	v_add_f32_e32 v13, v13, v21
	v_cvt_f16_f32_e32 v19, v14
	v_minmax_f32 v10, v10, s7, 0xc3e00000
	v_cvt_f16_f32_e32 v21, v15
	v_mov_b32_e32 v9, 0x7f
	v_cvt_f16_f32_e32 v20, v13
	s_delay_alu instid0(VALU_DEP_4) | instskip(NEXT) | instid1(VALU_DEP_2)
	v_and_b32_e32 v16, 0x7fffffff, v10
	v_pack_b32_f16 v20, v19, v20
	v_pack_b32_f16 v19, v11, v21
	v_mov_b32_e32 v11, 0x7f
	global_store_b64 v[17:18], v[19:20], off
	v_cmpx_gt_u32_e32 0x43f00000, v16
	s_cbranch_execz .LBB42_119
; %bb.114:                              ;   in Loop: Header=BB42_63 Depth=1
	s_mov_b32 s15, exec_lo
                                        ; implicit-def: $vgpr11
	v_cmpx_lt_u32_e32 0x3c7fffff, v16
	s_xor_b32 s15, exec_lo, s15
; %bb.115:                              ;   in Loop: Header=BB42_63 Depth=1
	v_bfe_u32 v11, v10, 20, 1
	s_delay_alu instid0(VALU_DEP_1) | instskip(NEXT) | instid1(VALU_DEP_1)
	v_add3_u32 v11, v10, v11, 0x407ffff
	v_lshrrev_b32_e32 v11, 20, v11
; %bb.116:                              ;   in Loop: Header=BB42_63 Depth=1
	s_and_not1_saveexec_b32 s15, s15
; %bb.117:                              ;   in Loop: Header=BB42_63 Depth=1
	v_add_f32_e64 v11, 0x46800000, |v10|
; %bb.118:                              ;   in Loop: Header=BB42_63 Depth=1
	s_or_b32 exec_lo, exec_lo, s15
.LBB42_119:                             ;   in Loop: Header=BB42_63 Depth=1
	s_delay_alu instid0(SALU_CYCLE_1) | instskip(SKIP_3) | instid1(VALU_DEP_1)
	s_or_b32 exec_lo, exec_lo, s14
	v_lshrrev_b32_e32 v5, 16, v5
	v_fma_mixlo_f16 v15, v28, v15, 0
	s_mov_b32 s14, exec_lo
	v_mul_f16_e32 v5, v5, v15
	s_delay_alu instid0(VALU_DEP_1) | instskip(NEXT) | instid1(VALU_DEP_1)
	v_cvt_f32_f16_e32 v5, v5
	v_div_scale_f32 v15, null, v12, v12, v5
	s_delay_alu instid0(VALU_DEP_1) | instskip(SKIP_2) | instid1(VALU_DEP_1)
	v_rcp_f32_e32 v16, v15
	s_waitcnt_depctr 0xfff
	v_fma_f32 v17, -v15, v16, 1.0
	v_fmac_f32_e32 v16, v17, v16
	v_div_scale_f32 v17, vcc_lo, v5, v12, v5
	s_delay_alu instid0(VALU_DEP_1) | instskip(NEXT) | instid1(VALU_DEP_1)
	v_mul_f32_e32 v18, v17, v16
	v_fma_f32 v19, -v15, v18, v17
	s_delay_alu instid0(VALU_DEP_1) | instskip(NEXT) | instid1(VALU_DEP_1)
	v_fmac_f32_e32 v18, v19, v16
	v_fma_f32 v15, -v15, v18, v17
	s_delay_alu instid0(VALU_DEP_1) | instskip(NEXT) | instid1(VALU_DEP_1)
	v_div_fmas_f32 v15, v15, v16, v18
	v_div_fixup_f32 v5, v15, v12, v5
	s_delay_alu instid0(VALU_DEP_1) | instskip(NEXT) | instid1(VALU_DEP_1)
	v_minmax_f32 v5, v5, s7, 0xc3e00000
	v_and_b32_e32 v15, 0x7fffffff, v5
	s_delay_alu instid0(VALU_DEP_1)
	v_cmpx_gt_u32_e32 0x43f00000, v15
	s_cbranch_execz .LBB42_125
; %bb.120:                              ;   in Loop: Header=BB42_63 Depth=1
	s_mov_b32 s15, exec_lo
                                        ; implicit-def: $vgpr9
	v_cmpx_lt_u32_e32 0x3c7fffff, v15
	s_xor_b32 s15, exec_lo, s15
; %bb.121:                              ;   in Loop: Header=BB42_63 Depth=1
	v_bfe_u32 v9, v5, 20, 1
	s_delay_alu instid0(VALU_DEP_1) | instskip(NEXT) | instid1(VALU_DEP_1)
	v_add3_u32 v9, v5, v9, 0x407ffff
	v_lshrrev_b32_e32 v9, 20, v9
; %bb.122:                              ;   in Loop: Header=BB42_63 Depth=1
	s_and_not1_saveexec_b32 s15, s15
; %bb.123:                              ;   in Loop: Header=BB42_63 Depth=1
	v_add_f32_e64 v9, 0x46800000, |v5|
; %bb.124:                              ;   in Loop: Header=BB42_63 Depth=1
	s_or_b32 exec_lo, exec_lo, s15
.LBB42_125:                             ;   in Loop: Header=BB42_63 Depth=1
	s_delay_alu instid0(SALU_CYCLE_1) | instskip(SKIP_2) | instid1(VALU_DEP_1)
	s_or_b32 exec_lo, exec_lo, s14
	v_fma_mixlo_f16 v14, v28, v14, 0
	s_mov_b32 s14, exec_lo
	v_mul_f16_e32 v14, v6, v14
	s_delay_alu instid0(VALU_DEP_1) | instskip(NEXT) | instid1(VALU_DEP_1)
	v_cvt_f32_f16_e32 v14, v14
	v_div_scale_f32 v15, null, v12, v12, v14
	v_div_scale_f32 v18, vcc_lo, v14, v12, v14
	s_delay_alu instid0(VALU_DEP_2) | instskip(SKIP_2) | instid1(VALU_DEP_1)
	v_rcp_f32_e32 v16, v15
	s_waitcnt_depctr 0xfff
	v_fma_f32 v17, -v15, v16, 1.0
	v_fmac_f32_e32 v16, v17, v16
	s_delay_alu instid0(VALU_DEP_1) | instskip(NEXT) | instid1(VALU_DEP_1)
	v_mul_f32_e32 v17, v18, v16
	v_fma_f32 v19, -v15, v17, v18
	s_delay_alu instid0(VALU_DEP_1) | instskip(NEXT) | instid1(VALU_DEP_1)
	v_fmac_f32_e32 v17, v19, v16
	v_fma_f32 v15, -v15, v17, v18
	s_delay_alu instid0(VALU_DEP_1) | instskip(NEXT) | instid1(VALU_DEP_1)
	v_div_fmas_f32 v15, v15, v16, v17
	v_div_fixup_f32 v14, v15, v12, v14
	v_mov_b32_e32 v15, 0x7f
	s_delay_alu instid0(VALU_DEP_2) | instskip(SKIP_1) | instid1(VALU_DEP_2)
	v_minmax_f32 v16, v14, s7, 0xc3e00000
	v_mov_b32_e32 v14, 0x7f
	v_and_b32_e32 v17, 0x7fffffff, v16
	s_delay_alu instid0(VALU_DEP_1)
	v_cmpx_gt_u32_e32 0x43f00000, v17
	s_cbranch_execz .LBB42_131
; %bb.126:                              ;   in Loop: Header=BB42_63 Depth=1
	s_mov_b32 s15, exec_lo
                                        ; implicit-def: $vgpr15
	v_cmpx_lt_u32_e32 0x3c7fffff, v17
	s_xor_b32 s15, exec_lo, s15
; %bb.127:                              ;   in Loop: Header=BB42_63 Depth=1
	v_bfe_u32 v15, v16, 20, 1
	s_delay_alu instid0(VALU_DEP_1) | instskip(NEXT) | instid1(VALU_DEP_1)
	v_add3_u32 v15, v16, v15, 0x407ffff
	v_lshrrev_b32_e32 v15, 20, v15
; %bb.128:                              ;   in Loop: Header=BB42_63 Depth=1
	s_and_not1_saveexec_b32 s15, s15
; %bb.129:                              ;   in Loop: Header=BB42_63 Depth=1
	v_add_f32_e64 v15, 0x46800000, |v16|
; %bb.130:                              ;   in Loop: Header=BB42_63 Depth=1
	s_or_b32 exec_lo, exec_lo, s15
.LBB42_131:                             ;   in Loop: Header=BB42_63 Depth=1
	s_delay_alu instid0(SALU_CYCLE_1) | instskip(SKIP_3) | instid1(VALU_DEP_1)
	s_or_b32 exec_lo, exec_lo, s14
	v_lshrrev_b32_e32 v6, 16, v6
	v_fma_mixlo_f16 v13, v28, v13, 0
	s_mov_b32 s14, exec_lo
	v_mul_f16_e32 v6, v6, v13
	s_delay_alu instid0(VALU_DEP_1) | instskip(NEXT) | instid1(VALU_DEP_1)
	v_cvt_f32_f16_e32 v6, v6
	v_div_scale_f32 v13, null, v12, v12, v6
	s_delay_alu instid0(VALU_DEP_1) | instskip(SKIP_2) | instid1(VALU_DEP_1)
	v_rcp_f32_e32 v17, v13
	s_waitcnt_depctr 0xfff
	v_fma_f32 v18, -v13, v17, 1.0
	v_fmac_f32_e32 v17, v18, v17
	v_div_scale_f32 v18, vcc_lo, v6, v12, v6
	s_delay_alu instid0(VALU_DEP_1) | instskip(NEXT) | instid1(VALU_DEP_1)
	v_mul_f32_e32 v19, v18, v17
	v_fma_f32 v20, -v13, v19, v18
	s_delay_alu instid0(VALU_DEP_1) | instskip(NEXT) | instid1(VALU_DEP_1)
	v_fmac_f32_e32 v19, v20, v17
	v_fma_f32 v13, -v13, v19, v18
	s_delay_alu instid0(VALU_DEP_1) | instskip(NEXT) | instid1(VALU_DEP_1)
	v_div_fmas_f32 v13, v13, v17, v19
	v_div_fixup_f32 v6, v13, v12, v6
	s_delay_alu instid0(VALU_DEP_1) | instskip(NEXT) | instid1(VALU_DEP_1)
	v_minmax_f32 v6, v6, s7, 0xc3e00000
	v_and_b32_e32 v12, 0x7fffffff, v6
	s_delay_alu instid0(VALU_DEP_1)
	v_cmpx_gt_u32_e32 0x43f00000, v12
	s_cbranch_execz .LBB42_137
; %bb.132:                              ;   in Loop: Header=BB42_63 Depth=1
	s_mov_b32 s15, exec_lo
                                        ; implicit-def: $vgpr14
	v_cmpx_lt_u32_e32 0x3c7fffff, v12
	s_xor_b32 s15, exec_lo, s15
; %bb.133:                              ;   in Loop: Header=BB42_63 Depth=1
	v_bfe_u32 v12, v6, 20, 1
	s_delay_alu instid0(VALU_DEP_1) | instskip(NEXT) | instid1(VALU_DEP_1)
	v_add3_u32 v12, v6, v12, 0x407ffff
	v_lshrrev_b32_e32 v14, 20, v12
; %bb.134:                              ;   in Loop: Header=BB42_63 Depth=1
	s_and_not1_saveexec_b32 s15, s15
; %bb.135:                              ;   in Loop: Header=BB42_63 Depth=1
	v_add_f32_e64 v14, 0x46800000, |v6|
; %bb.136:                              ;   in Loop: Header=BB42_63 Depth=1
	s_or_b32 exec_lo, exec_lo, s15
.LBB42_137:                             ;   in Loop: Header=BB42_63 Depth=1
	s_delay_alu instid0(SALU_CYCLE_1)
	s_or_b32 exec_lo, exec_lo, s14
	v_lshrrev_b32_e32 v12, 24, v16
	v_lshrrev_b32_e32 v5, 24, v5
	;; [unrolled: 1-line block ×3, first 2 shown]
	v_lshlrev_b32_e32 v13, 24, v14
	v_and_b32_e32 v6, 0x80000000, v6
	v_and_b32_e32 v12, 0x80, v12
	;; [unrolled: 1-line block ×4, first 2 shown]
	v_lshlrev_b64 v[3:4], 2, v[3:4]
	v_add_nc_u32_e32 v0, s2, v0
	v_and_or_b32 v12, 0xff, v15, v12
	v_and_or_b32 v5, 0xff, v9, v5
	;; [unrolled: 1-line block ×3, first 2 shown]
	s_mov_b32 s15, -1
	v_add_co_u32 v3, vcc_lo, s0, v3
	v_lshlrev_b32_e32 v9, 16, v12
	v_lshlrev_b32_e32 v5, 8, v5
	v_add_co_ci_u32_e32 v4, vcc_lo, s1, v4, vcc_lo
	s_mov_b32 s14, exec_lo
	s_delay_alu instid0(VALU_DEP_3) | instskip(NEXT) | instid1(VALU_DEP_1)
	v_or3_b32 v6, v6, v13, v9
	v_or3_b32 v5, v6, v5, v10
	global_store_b32 v[3:4], v5, off
	v_cmpx_gt_u32_e64 s8, v0
	s_cbranch_execz .LBB42_60
; %bb.138:                              ;   in Loop: Header=BB42_63 Depth=1
	v_lshlrev_b64 v[3:4], 3, v[0:1]
	v_bfe_u32 v13, v0, 5, 25
	s_mov_b32 s15, exec_lo
	s_delay_alu instid0(VALU_DEP_1) | instskip(NEXT) | instid1(VALU_DEP_3)
	v_mad_u64_u32 v[5:6], null, v7, v13, 0
	v_add_co_u32 v9, vcc_lo, s28, v3
	s_delay_alu instid0(VALU_DEP_4)
	v_add_co_ci_u32_e32 v10, vcc_lo, s29, v4, vcc_lo
	v_add_co_u32 v15, vcc_lo, s30, v3
	v_add_co_ci_u32_e32 v16, vcc_lo, s31, v4, vcc_lo
	v_mad_u64_u32 v[11:12], null, v8, v13, v[6:7]
	global_load_b64 v[12:13], v[9:10], off
	global_load_b64 v[17:18], v[15:16], off
	v_add_co_u32 v3, vcc_lo, s10, v3
	v_add_co_ci_u32_e32 v4, vcc_lo, s11, v4, vcc_lo
	v_mov_b32_e32 v6, v11
	global_load_b64 v[3:4], v[3:4], off
	v_lshlrev_b64 v[5:6], 2, v[5:6]
	s_delay_alu instid0(VALU_DEP_1) | instskip(NEXT) | instid1(VALU_DEP_2)
	v_add_co_u32 v5, vcc_lo, s4, v5
	v_add_co_ci_u32_e32 v6, vcc_lo, s5, v6, vcc_lo
	global_load_b32 v10, v[5:6], off
	s_waitcnt vmcnt(3)
	v_cvt_f32_f16_e32 v5, v12
	s_waitcnt vmcnt(2)
	v_cvt_f32_f16_e32 v6, v17
	v_lshrrev_b32_e32 v12, 16, v12
	v_lshrrev_b32_e32 v17, 16, v17
	s_delay_alu instid0(VALU_DEP_3) | instskip(NEXT) | instid1(VALU_DEP_2)
	v_add_f32_e32 v5, v5, v6
	v_cvt_f32_f16_e32 v17, v17
	s_delay_alu instid0(VALU_DEP_2) | instskip(SKIP_1) | instid1(VALU_DEP_1)
	v_fma_mixlo_f16 v6, v28, v5, 0
	s_waitcnt vmcnt(1)
	v_mul_f16_e32 v6, v3, v6
	s_delay_alu instid0(VALU_DEP_1) | instskip(SKIP_1) | instid1(VALU_DEP_1)
	v_cvt_f32_f16_e32 v6, v6
	s_waitcnt vmcnt(0)
	v_div_scale_f32 v9, null, v10, v10, v6
	v_div_scale_f32 v19, vcc_lo, v6, v10, v6
	s_delay_alu instid0(VALU_DEP_2) | instskip(SKIP_2) | instid1(VALU_DEP_1)
	v_rcp_f32_e32 v11, v9
	s_waitcnt_depctr 0xfff
	v_fma_f32 v14, -v9, v11, 1.0
	v_fmac_f32_e32 v11, v14, v11
	s_delay_alu instid0(VALU_DEP_1) | instskip(NEXT) | instid1(VALU_DEP_1)
	v_mul_f32_e32 v14, v19, v11
	v_fma_f32 v20, -v9, v14, v19
	s_delay_alu instid0(VALU_DEP_1) | instskip(SKIP_2) | instid1(VALU_DEP_3)
	v_fmac_f32_e32 v14, v20, v11
	v_lshrrev_b32_e32 v20, 16, v13
	v_cvt_f32_f16_e32 v13, v13
	v_fma_f32 v9, -v9, v14, v19
	v_lshrrev_b32_e32 v19, 16, v18
	v_cvt_f32_f16_e32 v18, v18
	s_delay_alu instid0(VALU_DEP_3)
	v_div_fmas_f32 v9, v9, v11, v14
	v_cvt_f32_f16_e32 v14, v12
	v_cvt_f32_f16_e32 v11, v20
	;; [unrolled: 1-line block ×3, first 2 shown]
	v_add_f32_e32 v12, v13, v18
	v_div_fixup_f32 v6, v9, v10, v6
	v_cvt_f16_f32_e32 v9, v5
	v_mov_b32_e32 v5, 0x7f
	v_add_f32_e32 v11, v11, v19
	s_delay_alu instid0(VALU_DEP_4) | instskip(SKIP_2) | instid1(VALU_DEP_4)
	v_minmax_f32 v6, v6, s7, 0xc3e00000
	v_add_f32_e32 v13, v14, v17
	v_cvt_f16_f32_e32 v17, v12
	v_cvt_f16_f32_e32 v18, v11
	s_delay_alu instid0(VALU_DEP_4) | instskip(NEXT) | instid1(VALU_DEP_4)
	v_and_b32_e32 v14, 0x7fffffff, v6
	v_cvt_f16_f32_e32 v19, v13
	s_delay_alu instid0(VALU_DEP_3) | instskip(NEXT) | instid1(VALU_DEP_2)
	v_pack_b32_f16 v18, v17, v18
	v_pack_b32_f16 v17, v9, v19
	v_mov_b32_e32 v9, 0x7f
	global_store_b64 v[15:16], v[17:18], off
	v_cmpx_gt_u32_e32 0x43f00000, v14
	s_cbranch_execz .LBB42_144
; %bb.139:                              ;   in Loop: Header=BB42_63 Depth=1
	s_mov_b32 s16, exec_lo
                                        ; implicit-def: $vgpr9
	v_cmpx_lt_u32_e32 0x3c7fffff, v14
	s_xor_b32 s16, exec_lo, s16
; %bb.140:                              ;   in Loop: Header=BB42_63 Depth=1
	v_bfe_u32 v9, v6, 20, 1
	s_delay_alu instid0(VALU_DEP_1) | instskip(NEXT) | instid1(VALU_DEP_1)
	v_add3_u32 v9, v6, v9, 0x407ffff
	v_lshrrev_b32_e32 v9, 20, v9
; %bb.141:                              ;   in Loop: Header=BB42_63 Depth=1
	s_and_not1_saveexec_b32 s16, s16
; %bb.142:                              ;   in Loop: Header=BB42_63 Depth=1
	v_add_f32_e64 v9, 0x46800000, |v6|
; %bb.143:                              ;   in Loop: Header=BB42_63 Depth=1
	s_or_b32 exec_lo, exec_lo, s16
.LBB42_144:                             ;   in Loop: Header=BB42_63 Depth=1
	s_delay_alu instid0(SALU_CYCLE_1) | instskip(SKIP_3) | instid1(VALU_DEP_1)
	s_or_b32 exec_lo, exec_lo, s15
	v_lshrrev_b32_e32 v3, 16, v3
	v_fma_mixlo_f16 v13, v28, v13, 0
	s_mov_b32 s15, exec_lo
	v_mul_f16_e32 v3, v3, v13
	s_delay_alu instid0(VALU_DEP_1) | instskip(NEXT) | instid1(VALU_DEP_1)
	v_cvt_f32_f16_e32 v3, v3
	v_div_scale_f32 v13, null, v10, v10, v3
	s_delay_alu instid0(VALU_DEP_1) | instskip(SKIP_2) | instid1(VALU_DEP_1)
	v_rcp_f32_e32 v14, v13
	s_waitcnt_depctr 0xfff
	v_fma_f32 v15, -v13, v14, 1.0
	v_fmac_f32_e32 v14, v15, v14
	v_div_scale_f32 v15, vcc_lo, v3, v10, v3
	s_delay_alu instid0(VALU_DEP_1) | instskip(NEXT) | instid1(VALU_DEP_1)
	v_mul_f32_e32 v16, v15, v14
	v_fma_f32 v17, -v13, v16, v15
	s_delay_alu instid0(VALU_DEP_1) | instskip(NEXT) | instid1(VALU_DEP_1)
	v_fmac_f32_e32 v16, v17, v14
	v_fma_f32 v13, -v13, v16, v15
	s_delay_alu instid0(VALU_DEP_1) | instskip(NEXT) | instid1(VALU_DEP_1)
	v_div_fmas_f32 v13, v13, v14, v16
	v_div_fixup_f32 v3, v13, v10, v3
	s_delay_alu instid0(VALU_DEP_1) | instskip(NEXT) | instid1(VALU_DEP_1)
	v_minmax_f32 v3, v3, s7, 0xc3e00000
	v_and_b32_e32 v13, 0x7fffffff, v3
	s_delay_alu instid0(VALU_DEP_1)
	v_cmpx_gt_u32_e32 0x43f00000, v13
	s_cbranch_execz .LBB42_150
; %bb.145:                              ;   in Loop: Header=BB42_63 Depth=1
	s_mov_b32 s16, exec_lo
                                        ; implicit-def: $vgpr5
	v_cmpx_lt_u32_e32 0x3c7fffff, v13
	s_xor_b32 s16, exec_lo, s16
; %bb.146:                              ;   in Loop: Header=BB42_63 Depth=1
	v_bfe_u32 v5, v3, 20, 1
	s_delay_alu instid0(VALU_DEP_1) | instskip(NEXT) | instid1(VALU_DEP_1)
	v_add3_u32 v5, v3, v5, 0x407ffff
	v_lshrrev_b32_e32 v5, 20, v5
; %bb.147:                              ;   in Loop: Header=BB42_63 Depth=1
	s_and_not1_saveexec_b32 s16, s16
; %bb.148:                              ;   in Loop: Header=BB42_63 Depth=1
	v_add_f32_e64 v5, 0x46800000, |v3|
; %bb.149:                              ;   in Loop: Header=BB42_63 Depth=1
	s_or_b32 exec_lo, exec_lo, s16
.LBB42_150:                             ;   in Loop: Header=BB42_63 Depth=1
	s_delay_alu instid0(SALU_CYCLE_1) | instskip(SKIP_2) | instid1(VALU_DEP_1)
	s_or_b32 exec_lo, exec_lo, s15
	v_fma_mixlo_f16 v12, v28, v12, 0
	s_mov_b32 s15, exec_lo
	v_mul_f16_e32 v12, v4, v12
	s_delay_alu instid0(VALU_DEP_1) | instskip(NEXT) | instid1(VALU_DEP_1)
	v_cvt_f32_f16_e32 v12, v12
	v_div_scale_f32 v13, null, v10, v10, v12
	v_div_scale_f32 v16, vcc_lo, v12, v10, v12
	s_delay_alu instid0(VALU_DEP_2) | instskip(SKIP_2) | instid1(VALU_DEP_1)
	v_rcp_f32_e32 v14, v13
	s_waitcnt_depctr 0xfff
	v_fma_f32 v15, -v13, v14, 1.0
	v_fmac_f32_e32 v14, v15, v14
	s_delay_alu instid0(VALU_DEP_1) | instskip(NEXT) | instid1(VALU_DEP_1)
	v_mul_f32_e32 v15, v16, v14
	v_fma_f32 v17, -v13, v15, v16
	s_delay_alu instid0(VALU_DEP_1) | instskip(NEXT) | instid1(VALU_DEP_1)
	v_fmac_f32_e32 v15, v17, v14
	v_fma_f32 v13, -v13, v15, v16
	s_delay_alu instid0(VALU_DEP_1) | instskip(NEXT) | instid1(VALU_DEP_1)
	v_div_fmas_f32 v13, v13, v14, v15
	v_div_fixup_f32 v12, v13, v10, v12
	v_mov_b32_e32 v13, 0x7f
	s_delay_alu instid0(VALU_DEP_2) | instskip(SKIP_1) | instid1(VALU_DEP_2)
	v_minmax_f32 v14, v12, s7, 0xc3e00000
	v_mov_b32_e32 v12, 0x7f
	v_and_b32_e32 v15, 0x7fffffff, v14
	s_delay_alu instid0(VALU_DEP_1)
	v_cmpx_gt_u32_e32 0x43f00000, v15
	s_cbranch_execz .LBB42_156
; %bb.151:                              ;   in Loop: Header=BB42_63 Depth=1
	s_mov_b32 s16, exec_lo
                                        ; implicit-def: $vgpr13
	v_cmpx_lt_u32_e32 0x3c7fffff, v15
	s_xor_b32 s16, exec_lo, s16
; %bb.152:                              ;   in Loop: Header=BB42_63 Depth=1
	v_bfe_u32 v13, v14, 20, 1
	s_delay_alu instid0(VALU_DEP_1) | instskip(NEXT) | instid1(VALU_DEP_1)
	v_add3_u32 v13, v14, v13, 0x407ffff
	v_lshrrev_b32_e32 v13, 20, v13
; %bb.153:                              ;   in Loop: Header=BB42_63 Depth=1
	s_and_not1_saveexec_b32 s16, s16
; %bb.154:                              ;   in Loop: Header=BB42_63 Depth=1
	v_add_f32_e64 v13, 0x46800000, |v14|
; %bb.155:                              ;   in Loop: Header=BB42_63 Depth=1
	s_or_b32 exec_lo, exec_lo, s16
.LBB42_156:                             ;   in Loop: Header=BB42_63 Depth=1
	s_delay_alu instid0(SALU_CYCLE_1) | instskip(SKIP_3) | instid1(VALU_DEP_1)
	s_or_b32 exec_lo, exec_lo, s15
	v_lshrrev_b32_e32 v4, 16, v4
	v_fma_mixlo_f16 v11, v28, v11, 0
	s_mov_b32 s15, exec_lo
	v_mul_f16_e32 v4, v4, v11
	s_delay_alu instid0(VALU_DEP_1) | instskip(NEXT) | instid1(VALU_DEP_1)
	v_cvt_f32_f16_e32 v4, v4
	v_div_scale_f32 v11, null, v10, v10, v4
	s_delay_alu instid0(VALU_DEP_1) | instskip(SKIP_2) | instid1(VALU_DEP_1)
	v_rcp_f32_e32 v15, v11
	s_waitcnt_depctr 0xfff
	v_fma_f32 v16, -v11, v15, 1.0
	v_fmac_f32_e32 v15, v16, v15
	v_div_scale_f32 v16, vcc_lo, v4, v10, v4
	s_delay_alu instid0(VALU_DEP_1) | instskip(NEXT) | instid1(VALU_DEP_1)
	v_mul_f32_e32 v17, v16, v15
	v_fma_f32 v18, -v11, v17, v16
	s_delay_alu instid0(VALU_DEP_1) | instskip(NEXT) | instid1(VALU_DEP_1)
	v_fmac_f32_e32 v17, v18, v15
	v_fma_f32 v11, -v11, v17, v16
	s_delay_alu instid0(VALU_DEP_1) | instskip(NEXT) | instid1(VALU_DEP_1)
	v_div_fmas_f32 v11, v11, v15, v17
	v_div_fixup_f32 v4, v11, v10, v4
	s_delay_alu instid0(VALU_DEP_1) | instskip(NEXT) | instid1(VALU_DEP_1)
	v_minmax_f32 v4, v4, s7, 0xc3e00000
	v_and_b32_e32 v10, 0x7fffffff, v4
	s_delay_alu instid0(VALU_DEP_1)
	v_cmpx_gt_u32_e32 0x43f00000, v10
	s_cbranch_execz .LBB42_59
; %bb.157:                              ;   in Loop: Header=BB42_63 Depth=1
	s_mov_b32 s16, exec_lo
                                        ; implicit-def: $vgpr12
	v_cmpx_lt_u32_e32 0x3c7fffff, v10
	s_xor_b32 s16, exec_lo, s16
; %bb.158:                              ;   in Loop: Header=BB42_63 Depth=1
	v_bfe_u32 v10, v4, 20, 1
	s_delay_alu instid0(VALU_DEP_1) | instskip(NEXT) | instid1(VALU_DEP_1)
	v_add3_u32 v10, v4, v10, 0x407ffff
	v_lshrrev_b32_e32 v12, 20, v10
; %bb.159:                              ;   in Loop: Header=BB42_63 Depth=1
	s_and_not1_saveexec_b32 s16, s16
	s_cbranch_execz .LBB42_58
; %bb.160:                              ;   in Loop: Header=BB42_63 Depth=1
	v_add_f32_e64 v12, 0x46800000, |v4|
	s_branch .LBB42_58
.LBB42_161:
	s_nop 0
	s_sendmsg sendmsg(MSG_DEALLOC_VGPRS)
	s_endpgm
.LBB42_162:
                                        ; implicit-def: $vgpr3_vgpr4
	s_branch .LBB42_51
.LBB42_163:
                                        ; implicit-def: $vgpr1_vgpr2
	s_branch .LBB42_56
	.section	.rodata,"a",@progbits
	.p2align	6, 0x0
	.amdhsa_kernel _ZN4vllm31rms_norm_per_block_quant_kernelIN3c104HalfENS1_13Float8_e4m3fnELb1ELb1ELi128EEEvPT0_PfPKT_S9_PKffiiPS7_l
		.amdhsa_group_segment_fixed_size 4228
		.amdhsa_private_segment_fixed_size 0
		.amdhsa_kernarg_size 328
		.amdhsa_user_sgpr_count 15
		.amdhsa_user_sgpr_dispatch_ptr 0
		.amdhsa_user_sgpr_queue_ptr 0
		.amdhsa_user_sgpr_kernarg_segment_ptr 1
		.amdhsa_user_sgpr_dispatch_id 0
		.amdhsa_user_sgpr_private_segment_size 0
		.amdhsa_wavefront_size32 1
		.amdhsa_uses_dynamic_stack 0
		.amdhsa_enable_private_segment 0
		.amdhsa_system_sgpr_workgroup_id_x 1
		.amdhsa_system_sgpr_workgroup_id_y 0
		.amdhsa_system_sgpr_workgroup_id_z 0
		.amdhsa_system_sgpr_workgroup_info 0
		.amdhsa_system_vgpr_workitem_id 0
		.amdhsa_next_free_vgpr 35
		.amdhsa_next_free_sgpr 42
		.amdhsa_reserve_vcc 1
		.amdhsa_float_round_mode_32 0
		.amdhsa_float_round_mode_16_64 0
		.amdhsa_float_denorm_mode_32 3
		.amdhsa_float_denorm_mode_16_64 3
		.amdhsa_dx10_clamp 1
		.amdhsa_ieee_mode 1
		.amdhsa_fp16_overflow 0
		.amdhsa_workgroup_processor_mode 1
		.amdhsa_memory_ordered 1
		.amdhsa_forward_progress 0
		.amdhsa_shared_vgpr_count 0
		.amdhsa_exception_fp_ieee_invalid_op 0
		.amdhsa_exception_fp_denorm_src 0
		.amdhsa_exception_fp_ieee_div_zero 0
		.amdhsa_exception_fp_ieee_overflow 0
		.amdhsa_exception_fp_ieee_underflow 0
		.amdhsa_exception_fp_ieee_inexact 0
		.amdhsa_exception_int_div_zero 0
	.end_amdhsa_kernel
	.section	.text._ZN4vllm31rms_norm_per_block_quant_kernelIN3c104HalfENS1_13Float8_e4m3fnELb1ELb1ELi128EEEvPT0_PfPKT_S9_PKffiiPS7_l,"axG",@progbits,_ZN4vllm31rms_norm_per_block_quant_kernelIN3c104HalfENS1_13Float8_e4m3fnELb1ELb1ELi128EEEvPT0_PfPKT_S9_PKffiiPS7_l,comdat
.Lfunc_end42:
	.size	_ZN4vllm31rms_norm_per_block_quant_kernelIN3c104HalfENS1_13Float8_e4m3fnELb1ELb1ELi128EEEvPT0_PfPKT_S9_PKffiiPS7_l, .Lfunc_end42-_ZN4vllm31rms_norm_per_block_quant_kernelIN3c104HalfENS1_13Float8_e4m3fnELb1ELb1ELi128EEEvPT0_PfPKT_S9_PKffiiPS7_l
                                        ; -- End function
	.section	.AMDGPU.csdata,"",@progbits
; Kernel info:
; codeLenInByte = 12400
; NumSgprs: 44
; NumVgprs: 35
; ScratchSize: 0
; MemoryBound: 0
; FloatMode: 240
; IeeeMode: 1
; LDSByteSize: 4228 bytes/workgroup (compile time only)
; SGPRBlocks: 5
; VGPRBlocks: 4
; NumSGPRsForWavesPerEU: 44
; NumVGPRsForWavesPerEU: 35
; Occupancy: 16
; WaveLimiterHint : 0
; COMPUTE_PGM_RSRC2:SCRATCH_EN: 0
; COMPUTE_PGM_RSRC2:USER_SGPR: 15
; COMPUTE_PGM_RSRC2:TRAP_HANDLER: 0
; COMPUTE_PGM_RSRC2:TGID_X_EN: 1
; COMPUTE_PGM_RSRC2:TGID_Y_EN: 0
; COMPUTE_PGM_RSRC2:TGID_Z_EN: 0
; COMPUTE_PGM_RSRC2:TIDIG_COMP_CNT: 0
	.section	.text._ZN4vllm31rms_norm_per_block_quant_kernelIN3c104HalfENS1_15Float8_e4m3fnuzELb1ELb1ELi128EEEvPT0_PfPKT_S9_PKffiiPS7_l,"axG",@progbits,_ZN4vllm31rms_norm_per_block_quant_kernelIN3c104HalfENS1_15Float8_e4m3fnuzELb1ELb1ELi128EEEvPT0_PfPKT_S9_PKffiiPS7_l,comdat
	.protected	_ZN4vllm31rms_norm_per_block_quant_kernelIN3c104HalfENS1_15Float8_e4m3fnuzELb1ELb1ELi128EEEvPT0_PfPKT_S9_PKffiiPS7_l ; -- Begin function _ZN4vllm31rms_norm_per_block_quant_kernelIN3c104HalfENS1_15Float8_e4m3fnuzELb1ELb1ELi128EEEvPT0_PfPKT_S9_PKffiiPS7_l
	.globl	_ZN4vllm31rms_norm_per_block_quant_kernelIN3c104HalfENS1_15Float8_e4m3fnuzELb1ELb1ELi128EEEvPT0_PfPKT_S9_PKffiiPS7_l
	.p2align	8
	.type	_ZN4vllm31rms_norm_per_block_quant_kernelIN3c104HalfENS1_15Float8_e4m3fnuzELb1ELb1ELi128EEEvPT0_PfPKT_S9_PKffiiPS7_l,@function
_ZN4vllm31rms_norm_per_block_quant_kernelIN3c104HalfENS1_15Float8_e4m3fnuzELb1ELb1ELi128EEEvPT0_PfPKT_S9_PKffiiPS7_l: ; @_ZN4vllm31rms_norm_per_block_quant_kernelIN3c104HalfENS1_15Float8_e4m3fnuzELb1ELb1ELi128EEEvPT0_PfPKT_S9_PKffiiPS7_l
; %bb.0:
	s_mov_b32 s16, s15
	s_clause 0x3
	s_load_b128 s[12:15], s[0:1], 0x28
	s_load_b256 s[4:11], s[0:1], 0x0
	s_load_b64 s[2:3], s[0:1], 0x38
	s_load_b32 s34, s[0:1], 0x48
	v_mov_b32_e32 v6, 0
	s_waitcnt lgkmcnt(0)
	s_ashr_i32 s15, s14, 31
	s_mul_hi_u32 s17, s14, s16
	s_mul_i32 s15, s15, s16
	s_ashr_i32 s19, s13, 31
	s_mul_i32 s20, s14, s16
	s_add_i32 s21, s17, s15
	s_mul_hi_u32 s18, s13, s16
	s_mul_i32 s15, s19, s16
	s_lshl_b64 s[20:21], s[20:21], 1
	s_mul_i32 s14, s13, s16
	s_add_i32 s15, s18, s15
	s_add_u32 s28, s8, s20
	s_addc_u32 s29, s9, s21
	s_lshl_b64 s[8:9], s[14:15], 1
	s_mov_b32 s17, 0
	s_add_u32 s30, s2, s8
	s_addc_u32 s31, s3, s9
	s_ashr_i32 s8, s13, 2
	s_add_u32 s20, s0, 0x48
	v_cmp_gt_u32_e64 s2, s8, v0
	s_mov_b32 s18, s13
	s_addc_u32 s21, s1, 0
	s_delay_alu instid0(VALU_DEP_1)
	s_and_saveexec_b32 s3, s2
	s_cbranch_execz .LBB43_10
; %bb.1:
	s_cmp_lt_u32 s16, s34
	v_mov_b32_e32 v2, 0
	s_cselect_b32 s9, 12, 18
                                        ; implicit-def: $sgpr13
	v_mov_b32_e32 v1, v0
	s_add_u32 s22, s20, s9
	s_addc_u32 s23, s21, 0
	s_mov_b32 s9, s17
	global_load_u16 v7, v2, s[22:23]
	s_waitcnt vmcnt(0)
	v_lshlrev_b32_e32 v9, 1, v7
	v_mul_lo_u32 v8, v7, 3
	v_add_nc_u32_e32 v10, v7, v7
	v_mov_b32_e32 v6, v2
	s_branch .LBB43_5
.LBB43_2:                               ;   in Loop: Header=BB43_5 Depth=1
	s_or_b32 exec_lo, exec_lo, s24
	s_delay_alu instid0(SALU_CYCLE_1)
	s_or_not1_b32 s24, s25, exec_lo
.LBB43_3:                               ;   in Loop: Header=BB43_5 Depth=1
	s_or_b32 exec_lo, exec_lo, s23
	s_delay_alu instid0(SALU_CYCLE_1) | instskip(SKIP_1) | instid1(SALU_CYCLE_1)
	s_and_not1_b32 s13, s13, exec_lo
	s_and_b32 s23, s24, exec_lo
	s_or_b32 s13, s13, s23
.LBB43_4:                               ;   in Loop: Header=BB43_5 Depth=1
	s_or_b32 exec_lo, exec_lo, s22
	s_delay_alu instid0(SALU_CYCLE_1) | instskip(NEXT) | instid1(SALU_CYCLE_1)
	s_and_b32 s22, exec_lo, s13
	s_or_b32 s9, s22, s9
	s_delay_alu instid0(SALU_CYCLE_1)
	s_and_not1_b32 exec_lo, exec_lo, s9
	s_cbranch_execz .LBB43_9
.LBB43_5:                               ; =>This Inner Loop Header: Depth=1
	v_lshlrev_b64 v[3:4], 3, v[1:2]
	s_or_b32 s13, s13, exec_lo
	s_mov_b32 s22, exec_lo
	s_delay_alu instid0(VALU_DEP_1) | instskip(NEXT) | instid1(VALU_DEP_2)
	v_add_co_u32 v11, vcc_lo, s28, v3
	v_add_co_ci_u32_e32 v12, vcc_lo, s29, v4, vcc_lo
	v_add_co_u32 v3, vcc_lo, s30, v3
	v_add_co_ci_u32_e32 v4, vcc_lo, s31, v4, vcc_lo
	global_load_b64 v[11:12], v[11:12], off
	global_load_b64 v[3:4], v[3:4], off
	s_waitcnt vmcnt(1)
	v_lshrrev_b32_e32 v5, 16, v11
	s_waitcnt vmcnt(0)
	v_lshrrev_b32_e32 v13, 16, v3
	v_cvt_f32_f16_e32 v11, v11
	v_cvt_f32_f16_e32 v3, v3
	v_lshrrev_b32_e32 v14, 16, v12
	v_cvt_f32_f16_e32 v5, v5
	v_cvt_f32_f16_e32 v13, v13
	s_delay_alu instid0(VALU_DEP_1) | instskip(SKIP_4) | instid1(VALU_DEP_4)
	v_add_f32_e32 v5, v5, v13
	v_add_f32_e32 v3, v11, v3
	v_cvt_f32_f16_e32 v11, v12
	v_lshrrev_b32_e32 v12, 16, v4
	v_cvt_f32_f16_e32 v4, v4
	v_fmac_f32_e32 v6, v3, v3
	v_cvt_f32_f16_e32 v3, v14
	s_delay_alu instid0(VALU_DEP_3) | instskip(SKIP_1) | instid1(VALU_DEP_1)
	v_add_f32_e32 v4, v11, v4
	v_cvt_f32_f16_e32 v11, v12
	v_dual_fmac_f32 v6, v5, v5 :: v_dual_add_f32 v5, v3, v11
	s_delay_alu instid0(VALU_DEP_1) | instskip(NEXT) | instid1(VALU_DEP_1)
	v_dual_fmac_f32 v6, v4, v4 :: v_dual_add_nc_u32 v3, v1, v7
	v_fmac_f32_e32 v6, v5, v5
	s_delay_alu instid0(VALU_DEP_2)
	v_cmpx_gt_u32_e64 s8, v3
	s_cbranch_execz .LBB43_4
; %bb.6:                                ;   in Loop: Header=BB43_5 Depth=1
	v_mov_b32_e32 v4, v2
	s_mov_b32 s24, -1
	s_mov_b32 s23, exec_lo
	s_delay_alu instid0(VALU_DEP_1) | instskip(NEXT) | instid1(VALU_DEP_1)
	v_lshlrev_b64 v[4:5], 3, v[3:4]
	v_add_co_u32 v11, vcc_lo, s28, v4
	s_delay_alu instid0(VALU_DEP_2)
	v_add_co_ci_u32_e32 v12, vcc_lo, s29, v5, vcc_lo
	v_add_co_u32 v4, vcc_lo, s30, v4
	v_add_co_ci_u32_e32 v5, vcc_lo, s31, v5, vcc_lo
	global_load_b64 v[11:12], v[11:12], off
	global_load_b64 v[4:5], v[4:5], off
	s_waitcnt vmcnt(1)
	v_lshrrev_b32_e32 v13, 16, v11
	v_cvt_f32_f16_e32 v11, v11
	s_waitcnt vmcnt(0)
	v_lshrrev_b32_e32 v14, 16, v4
	v_cvt_f32_f16_e32 v4, v4
	v_lshrrev_b32_e32 v15, 16, v12
	v_cvt_f32_f16_e32 v13, v13
	s_delay_alu instid0(VALU_DEP_4) | instskip(NEXT) | instid1(VALU_DEP_4)
	v_cvt_f32_f16_e32 v14, v14
	v_add_f32_e32 v4, v11, v4
	v_cvt_f32_f16_e32 v11, v12
	v_lshrrev_b32_e32 v12, 16, v5
	v_cvt_f32_f16_e32 v5, v5
	s_delay_alu instid0(VALU_DEP_4) | instskip(SKIP_1) | instid1(VALU_DEP_3)
	v_dual_add_f32 v13, v13, v14 :: v_dual_fmac_f32 v6, v4, v4
	v_cvt_f32_f16_e32 v4, v15
	v_add_f32_e32 v5, v11, v5
	v_cvt_f32_f16_e32 v11, v12
	s_delay_alu instid0(VALU_DEP_1) | instskip(NEXT) | instid1(VALU_DEP_1)
	v_dual_fmac_f32 v6, v13, v13 :: v_dual_add_f32 v11, v4, v11
	v_fmac_f32_e32 v6, v5, v5
	v_add_nc_u32_e32 v4, v9, v1
	s_delay_alu instid0(VALU_DEP_2) | instskip(NEXT) | instid1(VALU_DEP_2)
	v_fmac_f32_e32 v6, v11, v11
	v_cmpx_gt_u32_e64 s8, v4
	s_cbranch_execz .LBB43_3
; %bb.7:                                ;   in Loop: Header=BB43_5 Depth=1
	v_mov_b32_e32 v5, v2
	v_add_nc_u32_e32 v1, v8, v1
	s_mov_b32 s25, -1
	s_mov_b32 s24, exec_lo
	s_delay_alu instid0(VALU_DEP_2) | instskip(NEXT) | instid1(VALU_DEP_1)
	v_lshlrev_b64 v[4:5], 3, v[4:5]
	v_add_co_u32 v11, vcc_lo, s28, v4
	s_delay_alu instid0(VALU_DEP_2)
	v_add_co_ci_u32_e32 v12, vcc_lo, s29, v5, vcc_lo
	v_add_co_u32 v4, vcc_lo, s30, v4
	v_add_co_ci_u32_e32 v5, vcc_lo, s31, v5, vcc_lo
	global_load_b64 v[11:12], v[11:12], off
	global_load_b64 v[4:5], v[4:5], off
	s_waitcnt vmcnt(1)
	v_lshrrev_b32_e32 v13, 16, v11
	v_cvt_f32_f16_e32 v11, v11
	s_waitcnt vmcnt(0)
	v_lshrrev_b32_e32 v14, 16, v4
	v_cvt_f32_f16_e32 v4, v4
	v_lshrrev_b32_e32 v15, 16, v12
	v_cvt_f32_f16_e32 v13, v13
	s_delay_alu instid0(VALU_DEP_4) | instskip(NEXT) | instid1(VALU_DEP_4)
	v_cvt_f32_f16_e32 v14, v14
	v_add_f32_e32 v4, v11, v4
	v_cvt_f32_f16_e32 v11, v12
	v_lshrrev_b32_e32 v12, 16, v5
	v_cvt_f32_f16_e32 v5, v5
	s_delay_alu instid0(VALU_DEP_4) | instskip(SKIP_1) | instid1(VALU_DEP_3)
	v_dual_add_f32 v13, v13, v14 :: v_dual_fmac_f32 v6, v4, v4
	v_cvt_f32_f16_e32 v4, v15
	v_add_f32_e32 v5, v11, v5
	v_cvt_f32_f16_e32 v11, v12
	s_delay_alu instid0(VALU_DEP_4) | instskip(NEXT) | instid1(VALU_DEP_2)
	v_fmac_f32_e32 v6, v13, v13
	v_add_f32_e32 v4, v4, v11
	s_delay_alu instid0(VALU_DEP_2) | instskip(NEXT) | instid1(VALU_DEP_1)
	v_fmac_f32_e32 v6, v5, v5
	v_fmac_f32_e32 v6, v4, v4
	v_cmpx_gt_u32_e64 s8, v1
	s_xor_b32 s24, exec_lo, s24
	s_cbranch_execz .LBB43_2
; %bb.8:                                ;   in Loop: Header=BB43_5 Depth=1
	v_lshlrev_b64 v[4:5], 3, v[1:2]
	s_delay_alu instid0(VALU_DEP_1) | instskip(NEXT) | instid1(VALU_DEP_2)
	v_add_co_u32 v11, vcc_lo, s28, v4
	v_add_co_ci_u32_e32 v12, vcc_lo, s29, v5, vcc_lo
	v_add_co_u32 v4, vcc_lo, s30, v4
	v_add_co_ci_u32_e32 v5, vcc_lo, s31, v5, vcc_lo
	global_load_b64 v[11:12], v[11:12], off
	global_load_b64 v[4:5], v[4:5], off
	s_waitcnt vmcnt(1)
	v_lshrrev_b32_e32 v1, 16, v11
	v_cvt_f32_f16_e32 v11, v11
	s_waitcnt vmcnt(0)
	v_lshrrev_b32_e32 v13, 16, v4
	v_cvt_f32_f16_e32 v4, v4
	v_lshrrev_b32_e32 v14, 16, v12
	v_cvt_f32_f16_e32 v1, v1
	s_delay_alu instid0(VALU_DEP_4) | instskip(NEXT) | instid1(VALU_DEP_4)
	v_cvt_f32_f16_e32 v13, v13
	v_add_f32_e32 v4, v11, v4
	v_cvt_f32_f16_e32 v11, v12
	v_lshrrev_b32_e32 v12, 16, v5
	v_cvt_f32_f16_e32 v5, v5
	s_delay_alu instid0(VALU_DEP_4) | instskip(SKIP_1) | instid1(VALU_DEP_3)
	v_dual_add_f32 v1, v1, v13 :: v_dual_fmac_f32 v6, v4, v4
	v_cvt_f32_f16_e32 v4, v14
	v_add_f32_e32 v5, v11, v5
	v_cvt_f32_f16_e32 v11, v12
	s_delay_alu instid0(VALU_DEP_4) | instskip(SKIP_1) | instid1(VALU_DEP_2)
	v_fmac_f32_e32 v6, v1, v1
	v_add3_u32 v1, v10, v7, v3
	v_dual_add_f32 v3, v4, v11 :: v_dual_fmac_f32 v6, v5, v5
	s_delay_alu instid0(VALU_DEP_2) | instskip(NEXT) | instid1(VALU_DEP_2)
	v_cmp_le_u32_e32 vcc_lo, s8, v1
	v_fmac_f32_e32 v6, v3, v3
	s_or_not1_b32 s25, vcc_lo, exec_lo
	s_branch .LBB43_2
.LBB43_9:
	s_or_b32 exec_lo, exec_lo, s9
.LBB43_10:
	s_delay_alu instid0(SALU_CYCLE_1) | instskip(SKIP_4) | instid1(VALU_DEP_2)
	s_or_b32 exec_lo, exec_lo, s3
	v_mbcnt_lo_u32_b32 v1, -1, 0
	s_load_b32 s3, s[20:21], 0xc
	v_and_b32_e32 v7, 0x3e0, v0
	s_mov_b32 s9, exec_lo
	v_cmp_ne_u32_e32 vcc_lo, 31, v1
	v_add_nc_u32_e32 v3, 1, v1
	v_add_co_ci_u32_e32 v2, vcc_lo, 0, v1, vcc_lo
	v_cmp_gt_u32_e32 vcc_lo, 30, v1
	s_delay_alu instid0(VALU_DEP_2)
	v_lshlrev_b32_e32 v2, 2, v2
	v_cndmask_b32_e64 v5, 0, 1, vcc_lo
	ds_bpermute_b32 v4, v2, v6
	s_waitcnt lgkmcnt(0)
	s_and_b32 s3, s3, 0xffff
	v_lshlrev_b32_e32 v5, 1, v5
	v_sub_nc_u32_e64 v12, s3, v7 clamp
	s_delay_alu instid0(VALU_DEP_1) | instskip(SKIP_1) | instid1(VALU_DEP_4)
	v_cmp_lt_u32_e32 vcc_lo, v3, v12
	v_add_f32_e32 v7, v6, v4
	v_add_lshl_u32 v4, v5, v1, 2
	s_delay_alu instid0(VALU_DEP_2) | instskip(SKIP_2) | instid1(VALU_DEP_1)
	v_cndmask_b32_e32 v7, v6, v7, vcc_lo
	v_cmp_gt_u32_e32 vcc_lo, 28, v1
	v_cndmask_b32_e64 v5, 0, 1, vcc_lo
	v_lshlrev_b32_e32 v8, 2, v5
	ds_bpermute_b32 v6, v4, v7
	v_add_nc_u32_e32 v5, 2, v1
	s_delay_alu instid0(VALU_DEP_1) | instskip(SKIP_3) | instid1(VALU_DEP_2)
	v_cmp_lt_u32_e32 vcc_lo, v5, v12
	s_waitcnt lgkmcnt(0)
	v_add_f32_e32 v9, v7, v6
	v_add_lshl_u32 v6, v8, v1, 2
	v_cndmask_b32_e32 v9, v7, v9, vcc_lo
	v_cmp_gt_u32_e32 vcc_lo, 24, v1
	ds_bpermute_b32 v8, v6, v9
	v_cndmask_b32_e64 v7, 0, 1, vcc_lo
	s_delay_alu instid0(VALU_DEP_1) | instskip(SKIP_1) | instid1(VALU_DEP_1)
	v_lshlrev_b32_e32 v10, 3, v7
	v_add_nc_u32_e32 v7, 4, v1
	v_cmp_lt_u32_e32 vcc_lo, v7, v12
	s_waitcnt lgkmcnt(0)
	v_add_f32_e32 v11, v9, v8
	v_add_lshl_u32 v8, v10, v1, 2
	s_delay_alu instid0(VALU_DEP_2) | instskip(SKIP_3) | instid1(VALU_DEP_1)
	v_cndmask_b32_e32 v11, v9, v11, vcc_lo
	v_cmp_gt_u32_e32 vcc_lo, 16, v1
	ds_bpermute_b32 v10, v8, v11
	v_cndmask_b32_e64 v9, 0, 1, vcc_lo
	v_lshlrev_b32_e32 v13, 4, v9
	v_add_nc_u32_e32 v9, 8, v1
	s_delay_alu instid0(VALU_DEP_1) | instskip(SKIP_3) | instid1(VALU_DEP_2)
	v_cmp_lt_u32_e32 vcc_lo, v9, v12
	s_waitcnt lgkmcnt(0)
	v_add_f32_e32 v14, v11, v10
	v_add_lshl_u32 v10, v13, v1, 2
	v_cndmask_b32_e32 v13, v11, v14, vcc_lo
	v_add_nc_u32_e32 v11, 16, v1
	ds_bpermute_b32 v14, v10, v13
	v_cmp_lt_u32_e32 vcc_lo, v11, v12
	s_waitcnt lgkmcnt(0)
	v_add_f32_e32 v14, v13, v14
	s_delay_alu instid0(VALU_DEP_1)
	v_cndmask_b32_e32 v12, v13, v14, vcc_lo
	v_cmpx_eq_u32_e32 0, v1
	s_cbranch_execz .LBB43_12
; %bb.11:
	v_lshrrev_b32_e32 v13, 3, v0
	s_delay_alu instid0(VALU_DEP_1)
	v_and_b32_e32 v13, 0x7c, v13
	ds_store_b32 v13, v12 offset:4096
.LBB43_12:
	s_or_b32 exec_lo, exec_lo, s9
	s_delay_alu instid0(SALU_CYCLE_1)
	s_mov_b32 s9, exec_lo
	s_waitcnt lgkmcnt(0)
	s_barrier
	buffer_gl0_inv
	v_cmpx_gt_u32_e32 32, v0
	s_cbranch_execz .LBB43_14
; %bb.13:
	v_lshlrev_b32_e32 v1, 2, v1
	s_add_i32 s3, s3, 31
	s_delay_alu instid0(SALU_CYCLE_1) | instskip(NEXT) | instid1(SALU_CYCLE_1)
	s_lshr_b32 s3, s3, 5
	v_cmp_gt_u32_e32 vcc_lo, s3, v3
	ds_load_b32 v1, v1 offset:4096
	s_waitcnt lgkmcnt(0)
	ds_bpermute_b32 v2, v2, v1
	s_waitcnt lgkmcnt(0)
	v_add_f32_e32 v2, v1, v2
	s_delay_alu instid0(VALU_DEP_1) | instskip(SKIP_4) | instid1(VALU_DEP_1)
	v_cndmask_b32_e32 v1, v1, v2, vcc_lo
	v_cmp_gt_u32_e32 vcc_lo, s3, v5
	ds_bpermute_b32 v2, v4, v1
	s_waitcnt lgkmcnt(0)
	v_add_f32_e32 v2, v1, v2
	v_cndmask_b32_e32 v1, v1, v2, vcc_lo
	v_cmp_gt_u32_e32 vcc_lo, s3, v7
	ds_bpermute_b32 v2, v6, v1
	s_waitcnt lgkmcnt(0)
	v_add_f32_e32 v2, v1, v2
	s_delay_alu instid0(VALU_DEP_1) | instskip(SKIP_4) | instid1(VALU_DEP_1)
	v_cndmask_b32_e32 v1, v1, v2, vcc_lo
	v_cmp_gt_u32_e32 vcc_lo, s3, v9
	ds_bpermute_b32 v2, v8, v1
	s_waitcnt lgkmcnt(0)
	v_add_f32_e32 v2, v1, v2
	v_cndmask_b32_e32 v1, v1, v2, vcc_lo
	v_cmp_gt_u32_e32 vcc_lo, s3, v11
	ds_bpermute_b32 v2, v10, v1
	s_waitcnt lgkmcnt(0)
	v_add_f32_e32 v2, v1, v2
	s_delay_alu instid0(VALU_DEP_1)
	v_cndmask_b32_e32 v12, v1, v2, vcc_lo
.LBB43_14:
	s_or_b32 exec_lo, exec_lo, s9
	s_delay_alu instid0(SALU_CYCLE_1)
	s_mov_b32 s3, exec_lo
	v_cmpx_eq_u32_e32 0, v0
	s_cbranch_execz .LBB43_16
; %bb.15:
	v_cvt_f32_i32_e32 v1, s18
	s_delay_alu instid0(VALU_DEP_1) | instskip(SKIP_1) | instid1(VALU_DEP_2)
	v_div_scale_f32 v2, null, v1, v1, v12
	v_div_scale_f32 v5, vcc_lo, v12, v1, v12
	v_rcp_f32_e32 v3, v2
	s_waitcnt_depctr 0xfff
	v_fma_f32 v4, -v2, v3, 1.0
	s_delay_alu instid0(VALU_DEP_1) | instskip(NEXT) | instid1(VALU_DEP_1)
	v_fmac_f32_e32 v3, v4, v3
	v_mul_f32_e32 v4, v5, v3
	s_delay_alu instid0(VALU_DEP_1) | instskip(NEXT) | instid1(VALU_DEP_1)
	v_fma_f32 v6, -v2, v4, v5
	v_fmac_f32_e32 v4, v6, v3
	s_delay_alu instid0(VALU_DEP_1) | instskip(NEXT) | instid1(VALU_DEP_1)
	v_fma_f32 v2, -v2, v4, v5
	v_div_fmas_f32 v2, v2, v3, v4
	s_delay_alu instid0(VALU_DEP_1) | instskip(NEXT) | instid1(VALU_DEP_1)
	v_div_fixup_f32 v1, v2, v1, v12
	v_add_f32_e32 v1, s12, v1
	s_delay_alu instid0(VALU_DEP_1) | instskip(SKIP_1) | instid1(VALU_DEP_2)
	v_mul_f32_e32 v2, 0x4b800000, v1
	v_cmp_gt_f32_e32 vcc_lo, 0x800000, v1
	v_cndmask_b32_e32 v1, v1, v2, vcc_lo
	s_delay_alu instid0(VALU_DEP_1) | instskip(SKIP_2) | instid1(VALU_DEP_1)
	v_rsq_f32_e32 v1, v1
	s_waitcnt_depctr 0xfff
	v_mul_f32_e32 v2, 0x45800000, v1
	v_dual_cndmask_b32 v1, v1, v2 :: v_dual_mov_b32 v2, 0
	ds_store_b32 v2, v1 offset:4224
.LBB43_16:
	s_or_b32 exec_lo, exec_lo, s3
	s_ashr_i32 s3, s18, 31
	v_mov_b32_e32 v4, 0
	s_lshr_b32 s3, s3, 25
	s_waitcnt lgkmcnt(0)
	s_add_i32 s3, s18, s3
	s_barrier
	s_ashr_i32 s12, s3, 7
	s_cmp_lt_u32 s16, s34
	buffer_gl0_inv
	s_cselect_b32 s9, 12, 18
	ds_load_b32 v28, v4 offset:4224
	s_add_u32 s20, s20, s9
	s_addc_u32 s21, s21, 0
	s_abs_i32 s9, s12
	global_load_u16 v1, v4, s[20:21]
	v_cvt_f32_u32_e32 v2, s9
	s_sub_i32 s20, 0, s9
	s_ashr_i32 s3, s3, 31
	s_delay_alu instid0(VALU_DEP_1) | instskip(SKIP_2) | instid1(VALU_DEP_1)
	v_rcp_iflag_f32_e32 v2, v2
	s_waitcnt_depctr 0xfff
	v_mul_f32_e32 v2, 0x4f7ffffe, v2
	v_cvt_u32_f32_e32 v2, v2
	s_delay_alu instid0(VALU_DEP_1) | instskip(NEXT) | instid1(VALU_DEP_1)
	v_readfirstlane_b32 s13, v2
	s_mul_i32 s20, s20, s13
	s_delay_alu instid0(SALU_CYCLE_1) | instskip(NEXT) | instid1(SALU_CYCLE_1)
	s_mul_hi_u32 s20, s13, s20
	s_add_i32 s13, s13, s20
	s_waitcnt vmcnt(0)
	v_readfirstlane_b32 s33, v1
	s_delay_alu instid0(VALU_DEP_1) | instskip(NEXT) | instid1(SALU_CYCLE_1)
	s_mul_hi_u32 s13, s33, s13
	s_mul_i32 s20, s13, s9
	s_add_i32 s21, s13, 1
	s_sub_i32 s20, s33, s20
	s_delay_alu instid0(SALU_CYCLE_1)
	s_sub_i32 s22, s20, s9
	s_cmp_ge_u32 s20, s9
	s_cselect_b32 s13, s21, s13
	s_cselect_b32 s20, s22, s20
	s_add_i32 s21, s13, 1
	s_cmp_ge_u32 s20, s9
	s_cselect_b32 s9, s21, s13
	s_delay_alu instid0(SALU_CYCLE_1) | instskip(NEXT) | instid1(SALU_CYCLE_1)
	s_xor_b32 s9, s9, s3
	s_sub_i32 s20, s9, s3
	s_delay_alu instid0(SALU_CYCLE_1) | instskip(SKIP_3) | instid1(VALU_DEP_1)
	s_abs_i32 s3, s20
	s_ashr_i32 s21, s20, 31
	v_cvt_f32_u32_e32 v1, s3
	s_sub_i32 s9, 0, s3
	v_rcp_iflag_f32_e32 v1, v1
	s_waitcnt_depctr 0xfff
	v_mul_f32_e32 v1, 0x4f7ffffe, v1
	s_delay_alu instid0(VALU_DEP_1) | instskip(NEXT) | instid1(VALU_DEP_1)
	v_cvt_u32_f32_e32 v1, v1
	v_mul_lo_u32 v2, s9, v1
	s_ashr_i32 s9, s8, 31
	s_delay_alu instid0(VALU_DEP_1) | instskip(NEXT) | instid1(VALU_DEP_1)
	v_mul_hi_u32 v2, v1, v2
	v_add_nc_u32_e32 v1, v1, v2
	s_delay_alu instid0(VALU_DEP_1) | instskip(NEXT) | instid1(VALU_DEP_1)
	v_mul_hi_u32 v1, v0, v1
	v_mul_lo_u32 v2, v1, s3
	v_add_nc_u32_e32 v3, 1, v1
	s_delay_alu instid0(VALU_DEP_2) | instskip(NEXT) | instid1(VALU_DEP_1)
	v_sub_nc_u32_e32 v2, v0, v2
	v_subrev_nc_u32_e32 v5, s3, v2
	v_cmp_le_u32_e32 vcc_lo, s3, v2
	s_delay_alu instid0(VALU_DEP_2) | instskip(NEXT) | instid1(VALU_DEP_1)
	v_dual_cndmask_b32 v2, v2, v5 :: v_dual_cndmask_b32 v1, v1, v3
	v_cmp_le_u32_e32 vcc_lo, s3, v2
	s_delay_alu instid0(VALU_DEP_2) | instskip(NEXT) | instid1(VALU_DEP_1)
	v_add_nc_u32_e32 v3, 1, v1
	v_cndmask_b32_e32 v1, v1, v3, vcc_lo
	s_delay_alu instid0(VALU_DEP_1) | instskip(NEXT) | instid1(VALU_DEP_1)
	v_xor_b32_e32 v1, s21, v1
	v_subrev_nc_u32_e32 v1, s21, v1
	s_delay_alu instid0(VALU_DEP_1) | instskip(SKIP_1) | instid1(VALU_DEP_2)
	v_ashrrev_i32_e32 v2, 31, v1
	v_mul_lo_u32 v3, v1, s20
	v_lshlrev_b64 v[7:8], 5, v[1:2]
	s_delay_alu instid0(VALU_DEP_2) | instskip(NEXT) | instid1(VALU_DEP_2)
	v_sub_nc_u32_e32 v3, v0, v3
	v_add_co_u32 v5, vcc_lo, v7, 32
	s_delay_alu instid0(VALU_DEP_3) | instskip(NEXT) | instid1(VALU_DEP_1)
	v_add_co_ci_u32_e32 v6, vcc_lo, 0, v8, vcc_lo
	v_cmp_gt_i64_e32 vcc_lo, s[8:9], v[5:6]
	v_cndmask_b32_e32 v6, s9, v6, vcc_lo
	v_cndmask_b32_e32 v5, s8, v5, vcc_lo
	v_add_co_u32 v7, vcc_lo, v7, v3
	v_add_co_ci_u32_e32 v8, vcc_lo, 0, v8, vcc_lo
	s_delay_alu instid0(VALU_DEP_3) | instskip(SKIP_2) | instid1(VALU_DEP_1)
	v_ashrrev_i32_e32 v10, 31, v5
	v_mov_b32_e32 v9, v5
	s_mov_b32 s9, exec_lo
	v_cmpx_lt_i64_e64 v[7:8], v[9:10]
	s_cbranch_execz .LBB43_26
; %bb.17:
	v_lshlrev_b64 v[11:12], 8, v[1:2]
	v_lshlrev_b64 v[13:14], 3, v[3:4]
	v_mov_b32_e32 v4, 0
	s_lshl_b64 s[22:23], s[20:21], 5
	s_mul_hi_i32 s13, s20, 3
	s_mul_i32 s35, s20, 3
	s_lshl_b64 s[24:25], s[20:21], 1
	v_add_co_u32 v21, vcc_lo, v11, v13
	v_add_co_ci_u32_e32 v22, vcc_lo, v12, v14, vcc_lo
	v_dual_mov_b32 v12, v8 :: v_dual_mov_b32 v11, v7
	s_lshl_b64 s[26:27], s[20:21], 3
	s_mov_b32 s36, 0
                                        ; implicit-def: $sgpr37
	s_branch .LBB43_21
.LBB43_18:                              ;   in Loop: Header=BB43_21 Depth=1
	s_or_b32 exec_lo, exec_lo, s40
	s_delay_alu instid0(SALU_CYCLE_1)
	s_or_not1_b32 s3, s3, exec_lo
.LBB43_19:                              ;   in Loop: Header=BB43_21 Depth=1
	s_or_b32 exec_lo, exec_lo, s39
	s_delay_alu instid0(SALU_CYCLE_1) | instskip(SKIP_1) | instid1(SALU_CYCLE_1)
	s_and_not1_b32 s37, s37, exec_lo
	s_and_b32 s3, s3, exec_lo
	s_or_b32 s37, s37, s3
.LBB43_20:                              ;   in Loop: Header=BB43_21 Depth=1
	s_or_b32 exec_lo, exec_lo, s38
	s_delay_alu instid0(SALU_CYCLE_1) | instskip(NEXT) | instid1(SALU_CYCLE_1)
	s_and_b32 s3, exec_lo, s37
	s_or_b32 s36, s3, s36
	s_delay_alu instid0(SALU_CYCLE_1)
	s_and_not1_b32 exec_lo, exec_lo, s36
	s_cbranch_execz .LBB43_25
.LBB43_21:                              ; =>This Inner Loop Header: Depth=1
	v_add_co_u32 v15, vcc_lo, s28, v21
	v_add_co_ci_u32_e32 v16, vcc_lo, s29, v22, vcc_lo
	v_add_co_u32 v19, vcc_lo, s30, v21
	v_add_co_ci_u32_e32 v20, vcc_lo, s31, v22, vcc_lo
	v_add_co_u32 v17, vcc_lo, s10, v21
	global_load_b64 v[13:14], v[15:16], off
	global_load_b64 v[23:24], v[19:20], off
	v_add_co_ci_u32_e32 v18, vcc_lo, s11, v22, vcc_lo
	s_or_b32 s37, s37, exec_lo
	s_mov_b32 s38, exec_lo
	global_load_b64 v[25:26], v[17:18], off
	s_waitcnt vmcnt(2)
	v_lshrrev_b32_e32 v27, 16, v13
	s_waitcnt vmcnt(1)
	v_lshrrev_b32_e32 v30, 16, v23
	v_lshrrev_b32_e32 v29, 16, v14
	v_cvt_f32_f16_e32 v13, v13
	v_lshrrev_b32_e32 v31, 16, v24
	v_cvt_f32_f16_e32 v23, v23
	v_cvt_f32_f16_e32 v27, v27
	;; [unrolled: 1-line block ×6, first 2 shown]
	v_add_f32_e32 v13, v13, v23
	v_cvt_f32_f16_e32 v23, v31
	s_delay_alu instid0(VALU_DEP_4)
	v_dual_add_f32 v27, v27, v30 :: v_dual_add_f32 v14, v14, v24
	s_waitcnt vmcnt(0)
	v_lshrrev_b32_e32 v30, 16, v25
	s_waitcnt lgkmcnt(0)
	v_fma_mixlo_f16 v13, v28, v13, 0
	v_add_f32_e32 v23, v29, v23
	v_fma_mixlo_f16 v24, v28, v27, 0
	v_lshrrev_b32_e32 v27, 16, v26
	v_fma_mixlo_f16 v14, v28, v14, 0
	v_mul_f16_e32 v13, v25, v13
	v_fma_mixlo_f16 v23, v28, v23, 0
	v_mul_f16_e32 v24, v30, v24
	s_delay_alu instid0(VALU_DEP_4) | instskip(NEXT) | instid1(VALU_DEP_4)
	v_mul_f16_e32 v25, v26, v14
	v_cvt_f32_f16_e64 v26, |v13|
	s_delay_alu instid0(VALU_DEP_4) | instskip(NEXT) | instid1(VALU_DEP_4)
	v_mul_f16_e32 v23, v27, v23
	v_cvt_f32_f16_e64 v24, |v24|
	v_add_co_u32 v13, vcc_lo, v11, s20
	v_cvt_f32_f16_e64 v25, |v25|
	s_delay_alu instid0(VALU_DEP_4) | instskip(NEXT) | instid1(VALU_DEP_4)
	v_cvt_f32_f16_e64 v23, |v23|
	v_max3_f32 v4, v4, v26, v24
	v_add_co_ci_u32_e32 v14, vcc_lo, s21, v12, vcc_lo
	s_delay_alu instid0(VALU_DEP_2) | instskip(NEXT) | instid1(VALU_DEP_2)
	v_max3_f32 v4, v4, v25, v23
	v_cmpx_lt_i64_e64 v[13:14], v[9:10]
	s_cbranch_execz .LBB43_20
; %bb.22:                               ;   in Loop: Header=BB43_21 Depth=1
	v_add_co_u32 v15, vcc_lo, v15, s26
	v_add_co_ci_u32_e32 v16, vcc_lo, s27, v16, vcc_lo
	v_add_co_u32 v19, vcc_lo, v19, s26
	v_add_co_ci_u32_e32 v20, vcc_lo, s27, v20, vcc_lo
	v_add_co_u32 v17, vcc_lo, v17, s26
	global_load_b64 v[23:24], v[15:16], off
	global_load_b64 v[25:26], v[19:20], off
	v_add_co_ci_u32_e32 v18, vcc_lo, s27, v18, vcc_lo
	s_mov_b32 s3, -1
	s_mov_b32 s39, exec_lo
	global_load_b64 v[29:30], v[17:18], off
	s_waitcnt vmcnt(2)
	v_lshrrev_b32_e32 v27, 16, v23
	s_waitcnt vmcnt(1)
	v_lshrrev_b32_e32 v32, 16, v25
	v_lshrrev_b32_e32 v31, 16, v24
	v_cvt_f32_f16_e32 v23, v23
	v_lshrrev_b32_e32 v33, 16, v26
	v_cvt_f32_f16_e32 v25, v25
	v_cvt_f32_f16_e32 v27, v27
	v_cvt_f32_f16_e32 v32, v32
	v_cvt_f32_f16_e32 v24, v24
	v_cvt_f32_f16_e32 v26, v26
	v_cvt_f32_f16_e32 v31, v31
	v_add_f32_e32 v23, v23, v25
	v_cvt_f32_f16_e32 v25, v33
	s_delay_alu instid0(VALU_DEP_4)
	v_dual_add_f32 v27, v27, v32 :: v_dual_add_f32 v24, v24, v26
	s_waitcnt vmcnt(0)
	v_lshrrev_b32_e32 v32, 16, v29
	v_fma_mixlo_f16 v23, v28, v23, 0
	v_add_f32_e32 v25, v31, v25
	v_fma_mixlo_f16 v26, v28, v27, 0
	v_lshrrev_b32_e32 v27, 16, v30
	v_fma_mixlo_f16 v24, v28, v24, 0
	v_mul_f16_e32 v23, v29, v23
	v_fma_mixlo_f16 v25, v28, v25, 0
	v_mul_f16_e32 v26, v32, v26
	s_delay_alu instid0(VALU_DEP_4) | instskip(NEXT) | instid1(VALU_DEP_4)
	v_mul_f16_e32 v29, v30, v24
	v_cvt_f32_f16_e64 v30, |v23|
	s_delay_alu instid0(VALU_DEP_4) | instskip(NEXT) | instid1(VALU_DEP_4)
	v_mul_f16_e32 v25, v27, v25
	v_cvt_f32_f16_e64 v26, |v26|
	v_add_co_u32 v23, vcc_lo, s24, v11
	v_cvt_f32_f16_e64 v27, |v29|
	s_delay_alu instid0(VALU_DEP_4) | instskip(NEXT) | instid1(VALU_DEP_4)
	v_cvt_f32_f16_e64 v25, |v25|
	v_max3_f32 v4, v4, v30, v26
	v_add_co_ci_u32_e32 v24, vcc_lo, s25, v12, vcc_lo
	s_delay_alu instid0(VALU_DEP_2) | instskip(NEXT) | instid1(VALU_DEP_2)
	v_max3_f32 v4, v4, v27, v25
	v_cmpx_lt_i64_e64 v[23:24], v[9:10]
	s_cbranch_execz .LBB43_19
; %bb.23:                               ;   in Loop: Header=BB43_21 Depth=1
	v_add_co_u32 v15, vcc_lo, v15, s26
	v_add_co_ci_u32_e32 v16, vcc_lo, s27, v16, vcc_lo
	v_add_co_u32 v19, vcc_lo, v19, s26
	v_add_co_ci_u32_e32 v20, vcc_lo, s27, v20, vcc_lo
	v_add_co_u32 v17, vcc_lo, v17, s26
	global_load_b64 v[23:24], v[15:16], off
	global_load_b64 v[25:26], v[19:20], off
	v_add_co_ci_u32_e32 v18, vcc_lo, s27, v18, vcc_lo
	v_add_co_u32 v11, vcc_lo, s35, v11
	v_add_co_ci_u32_e32 v12, vcc_lo, s13, v12, vcc_lo
	global_load_b64 v[29:30], v[17:18], off
	v_cmp_lt_i64_e32 vcc_lo, v[11:12], v[9:10]
                                        ; implicit-def: $vgpr11_vgpr12
	s_waitcnt vmcnt(2)
	v_lshrrev_b32_e32 v27, 16, v23
	s_waitcnt vmcnt(1)
	v_lshrrev_b32_e32 v32, 16, v25
	v_lshrrev_b32_e32 v31, 16, v24
	v_cvt_f32_f16_e32 v23, v23
	v_lshrrev_b32_e32 v33, 16, v26
	v_cvt_f32_f16_e32 v25, v25
	v_cvt_f32_f16_e32 v27, v27
	;; [unrolled: 1-line block ×6, first 2 shown]
	v_add_f32_e32 v23, v23, v25
	v_cvt_f32_f16_e32 v25, v33
	s_delay_alu instid0(VALU_DEP_4)
	v_dual_add_f32 v27, v27, v32 :: v_dual_add_f32 v24, v24, v26
	s_waitcnt vmcnt(0)
	v_lshrrev_b32_e32 v32, 16, v29
	v_fma_mixlo_f16 v23, v28, v23, 0
	v_add_f32_e32 v25, v31, v25
	v_fma_mixlo_f16 v26, v28, v27, 0
	v_lshrrev_b32_e32 v27, 16, v30
	v_fma_mixlo_f16 v24, v28, v24, 0
	v_mul_f16_e32 v23, v29, v23
	v_fma_mixlo_f16 v25, v28, v25, 0
	v_mul_f16_e32 v26, v32, v26
	s_delay_alu instid0(VALU_DEP_4) | instskip(NEXT) | instid1(VALU_DEP_4)
	v_mul_f16_e32 v24, v30, v24
	v_cvt_f32_f16_e64 v23, |v23|
	s_delay_alu instid0(VALU_DEP_4) | instskip(NEXT) | instid1(VALU_DEP_4)
	v_mul_f16_e32 v25, v27, v25
	v_cvt_f32_f16_e64 v26, |v26|
	s_delay_alu instid0(VALU_DEP_4) | instskip(NEXT) | instid1(VALU_DEP_2)
	v_cvt_f32_f16_e64 v24, |v24|
	v_max3_f32 v4, v4, v23, v26
	s_delay_alu instid0(VALU_DEP_4) | instskip(NEXT) | instid1(VALU_DEP_1)
	v_cvt_f32_f16_e64 v23, |v25|
	v_max3_f32 v4, v4, v24, v23
	s_and_saveexec_b32 s40, vcc_lo
	s_delay_alu instid0(SALU_CYCLE_1)
	s_xor_b32 s40, exec_lo, s40
	s_cbranch_execz .LBB43_18
; %bb.24:                               ;   in Loop: Header=BB43_21 Depth=1
	v_add_co_u32 v11, vcc_lo, v15, s26
	v_add_co_ci_u32_e32 v12, vcc_lo, s27, v16, vcc_lo
	v_add_co_u32 v15, vcc_lo, v19, s26
	v_add_co_ci_u32_e32 v16, vcc_lo, s27, v20, vcc_lo
	v_add_co_u32 v17, vcc_lo, v17, s26
	global_load_b64 v[11:12], v[11:12], off
	global_load_b64 v[15:16], v[15:16], off
	v_add_co_ci_u32_e32 v18, vcc_lo, s27, v18, vcc_lo
	s_add_u32 s3, s20, s20
	s_addc_u32 s41, s21, s21
	s_add_u32 s3, s3, s20
	global_load_b64 v[17:18], v[17:18], off
	s_addc_u32 s41, s41, s21
	s_waitcnt vmcnt(2)
	v_lshrrev_b32_e32 v19, 16, v11
	s_waitcnt vmcnt(1)
	v_lshrrev_b32_e32 v23, 16, v15
	v_lshrrev_b32_e32 v20, 16, v12
	v_cvt_f32_f16_e32 v11, v11
	v_lshrrev_b32_e32 v24, 16, v16
	v_cvt_f32_f16_e32 v15, v15
	v_cvt_f32_f16_e32 v19, v19
	;; [unrolled: 1-line block ×6, first 2 shown]
	v_add_f32_e32 v11, v11, v15
	v_cvt_f32_f16_e32 v15, v24
	s_delay_alu instid0(VALU_DEP_4)
	v_dual_add_f32 v19, v19, v23 :: v_dual_add_f32 v12, v12, v16
	s_waitcnt vmcnt(0)
	v_lshrrev_b32_e32 v23, 16, v17
	v_fma_mixlo_f16 v11, v28, v11, 0
	v_add_f32_e32 v15, v20, v15
	v_fma_mixlo_f16 v16, v28, v19, 0
	v_lshrrev_b32_e32 v19, 16, v18
	v_fma_mixlo_f16 v12, v28, v12, 0
	v_mul_f16_e32 v11, v17, v11
	v_fma_mixlo_f16 v15, v28, v15, 0
	v_mul_f16_e32 v16, v23, v16
	s_delay_alu instid0(VALU_DEP_4) | instskip(NEXT) | instid1(VALU_DEP_4)
	v_mul_f16_e32 v17, v18, v12
	v_cvt_f32_f16_e64 v18, |v11|
	s_delay_alu instid0(VALU_DEP_4) | instskip(NEXT) | instid1(VALU_DEP_4)
	v_mul_f16_e32 v15, v19, v15
	v_cvt_f32_f16_e64 v16, |v16|
	v_add_co_u32 v11, vcc_lo, s3, v13
	v_add_co_ci_u32_e32 v12, vcc_lo, s41, v14, vcc_lo
	v_cvt_f32_f16_e64 v13, |v17|
	v_cvt_f32_f16_e64 v14, |v15|
	v_max3_f32 v4, v4, v18, v16
	s_delay_alu instid0(VALU_DEP_4) | instskip(SKIP_1) | instid1(VALU_DEP_1)
	v_cmp_ge_i64_e32 vcc_lo, v[11:12], v[9:10]
	v_add_co_u32 v21, s3, v21, s22
	v_add_co_ci_u32_e64 v22, s3, s23, v22, s3
	s_delay_alu instid0(VALU_DEP_4)
	v_max3_f32 v4, v4, v13, v14
	s_or_not1_b32 s3, vcc_lo, exec_lo
	s_branch .LBB43_18
.LBB43_25:
	s_or_b32 exec_lo, exec_lo, s36
.LBB43_26:
	s_delay_alu instid0(SALU_CYCLE_1)
	s_or_b32 exec_lo, exec_lo, s9
	s_lshr_b32 s9, s33, 5
	v_lshlrev_b32_e32 v29, 2, v0
	v_cvt_f32_u32_e32 v9, s9
	s_sub_i32 s13, 0, s9
	s_add_i32 s22, s12, s9
	s_delay_alu instid0(SALU_CYCLE_1) | instskip(NEXT) | instid1(VALU_DEP_1)
	s_add_i32 s22, s22, -1
	v_rcp_iflag_f32_e32 v9, v9
	s_abs_i32 s23, s22
	s_ashr_i32 s22, s22, 31
	ds_store_b32 v29, v4
	s_waitcnt lgkmcnt(0)
	s_barrier
	buffer_gl0_inv
	v_mul_f32_e32 v9, 0x4f7ffffe, v9
	s_delay_alu instid0(VALU_DEP_1) | instskip(NEXT) | instid1(VALU_DEP_1)
	v_cvt_u32_f32_e32 v9, v9
	v_readfirstlane_b32 s3, v9
	s_delay_alu instid0(VALU_DEP_1) | instskip(NEXT) | instid1(SALU_CYCLE_1)
	s_mul_i32 s13, s13, s3
	s_mul_hi_u32 s13, s3, s13
	s_delay_alu instid0(SALU_CYCLE_1) | instskip(NEXT) | instid1(SALU_CYCLE_1)
	s_add_i32 s3, s3, s13
	s_mul_hi_u32 s3, s23, s3
	s_delay_alu instid0(SALU_CYCLE_1) | instskip(NEXT) | instid1(SALU_CYCLE_1)
	s_mul_i32 s13, s3, s9
	s_sub_i32 s13, s23, s13
	s_add_i32 s23, s3, 1
	s_sub_i32 s24, s13, s9
	s_cmp_ge_u32 s13, s9
	s_cselect_b32 s3, s23, s3
	s_cselect_b32 s13, s24, s13
	s_add_i32 s23, s3, 1
	s_cmp_ge_u32 s13, s9
	s_cselect_b32 s3, s23, s3
	s_delay_alu instid0(SALU_CYCLE_1) | instskip(NEXT) | instid1(SALU_CYCLE_1)
	s_xor_b32 s3, s3, s22
	s_sub_i32 s22, s3, s22
	s_delay_alu instid0(SALU_CYCLE_1) | instskip(NEXT) | instid1(SALU_CYCLE_1)
	s_ashr_i32 s23, s22, 31
	v_cmp_lt_i64_e64 s3, s[22:23], 1
	s_delay_alu instid0(VALU_DEP_1)
	s_and_b32 vcc_lo, exec_lo, s3
	s_cbranch_vccnz .LBB43_46
; %bb.27:
	v_lshrrev_b32_e32 v9, 5, v0
	v_and_b32_e32 v4, 31, v0
	s_ashr_i32 s13, s12, 31
	s_mov_b64 s[24:25], 0
	s_mov_b64 s[26:27], src_shared_base
	v_mul_lo_u32 v19, s20, v9
	v_add_co_u32 v11, s3, v4, 16
	s_delay_alu instid0(VALU_DEP_1) | instskip(SKIP_1) | instid1(VALU_DEP_1)
	v_add_co_ci_u32_e64 v12, null, 0, 0, s3
	v_add_co_u32 v13, s3, v4, 8
	v_add_co_ci_u32_e64 v14, null, 0, 0, s3
	v_add_co_u32 v15, s3, v4, 4
	v_dual_mov_b32 v10, 0 :: v_dual_lshlrev_b32 v21, 2, v19
	v_lshlrev_b32_e32 v22, 2, v4
	v_add_co_ci_u32_e64 v16, null, 0, 0, s3
	v_add_co_u32 v17, s3, v4, 2
	s_delay_alu instid0(VALU_DEP_1) | instskip(SKIP_1) | instid1(VALU_DEP_1)
	v_add_co_ci_u32_e64 v18, null, 0, 0, s3
	v_add_co_u32 v19, s3, v4, 1
	v_add_co_ci_u32_e64 v20, null, 0, 0, s3
	v_add3_u32 v30, v21, v22, 0x80
	s_mul_i32 s3, s20, s9
	s_delay_alu instid0(SALU_CYCLE_1)
	s_lshl_b32 s35, s3, 2
	s_branch .LBB43_30
.LBB43_28:                              ;   in Loop: Header=BB43_30 Depth=1
	s_or_b32 exec_lo, exec_lo, s3
	v_mov_b32_e32 v22, s27
	flat_load_b32 v21, v[21:22] glc dlc
	s_waitcnt vmcnt(0)
.LBB43_29:                              ;   in Loop: Header=BB43_30 Depth=1
	s_or_b32 exec_lo, exec_lo, s26
	s_add_u32 s24, s24, 1
	v_add_nc_u32_e32 v30, s35, v30
	s_addc_u32 s25, s25, 0
	s_delay_alu instid0(SALU_CYCLE_1)
	s_cmp_eq_u64 s[24:25], s[22:23]
	s_cbranch_scc1 .LBB43_46
.LBB43_30:                              ; =>This Loop Header: Depth=1
                                        ;     Child Loop BB43_33 Depth 2
	s_waitcnt lgkmcnt(0)
	v_mad_u64_u32 v[21:22], null, s24, s9, v[9:10]
	s_mov_b32 s26, exec_lo
	s_delay_alu instid0(VALU_DEP_1) | instskip(NEXT) | instid1(VALU_DEP_1)
	v_mad_u64_u32 v[23:24], null, s25, s9, v[22:23]
	v_mov_b32_e32 v22, v23
	s_delay_alu instid0(VALU_DEP_1)
	v_cmpx_gt_i64_e64 s[12:13], v[21:22]
	s_cbranch_execz .LBB43_29
; %bb.31:                               ;   in Loop: Header=BB43_30 Depth=1
	v_mul_lo_u32 v24, v22, s20
	v_mul_lo_u32 v25, v21, s21
	v_mad_u64_u32 v[22:23], null, v21, s20, 0
	s_delay_alu instid0(VALU_DEP_1) | instskip(NEXT) | instid1(VALU_DEP_2)
	v_add3_u32 v23, v23, v25, v24
	v_add_co_u32 v24, vcc_lo, v22, s20
	v_add_co_u32 v31, s3, v22, v4
	s_delay_alu instid0(VALU_DEP_3) | instskip(SKIP_2) | instid1(VALU_DEP_2)
	v_add_co_ci_u32_e32 v25, vcc_lo, s21, v23, vcc_lo
	v_add_co_ci_u32_e64 v21, s3, 0, v23, s3
	s_mov_b32 s3, exec_lo
	v_cmp_gt_i64_e32 vcc_lo, s[18:19], v[24:25]
	v_cndmask_b32_e32 v25, s19, v25, vcc_lo
	v_cndmask_b32_e32 v24, s18, v24, vcc_lo
	v_add_co_u32 v26, vcc_lo, v31, 32
	v_add_co_ci_u32_e32 v27, vcc_lo, 0, v21, vcc_lo
	v_lshlrev_b32_e32 v21, 2, v31
	s_delay_alu instid0(VALU_DEP_2)
	v_cmpx_lt_i64_e64 v[26:27], v[24:25]
	s_cbranch_execz .LBB43_34
; %bb.32:                               ;   in Loop: Header=BB43_30 Depth=1
	ds_load_b32 v33, v21
	v_mov_b32_e32 v32, v30
	s_mov_b32 s36, 0
.LBB43_33:                              ;   Parent Loop BB43_30 Depth=1
                                        ; =>  This Inner Loop Header: Depth=2
	ds_load_b32 v34, v32
	v_add_co_u32 v26, vcc_lo, v26, 32
	v_add_co_ci_u32_e32 v27, vcc_lo, 0, v27, vcc_lo
	s_waitcnt lgkmcnt(1)
	v_dual_max_f32 v33, v33, v33 :: v_dual_add_nc_u32 v32, 0x80, v32
	s_delay_alu instid0(VALU_DEP_2) | instskip(SKIP_3) | instid1(VALU_DEP_1)
	v_cmp_ge_i64_e32 vcc_lo, v[26:27], v[24:25]
	s_or_b32 s36, vcc_lo, s36
	s_waitcnt lgkmcnt(0)
	v_max_f32_e32 v34, v34, v34
	v_max_f32_e32 v33, v33, v34
	ds_store_b32 v21, v33
	s_and_not1_b32 exec_lo, exec_lo, s36
	s_cbranch_execnz .LBB43_33
.LBB43_34:                              ;   in Loop: Header=BB43_30 Depth=1
	s_or_b32 exec_lo, exec_lo, s3
	v_sub_co_u32 v22, vcc_lo, v24, v22
	v_sub_co_ci_u32_e32 v23, vcc_lo, v25, v23, vcc_lo
	s_mov_b32 s3, exec_lo
	s_delay_alu instid0(VALU_DEP_1) | instskip(SKIP_1) | instid1(VALU_DEP_1)
	v_cmp_gt_i64_e32 vcc_lo, 32, v[22:23]
	v_dual_cndmask_b32 v24, 0, v23 :: v_dual_cndmask_b32 v23, 32, v22
	v_cmpx_lt_i64_e64 v[11:12], v[23:24]
	s_cbranch_execz .LBB43_36
; %bb.35:                               ;   in Loop: Header=BB43_30 Depth=1
	v_dual_mov_b32 v22, s27 :: v_dual_add_nc_u32 v25, 64, v21
	v_mov_b32_e32 v26, s27
	flat_load_b32 v27, v[21:22] glc dlc
	s_waitcnt vmcnt(0)
	flat_load_b32 v25, v[25:26] glc dlc
	s_waitcnt vmcnt(0) lgkmcnt(0)
	v_dual_max_f32 v26, v27, v27 :: v_dual_max_f32 v25, v25, v25
	s_delay_alu instid0(VALU_DEP_1)
	v_max_f32_e32 v25, v26, v25
	flat_store_b32 v[21:22], v25 dlc
	s_waitcnt_vscnt null, 0x0
.LBB43_36:                              ;   in Loop: Header=BB43_30 Depth=1
	s_or_b32 exec_lo, exec_lo, s3
	s_delay_alu instid0(SALU_CYCLE_1)
	s_mov_b32 s3, exec_lo
	v_cmpx_lt_i64_e64 v[13:14], v[23:24]
	s_cbranch_execz .LBB43_38
; %bb.37:                               ;   in Loop: Header=BB43_30 Depth=1
	v_dual_mov_b32 v22, s27 :: v_dual_add_nc_u32 v25, 32, v21
	v_mov_b32_e32 v26, s27
	flat_load_b32 v27, v[21:22] glc dlc
	s_waitcnt vmcnt(0)
	flat_load_b32 v25, v[25:26] glc dlc
	s_waitcnt vmcnt(0) lgkmcnt(0)
	v_dual_max_f32 v26, v27, v27 :: v_dual_max_f32 v25, v25, v25
	s_delay_alu instid0(VALU_DEP_1)
	v_max_f32_e32 v25, v26, v25
	flat_store_b32 v[21:22], v25 dlc
	s_waitcnt_vscnt null, 0x0
.LBB43_38:                              ;   in Loop: Header=BB43_30 Depth=1
	s_or_b32 exec_lo, exec_lo, s3
	s_delay_alu instid0(SALU_CYCLE_1)
	s_mov_b32 s3, exec_lo
	v_cmpx_ge_i64_e64 v[15:16], v[23:24]
	s_xor_b32 s3, exec_lo, s3
; %bb.39:                               ;   in Loop: Header=BB43_30 Depth=1
                                        ; implicit-def: $vgpr21
; %bb.40:                               ;   in Loop: Header=BB43_30 Depth=1
	s_delay_alu instid0(SALU_CYCLE_1)
	s_and_not1_saveexec_b32 s3, s3
	s_cbranch_execz .LBB43_42
; %bb.41:                               ;   in Loop: Header=BB43_30 Depth=1
	v_dual_mov_b32 v22, s27 :: v_dual_add_nc_u32 v25, 16, v21
	v_mov_b32_e32 v26, s27
	flat_load_b32 v27, v[21:22] glc dlc
	s_waitcnt vmcnt(0)
	flat_load_b32 v25, v[25:26] glc dlc
	s_waitcnt vmcnt(0) lgkmcnt(0)
	v_dual_max_f32 v26, v27, v27 :: v_dual_max_f32 v25, v25, v25
	s_delay_alu instid0(VALU_DEP_1)
	v_max_f32_e32 v25, v26, v25
	flat_store_b32 v[21:22], v25 dlc
	s_waitcnt_vscnt null, 0x0
.LBB43_42:                              ;   in Loop: Header=BB43_30 Depth=1
	s_or_b32 exec_lo, exec_lo, s3
	v_lshlrev_b32_e32 v21, 2, v31
	s_mov_b32 s3, exec_lo
	v_cmpx_lt_i64_e64 v[17:18], v[23:24]
	s_cbranch_execz .LBB43_44
; %bb.43:                               ;   in Loop: Header=BB43_30 Depth=1
	s_delay_alu instid0(VALU_DEP_2)
	v_dual_mov_b32 v22, s27 :: v_dual_add_nc_u32 v25, 8, v21
	v_mov_b32_e32 v26, s27
	flat_load_b32 v27, v[21:22] glc dlc
	s_waitcnt vmcnt(0)
	flat_load_b32 v25, v[25:26] glc dlc
	s_waitcnt vmcnt(0) lgkmcnt(0)
	v_dual_max_f32 v26, v27, v27 :: v_dual_max_f32 v25, v25, v25
	s_delay_alu instid0(VALU_DEP_1)
	v_max_f32_e32 v25, v26, v25
	flat_store_b32 v[21:22], v25 dlc
	s_waitcnt_vscnt null, 0x0
.LBB43_44:                              ;   in Loop: Header=BB43_30 Depth=1
	s_or_b32 exec_lo, exec_lo, s3
	s_delay_alu instid0(SALU_CYCLE_1)
	s_mov_b32 s3, exec_lo
	v_cmpx_lt_i64_e64 v[19:20], v[23:24]
	s_cbranch_execz .LBB43_28
; %bb.45:                               ;   in Loop: Header=BB43_30 Depth=1
	v_dual_mov_b32 v22, s27 :: v_dual_add_nc_u32 v23, 4, v21
	v_mov_b32_e32 v24, s27
	flat_load_b32 v25, v[21:22] glc dlc
	s_waitcnt vmcnt(0)
	flat_load_b32 v23, v[23:24] glc dlc
	s_waitcnt vmcnt(0) lgkmcnt(0)
	v_dual_max_f32 v24, v25, v25 :: v_dual_max_f32 v23, v23, v23
	s_delay_alu instid0(VALU_DEP_1)
	v_max_f32_e32 v23, v24, v23
	flat_store_b32 v[21:22], v23 dlc
	s_waitcnt_vscnt null, 0x0
	s_branch .LBB43_28
.LBB43_46:
	s_load_b64 s[12:13], s[0:1], 0x40
	v_cmp_lt_i64_e32 vcc_lo, v[7:8], v[5:6]
	v_cmp_eq_u32_e64 s3, 0, v3
	s_waitcnt lgkmcnt(0)
	s_barrier
	buffer_gl0_inv
	s_and_b32 s9, s3, vcc_lo
	s_delay_alu instid0(SALU_CYCLE_1)
	s_and_saveexec_b32 s3, s9
	s_cbranch_execz .LBB43_53
; %bb.47:
	s_load_b64 s[0:1], s[0:1], 0x20
	ds_load_b32 v5, v29
	s_waitcnt lgkmcnt(0)
	s_cmp_eq_u64 s[0:1], 0
	s_cbranch_scc1 .LBB43_49
; %bb.48:
	s_load_b32 s0, s[0:1], 0x0
	v_max_f32_e32 v3, v5, v5
	s_waitcnt lgkmcnt(0)
	v_max_f32_e64 v4, s0, s0
	s_delay_alu instid0(VALU_DEP_1)
	v_min_f32_e32 v5, v3, v4
.LBB43_49:
	s_add_u32 s0, s12, s34
	s_addc_u32 s1, s13, 0
	s_add_u32 s18, s0, -1
	s_addc_u32 s19, s1, -1
	s_delay_alu instid0(SALU_CYCLE_1) | instskip(SKIP_1) | instid1(SALU_CYCLE_1)
	s_or_b64 s[20:21], s[18:19], s[12:13]
	s_mov_b32 s20, 0
	s_cmp_lg_u64 s[20:21], 0
	s_cbranch_scc0 .LBB43_194
; %bb.50:
	s_ashr_i32 s0, s13, 31
	s_delay_alu instid0(SALU_CYCLE_1) | instskip(SKIP_2) | instid1(SALU_CYCLE_1)
	s_add_u32 s22, s12, s0
	s_mov_b32 s1, s0
	s_addc_u32 s23, s13, s0
	s_xor_b64 s[0:1], s[22:23], s[0:1]
	s_delay_alu instid0(SALU_CYCLE_1) | instskip(SKIP_3) | instid1(VALU_DEP_1)
	v_cvt_f32_u32_e32 v3, s0
	v_cvt_f32_u32_e32 v4, s1
	s_sub_u32 s22, 0, s0
	s_subb_u32 s23, 0, s1
	v_fmamk_f32 v3, v4, 0x4f800000, v3
	s_delay_alu instid0(VALU_DEP_1) | instskip(SKIP_2) | instid1(VALU_DEP_1)
	v_rcp_f32_e32 v3, v3
	s_waitcnt_depctr 0xfff
	v_mul_f32_e32 v3, 0x5f7ffffc, v3
	v_mul_f32_e32 v4, 0x2f800000, v3
	s_delay_alu instid0(VALU_DEP_1) | instskip(NEXT) | instid1(VALU_DEP_1)
	v_trunc_f32_e32 v4, v4
	v_fmamk_f32 v3, v4, 0xcf800000, v3
	v_cvt_u32_f32_e32 v4, v4
	s_delay_alu instid0(VALU_DEP_2) | instskip(NEXT) | instid1(VALU_DEP_2)
	v_cvt_u32_f32_e32 v3, v3
	v_readfirstlane_b32 s9, v4
	s_delay_alu instid0(VALU_DEP_2) | instskip(NEXT) | instid1(VALU_DEP_2)
	v_readfirstlane_b32 s21, v3
	s_mul_i32 s24, s22, s9
	s_delay_alu instid0(VALU_DEP_1)
	s_mul_hi_u32 s26, s22, s21
	s_mul_i32 s25, s23, s21
	s_add_i32 s24, s26, s24
	s_mul_i32 s27, s22, s21
	s_add_i32 s24, s24, s25
	s_mul_hi_u32 s26, s21, s27
	s_mul_hi_u32 s35, s9, s27
	s_mul_i32 s25, s9, s27
	s_mul_hi_u32 s27, s21, s24
	s_mul_i32 s21, s21, s24
	s_mul_hi_u32 s36, s9, s24
	s_add_u32 s21, s26, s21
	s_addc_u32 s26, 0, s27
	s_add_u32 s21, s21, s25
	s_mul_i32 s24, s9, s24
	s_addc_u32 s21, s26, s35
	s_addc_u32 s25, s36, 0
	s_add_u32 s21, s21, s24
	s_addc_u32 s24, 0, s25
	v_add_co_u32 v3, s21, v3, s21
	s_delay_alu instid0(VALU_DEP_1) | instskip(SKIP_1) | instid1(VALU_DEP_1)
	s_cmp_lg_u32 s21, 0
	s_addc_u32 s9, s9, s24
	v_readfirstlane_b32 s21, v3
	s_mul_i32 s24, s22, s9
	s_delay_alu instid0(VALU_DEP_1)
	s_mul_hi_u32 s25, s22, s21
	s_mul_i32 s23, s23, s21
	s_add_i32 s24, s25, s24
	s_mul_i32 s22, s22, s21
	s_add_i32 s24, s24, s23
	s_mul_hi_u32 s25, s9, s22
	s_mul_i32 s26, s9, s22
	s_mul_hi_u32 s22, s21, s22
	s_mul_hi_u32 s27, s21, s24
	s_mul_i32 s21, s21, s24
	s_mul_hi_u32 s23, s9, s24
	s_add_u32 s21, s22, s21
	s_addc_u32 s22, 0, s27
	s_add_u32 s21, s21, s26
	s_mul_i32 s24, s9, s24
	s_addc_u32 s21, s22, s25
	s_addc_u32 s22, s23, 0
	s_add_u32 s21, s21, s24
	s_addc_u32 s22, 0, s22
	v_add_co_u32 v3, s21, v3, s21
	s_delay_alu instid0(VALU_DEP_1) | instskip(SKIP_2) | instid1(VALU_DEP_1)
	s_cmp_lg_u32 s21, 0
	s_addc_u32 s9, s9, s22
	s_ashr_i32 s22, s19, 31
	v_readfirstlane_b32 s21, v3
	s_add_u32 s24, s18, s22
	s_mov_b32 s23, s22
	s_addc_u32 s25, s19, s22
	s_delay_alu instid0(SALU_CYCLE_1) | instskip(NEXT) | instid1(SALU_CYCLE_1)
	s_xor_b64 s[24:25], s[24:25], s[22:23]
	s_mul_i32 s26, s24, s9
	s_mul_hi_u32 s27, s24, s21
	s_mul_hi_u32 s23, s24, s9
	;; [unrolled: 1-line block ×3, first 2 shown]
	s_mul_i32 s21, s25, s21
	s_add_u32 s26, s27, s26
	s_addc_u32 s23, 0, s23
	s_mul_hi_u32 s35, s25, s9
	s_add_u32 s21, s26, s21
	s_mul_i32 s9, s25, s9
	s_addc_u32 s21, s23, s36
	s_addc_u32 s23, s35, 0
	s_add_u32 s9, s21, s9
	s_addc_u32 s21, 0, s23
	s_mul_hi_u32 s23, s0, s9
	s_mul_i32 s21, s0, s21
	s_mul_i32 s26, s1, s9
	;; [unrolled: 1-line block ×3, first 2 shown]
	s_add_i32 s21, s23, s21
	v_sub_co_u32 v3, s9, s24, s9
	s_add_i32 s21, s21, s26
	s_delay_alu instid0(SALU_CYCLE_1) | instskip(SKIP_1) | instid1(VALU_DEP_1)
	s_sub_i32 s23, s25, s21
	s_cmp_lg_u32 s9, 0
	v_sub_co_u32 v4, s24, v3, s0
	s_subb_u32 s23, s23, s1
	s_cmp_lg_u32 s24, 0
	s_subb_u32 s26, s23, 0
	s_delay_alu instid0(VALU_DEP_1)
	v_cmp_le_u32_e32 vcc_lo, s0, v4
	s_cmp_ge_u32 s26, s1
	s_cselect_b32 s27, -1, 0
	s_cmp_eq_u32 s26, s1
	v_cndmask_b32_e64 v6, 0, -1, vcc_lo
	s_cselect_b32 vcc_lo, -1, 0
	s_cmp_lg_u32 s24, 0
	v_sub_co_u32 v7, s24, v4, s0
	s_subb_u32 s23, s23, s1
	s_cmp_lg_u32 s24, 0
	v_cndmask_b32_e32 v6, s27, v6, vcc_lo
	s_subb_u32 s23, s23, 0
	s_cmp_lg_u32 s9, 0
	v_cmp_le_u32_e32 vcc_lo, s0, v3
	s_subb_u32 s9, s25, s21
	s_delay_alu instid0(SALU_CYCLE_1)
	s_cmp_ge_u32 s9, s1
	v_cndmask_b32_e64 v8, 0, -1, vcc_lo
	s_cselect_b32 s21, -1, 0
	s_cmp_eq_u32 s9, s1
	v_cmp_ne_u32_e32 vcc_lo, 0, v6
	v_mov_b32_e32 v6, s23
	s_cselect_b32 s0, -1, 0
	s_delay_alu instid0(SALU_CYCLE_1) | instskip(SKIP_1) | instid1(VALU_DEP_3)
	v_cndmask_b32_e64 v8, s21, v8, s0
	v_cndmask_b32_e32 v4, v4, v7, vcc_lo
	v_cndmask_b32_e32 v6, s26, v6, vcc_lo
	s_delay_alu instid0(VALU_DEP_3) | instskip(NEXT) | instid1(VALU_DEP_3)
	v_cmp_ne_u32_e32 vcc_lo, 0, v8
	v_cndmask_b32_e32 v3, v3, v4, vcc_lo
	s_delay_alu instid0(VALU_DEP_3) | instskip(NEXT) | instid1(VALU_DEP_2)
	v_cndmask_b32_e32 v6, s9, v6, vcc_lo
	v_xor_b32_e32 v3, s22, v3
	s_delay_alu instid0(VALU_DEP_2) | instskip(NEXT) | instid1(VALU_DEP_2)
	v_xor_b32_e32 v4, s22, v6
	v_sub_co_u32 v3, vcc_lo, v3, s22
	s_delay_alu instid0(VALU_DEP_2)
	v_subrev_co_ci_u32_e32 v4, vcc_lo, s22, v4, vcc_lo
	s_and_not1_b32 vcc_lo, exec_lo, s20
	s_cbranch_vccnz .LBB43_52
.LBB43_51:
	v_cvt_f32_u32_e32 v3, s12
	s_sub_i32 s0, 0, s12
	s_delay_alu instid0(VALU_DEP_1) | instskip(SKIP_2) | instid1(VALU_DEP_1)
	v_rcp_iflag_f32_e32 v3, v3
	s_waitcnt_depctr 0xfff
	v_mul_f32_e32 v3, 0x4f7ffffe, v3
	v_cvt_u32_f32_e32 v3, v3
	s_delay_alu instid0(VALU_DEP_1) | instskip(NEXT) | instid1(VALU_DEP_1)
	v_mul_lo_u32 v4, s0, v3
	v_mul_hi_u32 v4, v3, v4
	s_delay_alu instid0(VALU_DEP_1) | instskip(NEXT) | instid1(VALU_DEP_1)
	v_add_nc_u32_e32 v3, v3, v4
	v_mul_hi_u32 v3, s18, v3
	s_delay_alu instid0(VALU_DEP_1) | instskip(NEXT) | instid1(VALU_DEP_1)
	v_mul_lo_u32 v3, v3, s12
	v_sub_nc_u32_e32 v3, s18, v3
	s_delay_alu instid0(VALU_DEP_1) | instskip(SKIP_1) | instid1(VALU_DEP_2)
	v_subrev_nc_u32_e32 v4, s12, v3
	v_cmp_le_u32_e32 vcc_lo, s12, v3
	v_cndmask_b32_e32 v3, v3, v4, vcc_lo
	s_delay_alu instid0(VALU_DEP_1) | instskip(SKIP_1) | instid1(VALU_DEP_2)
	v_subrev_nc_u32_e32 v4, s12, v3
	v_cmp_le_u32_e32 vcc_lo, s12, v3
	v_dual_cndmask_b32 v3, v3, v4 :: v_dual_mov_b32 v4, 0
.LBB43_52:
	v_div_scale_f32 v6, null, 0x43600000, 0x43600000, v5
	v_div_scale_f32 v9, vcc_lo, v5, 0x43600000, v5
	s_delay_alu instid0(VALU_DEP_3) | instskip(NEXT) | instid1(VALU_DEP_3)
	v_sub_co_u32 v10, s0, s18, v3
	v_rcp_f32_e32 v7, v6
	v_sub_co_ci_u32_e64 v3, s0, s19, v4, s0
	s_lshl_b64 s[0:1], s[16:17], 2
	s_delay_alu instid0(SALU_CYCLE_1) | instskip(NEXT) | instid1(VALU_DEP_1)
	s_add_u32 s0, s0, s6
	v_mul_lo_u32 v11, v3, v1
	s_addc_u32 s1, s1, s7
	s_waitcnt_depctr 0xfff
	v_fma_f32 v8, -v6, v7, 1.0
	s_delay_alu instid0(VALU_DEP_1) | instskip(NEXT) | instid1(VALU_DEP_1)
	v_fmac_f32_e32 v7, v8, v7
	v_mul_f32_e32 v8, v9, v7
	s_delay_alu instid0(VALU_DEP_1) | instskip(NEXT) | instid1(VALU_DEP_1)
	v_fma_f32 v4, -v6, v8, v9
	v_fmac_f32_e32 v8, v4, v7
	v_mul_lo_u32 v4, v10, v2
	v_mad_u64_u32 v[2:3], null, v10, v1, 0
	s_delay_alu instid0(VALU_DEP_3) | instskip(NEXT) | instid1(VALU_DEP_2)
	v_fma_f32 v1, -v6, v8, v9
	v_add3_u32 v3, v3, v4, v11
	s_delay_alu instid0(VALU_DEP_2) | instskip(NEXT) | instid1(VALU_DEP_1)
	v_div_fmas_f32 v1, v1, v7, v8
	v_div_fixup_f32 v4, v1, 0x43600000, v5
	s_delay_alu instid0(VALU_DEP_3) | instskip(NEXT) | instid1(VALU_DEP_2)
	v_lshlrev_b64 v[1:2], 2, v[2:3]
	v_max_f32_e32 v3, 0x37124925, v4
	s_delay_alu instid0(VALU_DEP_2) | instskip(NEXT) | instid1(VALU_DEP_3)
	v_add_co_u32 v1, vcc_lo, s0, v1
	v_add_co_ci_u32_e32 v2, vcc_lo, s1, v2, vcc_lo
	global_store_b32 v[1:2], v3, off
.LBB43_53:
	s_or_b32 exec_lo, exec_lo, s3
	s_waitcnt_vscnt null, 0x0
	s_barrier
	buffer_gl0_inv
	s_and_saveexec_b32 s0, s2
	s_cbranch_execz .LBB43_193
; %bb.54:
	s_add_u32 s0, s12, s34
	s_addc_u32 s1, s13, 0
	s_add_u32 s2, s0, -1
	s_addc_u32 s3, s1, -1
	s_delay_alu instid0(SALU_CYCLE_1) | instskip(SKIP_1) | instid1(SALU_CYCLE_1)
	s_or_b64 s[18:19], s[2:3], s[12:13]
	s_mov_b32 s18, 0
	s_cmp_lg_u64 s[18:19], 0
	s_cbranch_scc0 .LBB43_195
; %bb.55:
	s_ashr_i32 s0, s13, 31
	s_delay_alu instid0(SALU_CYCLE_1) | instskip(SKIP_2) | instid1(SALU_CYCLE_1)
	s_add_u32 s20, s12, s0
	s_mov_b32 s1, s0
	s_addc_u32 s21, s13, s0
	s_xor_b64 s[0:1], s[20:21], s[0:1]
	s_delay_alu instid0(SALU_CYCLE_1) | instskip(SKIP_3) | instid1(VALU_DEP_1)
	v_cvt_f32_u32_e32 v1, s0
	v_cvt_f32_u32_e32 v2, s1
	s_sub_u32 s19, 0, s0
	s_subb_u32 s20, 0, s1
	v_fmamk_f32 v1, v2, 0x4f800000, v1
	s_delay_alu instid0(VALU_DEP_1) | instskip(SKIP_2) | instid1(VALU_DEP_1)
	v_rcp_f32_e32 v1, v1
	s_waitcnt_depctr 0xfff
	v_mul_f32_e32 v1, 0x5f7ffffc, v1
	v_mul_f32_e32 v2, 0x2f800000, v1
	s_delay_alu instid0(VALU_DEP_1) | instskip(NEXT) | instid1(VALU_DEP_1)
	v_trunc_f32_e32 v2, v2
	v_fmamk_f32 v1, v2, 0xcf800000, v1
	v_cvt_u32_f32_e32 v2, v2
	s_delay_alu instid0(VALU_DEP_2) | instskip(NEXT) | instid1(VALU_DEP_2)
	v_cvt_u32_f32_e32 v1, v1
	v_readfirstlane_b32 s9, v2
	s_delay_alu instid0(VALU_DEP_2) | instskip(NEXT) | instid1(VALU_DEP_2)
	v_readfirstlane_b32 s13, v1
	s_mul_i32 s21, s19, s9
	s_delay_alu instid0(VALU_DEP_1)
	s_mul_hi_u32 s23, s19, s13
	s_mul_i32 s22, s20, s13
	s_add_i32 s21, s23, s21
	s_mul_i32 s24, s19, s13
	s_add_i32 s21, s21, s22
	s_mul_hi_u32 s23, s13, s24
	s_mul_hi_u32 s25, s9, s24
	s_mul_i32 s22, s9, s24
	s_mul_hi_u32 s24, s13, s21
	s_mul_i32 s13, s13, s21
	s_mul_hi_u32 s26, s9, s21
	s_add_u32 s13, s23, s13
	s_addc_u32 s23, 0, s24
	s_add_u32 s13, s13, s22
	s_mul_i32 s21, s9, s21
	s_addc_u32 s13, s23, s25
	s_addc_u32 s22, s26, 0
	s_add_u32 s13, s13, s21
	s_addc_u32 s21, 0, s22
	v_add_co_u32 v1, s13, v1, s13
	s_delay_alu instid0(VALU_DEP_1) | instskip(SKIP_1) | instid1(VALU_DEP_1)
	s_cmp_lg_u32 s13, 0
	s_addc_u32 s9, s9, s21
	v_readfirstlane_b32 s13, v1
	s_mul_i32 s21, s19, s9
	s_delay_alu instid0(VALU_DEP_1)
	s_mul_hi_u32 s22, s19, s13
	s_mul_i32 s20, s20, s13
	s_add_i32 s21, s22, s21
	s_mul_i32 s19, s19, s13
	s_add_i32 s21, s21, s20
	s_mul_hi_u32 s22, s9, s19
	s_mul_i32 s23, s9, s19
	s_mul_hi_u32 s19, s13, s19
	s_mul_hi_u32 s24, s13, s21
	s_mul_i32 s13, s13, s21
	s_mul_hi_u32 s20, s9, s21
	s_add_u32 s13, s19, s13
	s_addc_u32 s19, 0, s24
	s_add_u32 s13, s13, s23
	s_mul_i32 s21, s9, s21
	s_addc_u32 s13, s19, s22
	s_addc_u32 s19, s20, 0
	s_add_u32 s13, s13, s21
	s_addc_u32 s19, 0, s19
	v_add_co_u32 v1, s13, v1, s13
	s_delay_alu instid0(VALU_DEP_1) | instskip(SKIP_2) | instid1(VALU_DEP_1)
	s_cmp_lg_u32 s13, 0
	s_addc_u32 s9, s9, s19
	s_ashr_i32 s20, s3, 31
	v_readfirstlane_b32 s13, v1
	s_add_u32 s22, s2, s20
	s_mov_b32 s21, s20
	s_addc_u32 s23, s3, s20
	s_delay_alu instid0(SALU_CYCLE_1) | instskip(NEXT) | instid1(SALU_CYCLE_1)
	s_xor_b64 s[22:23], s[22:23], s[20:21]
	s_mul_i32 s21, s22, s9
	s_mul_hi_u32 s24, s22, s13
	s_mul_hi_u32 s19, s22, s9
	;; [unrolled: 1-line block ×3, first 2 shown]
	s_mul_i32 s13, s23, s13
	s_add_u32 s21, s24, s21
	s_addc_u32 s19, 0, s19
	s_mul_hi_u32 s25, s23, s9
	s_add_u32 s13, s21, s13
	s_mul_i32 s9, s23, s9
	s_addc_u32 s13, s19, s26
	s_addc_u32 s19, s25, 0
	s_add_u32 s9, s13, s9
	s_addc_u32 s13, 0, s19
	s_mul_hi_u32 s19, s0, s9
	s_mul_i32 s13, s0, s13
	s_mul_i32 s21, s1, s9
	;; [unrolled: 1-line block ×3, first 2 shown]
	s_add_i32 s13, s19, s13
	v_sub_co_u32 v1, s9, s22, s9
	s_add_i32 s13, s13, s21
	s_delay_alu instid0(SALU_CYCLE_1) | instskip(SKIP_1) | instid1(VALU_DEP_1)
	s_sub_i32 s19, s23, s13
	s_cmp_lg_u32 s9, 0
	v_sub_co_u32 v2, s21, v1, s0
	s_subb_u32 s19, s19, s1
	s_cmp_lg_u32 s21, 0
	s_subb_u32 s22, s19, 0
	s_delay_alu instid0(VALU_DEP_1)
	v_cmp_le_u32_e32 vcc_lo, s0, v2
	s_cmp_ge_u32 s22, s1
	s_cselect_b32 s24, -1, 0
	s_cmp_eq_u32 s22, s1
	v_cndmask_b32_e64 v3, 0, -1, vcc_lo
	s_cselect_b32 vcc_lo, -1, 0
	s_cmp_lg_u32 s21, 0
	v_sub_co_u32 v4, s21, v2, s0
	s_subb_u32 s19, s19, s1
	s_cmp_lg_u32 s21, 0
	v_cndmask_b32_e32 v3, s24, v3, vcc_lo
	s_subb_u32 s19, s19, 0
	s_cmp_lg_u32 s9, 0
	v_cmp_le_u32_e32 vcc_lo, s0, v1
	s_subb_u32 s9, s23, s13
	s_delay_alu instid0(SALU_CYCLE_1)
	s_cmp_ge_u32 s9, s1
	v_cndmask_b32_e64 v5, 0, -1, vcc_lo
	s_cselect_b32 s13, -1, 0
	s_cmp_eq_u32 s9, s1
	v_cmp_ne_u32_e32 vcc_lo, 0, v3
	v_mov_b32_e32 v3, s19
	s_cselect_b32 s0, -1, 0
	s_delay_alu instid0(SALU_CYCLE_1) | instskip(SKIP_1) | instid1(VALU_DEP_3)
	v_cndmask_b32_e64 v5, s13, v5, s0
	v_cndmask_b32_e32 v2, v2, v4, vcc_lo
	v_cndmask_b32_e32 v3, s22, v3, vcc_lo
	s_delay_alu instid0(VALU_DEP_3) | instskip(NEXT) | instid1(VALU_DEP_3)
	v_cmp_ne_u32_e32 vcc_lo, 0, v5
	v_cndmask_b32_e32 v1, v1, v2, vcc_lo
	s_delay_alu instid0(VALU_DEP_3) | instskip(NEXT) | instid1(VALU_DEP_2)
	v_cndmask_b32_e32 v3, s9, v3, vcc_lo
	v_xor_b32_e32 v1, s20, v1
	s_delay_alu instid0(VALU_DEP_2) | instskip(NEXT) | instid1(VALU_DEP_2)
	v_xor_b32_e32 v2, s20, v3
	v_sub_co_u32 v1, vcc_lo, v1, s20
	s_delay_alu instid0(VALU_DEP_2)
	v_subrev_co_ci_u32_e32 v2, vcc_lo, s20, v2, vcc_lo
	s_and_not1_b32 vcc_lo, exec_lo, s18
	s_cbranch_vccnz .LBB43_57
.LBB43_56:
	v_cvt_f32_u32_e32 v1, s12
	s_sub_i32 s0, 0, s12
	s_delay_alu instid0(VALU_DEP_1) | instskip(SKIP_2) | instid1(VALU_DEP_1)
	v_rcp_iflag_f32_e32 v1, v1
	s_waitcnt_depctr 0xfff
	v_mul_f32_e32 v1, 0x4f7ffffe, v1
	v_cvt_u32_f32_e32 v1, v1
	s_delay_alu instid0(VALU_DEP_1) | instskip(NEXT) | instid1(VALU_DEP_1)
	v_mul_lo_u32 v2, s0, v1
	v_mul_hi_u32 v2, v1, v2
	s_delay_alu instid0(VALU_DEP_1) | instskip(NEXT) | instid1(VALU_DEP_1)
	v_add_nc_u32_e32 v1, v1, v2
	v_mul_hi_u32 v1, s2, v1
	s_delay_alu instid0(VALU_DEP_1) | instskip(NEXT) | instid1(VALU_DEP_1)
	v_mul_lo_u32 v1, v1, s12
	v_sub_nc_u32_e32 v1, s2, v1
	s_delay_alu instid0(VALU_DEP_1) | instskip(SKIP_1) | instid1(VALU_DEP_2)
	v_subrev_nc_u32_e32 v2, s12, v1
	v_cmp_le_u32_e32 vcc_lo, s12, v1
	v_cndmask_b32_e32 v1, v1, v2, vcc_lo
	s_delay_alu instid0(VALU_DEP_1) | instskip(SKIP_1) | instid1(VALU_DEP_2)
	v_subrev_nc_u32_e32 v2, s12, v1
	v_cmp_le_u32_e32 vcc_lo, s12, v1
	v_dual_cndmask_b32 v1, v1, v2 :: v_dual_mov_b32 v2, 0
.LBB43_57:
	s_delay_alu instid0(VALU_DEP_1)
	v_sub_co_u32 v7, vcc_lo, s2, v1
	s_add_u32 s0, s4, s14
	s_addc_u32 s1, s5, s15
	s_lshl_b64 s[4:5], s[16:17], 2
	v_sub_co_ci_u32_e32 v8, vcc_lo, s3, v2, vcc_lo
	v_mov_b32_e32 v1, 0
	s_add_u32 s4, s6, s4
	s_addc_u32 s5, s7, s5
	s_mul_i32 s2, s33, 3
	s_lshl_b32 s3, s33, 1
	s_mov_b32 s6, 0
	s_mov_b32 s7, 0x43600000
	s_branch .LBB43_63
.LBB43_58:                              ;   in Loop: Header=BB43_63 Depth=1
	s_or_b32 exec_lo, exec_lo, s16
.LBB43_59:                              ;   in Loop: Header=BB43_63 Depth=1
	s_delay_alu instid0(SALU_CYCLE_1)
	s_or_b32 exec_lo, exec_lo, s14
	v_lshlrev_b64 v[4:5], 2, v[0:1]
	v_lshlrev_b32_e32 v10, 16, v11
	v_lshlrev_b32_e32 v9, 8, v9
	s_add_i32 s14, s33, s33
	v_and_b32_e32 v6, 0xff, v6
	v_add3_u32 v0, s14, s33, v2
	v_perm_b32 v10, v3, v10, 0x4020c0c
	v_and_b32_e32 v9, 0xff00, v9
	v_add_co_u32 v2, vcc_lo, s0, v4
	v_add_co_ci_u32_e32 v3, vcc_lo, s1, v5, vcc_lo
	v_cmp_le_u32_e32 vcc_lo, s8, v0
	s_delay_alu instid0(VALU_DEP_4)
	v_or3_b32 v4, v10, v9, v6
	s_or_not1_b32 s14, vcc_lo, exec_lo
	global_store_b32 v[2:3], v4, off
.LBB43_60:                              ;   in Loop: Header=BB43_63 Depth=1
	s_or_b32 exec_lo, exec_lo, s13
	s_delay_alu instid0(SALU_CYCLE_1)
	s_or_not1_b32 s13, s14, exec_lo
.LBB43_61:                              ;   in Loop: Header=BB43_63 Depth=1
	s_or_b32 exec_lo, exec_lo, s12
	s_delay_alu instid0(SALU_CYCLE_1)
	s_or_not1_b32 s12, s13, exec_lo
.LBB43_62:                              ;   in Loop: Header=BB43_63 Depth=1
	s_or_b32 exec_lo, exec_lo, s9
	s_delay_alu instid0(SALU_CYCLE_1) | instskip(NEXT) | instid1(SALU_CYCLE_1)
	s_and_b32 s9, exec_lo, s12
	s_or_b32 s6, s9, s6
	s_delay_alu instid0(SALU_CYCLE_1)
	s_and_not1_b32 exec_lo, exec_lo, s6
	s_cbranch_execz .LBB43_193
.LBB43_63:                              ; =>This Inner Loop Header: Depth=1
	v_lshlrev_b64 v[2:3], 3, v[0:1]
	v_bfe_u32 v6, v0, 5, 25
	s_mov_b32 s9, exec_lo
	s_delay_alu instid0(VALU_DEP_1) | instskip(NEXT) | instid1(VALU_DEP_3)
	v_mad_u64_u32 v[4:5], null, v7, v6, 0
	v_add_co_u32 v9, vcc_lo, s28, v2
	s_delay_alu instid0(VALU_DEP_4)
	v_add_co_ci_u32_e32 v10, vcc_lo, s29, v3, vcc_lo
	v_add_co_u32 v14, vcc_lo, s30, v2
	v_add_co_ci_u32_e32 v15, vcc_lo, s31, v3, vcc_lo
	v_mad_u64_u32 v[11:12], null, v8, v6, v[5:6]
	global_load_b64 v[9:10], v[9:10], off
	global_load_b64 v[12:13], v[14:15], off
	v_add_co_u32 v2, vcc_lo, s10, v2
	v_add_co_ci_u32_e32 v3, vcc_lo, s11, v3, vcc_lo
	v_mov_b32_e32 v5, v11
	global_load_b64 v[2:3], v[2:3], off
	v_lshlrev_b64 v[4:5], 2, v[4:5]
	s_delay_alu instid0(VALU_DEP_1) | instskip(NEXT) | instid1(VALU_DEP_2)
	v_add_co_u32 v4, vcc_lo, s4, v4
	v_add_co_ci_u32_e32 v5, vcc_lo, s5, v5, vcc_lo
	global_load_b32 v4, v[4:5], off
	s_waitcnt vmcnt(3)
	v_cvt_f32_f16_e32 v5, v9
	s_waitcnt vmcnt(2)
	v_cvt_f32_f16_e32 v6, v12
	v_lshrrev_b32_e32 v9, 16, v9
	v_lshrrev_b32_e32 v12, 16, v12
	s_delay_alu instid0(VALU_DEP_3) | instskip(NEXT) | instid1(VALU_DEP_2)
	v_add_f32_e32 v5, v5, v6
	v_cvt_f32_f16_e32 v12, v12
	s_delay_alu instid0(VALU_DEP_2) | instskip(SKIP_1) | instid1(VALU_DEP_1)
	v_fma_mixlo_f16 v6, v28, v5, 0
	s_waitcnt vmcnt(1)
	v_mul_f16_e32 v6, v2, v6
	s_delay_alu instid0(VALU_DEP_1) | instskip(SKIP_1) | instid1(VALU_DEP_1)
	v_cvt_f32_f16_e32 v6, v6
	s_waitcnt vmcnt(0)
	v_div_scale_f32 v11, null, v4, v4, v6
	v_div_scale_f32 v18, vcc_lo, v6, v4, v6
	s_delay_alu instid0(VALU_DEP_2) | instskip(SKIP_2) | instid1(VALU_DEP_1)
	v_rcp_f32_e32 v16, v11
	s_waitcnt_depctr 0xfff
	v_fma_f32 v17, -v11, v16, 1.0
	v_fmac_f32_e32 v16, v17, v16
	s_delay_alu instid0(VALU_DEP_1) | instskip(NEXT) | instid1(VALU_DEP_1)
	v_mul_f32_e32 v17, v18, v16
	v_fma_f32 v19, -v11, v17, v18
	s_delay_alu instid0(VALU_DEP_1) | instskip(SKIP_2) | instid1(VALU_DEP_3)
	v_fmac_f32_e32 v17, v19, v16
	v_lshrrev_b32_e32 v19, 16, v10
	v_cvt_f32_f16_e32 v10, v10
	v_fma_f32 v11, -v11, v17, v18
	v_lshrrev_b32_e32 v18, 16, v13
	v_cvt_f32_f16_e32 v13, v13
	s_delay_alu instid0(VALU_DEP_3)
	v_div_fmas_f32 v11, v11, v16, v17
	v_cvt_f32_f16_e32 v16, v9
	v_cvt_f32_f16_e32 v9, v19
	;; [unrolled: 1-line block ×3, first 2 shown]
	v_add_f32_e32 v10, v10, v13
	v_div_fixup_f32 v6, v11, v4, v6
	v_add_f32_e32 v11, v16, v12
	s_delay_alu instid0(VALU_DEP_4) | instskip(NEXT) | instid1(VALU_DEP_4)
	v_add_f32_e32 v9, v9, v17
	v_cvt_f16_f32_e32 v16, v10
	s_delay_alu instid0(VALU_DEP_4)
	v_minmax_f32 v12, v6, s7, 0xc3600000
	v_cvt_f16_f32_e32 v6, v5
	v_cvt_f16_f32_e32 v18, v11
	;; [unrolled: 1-line block ×3, first 2 shown]
	v_mov_b32_e32 v5, 0x80
	v_and_b32_e32 v13, 0x7fffffff, v12
	s_delay_alu instid0(VALU_DEP_3)
	v_pack_b32_f16 v17, v16, v17
	v_pack_b32_f16 v16, v6, v18
	v_mov_b32_e32 v6, 0x80
	global_store_b64 v[14:15], v[16:17], off
	v_cmpx_gt_u32_e32 0x43800000, v13
	s_cbranch_execz .LBB43_69
; %bb.64:                               ;   in Loop: Header=BB43_63 Depth=1
	v_cmp_lt_u32_e32 vcc_lo, 0x3bffffff, v13
	s_mov_b32 s12, 0
                                        ; implicit-def: $vgpr13
	s_and_saveexec_b32 s13, vcc_lo
	s_delay_alu instid0(SALU_CYCLE_1)
	s_xor_b32 s13, exec_lo, s13
	s_cbranch_execnz .LBB43_160
; %bb.65:                               ;   in Loop: Header=BB43_63 Depth=1
	s_or_saveexec_b32 s13, s13
                                        ; implicit-def: $sgpr14
	s_delay_alu instid0(SALU_CYCLE_1)
	s_xor_b32 exec_lo, exec_lo, s13
	s_cbranch_execnz .LBB43_161
.LBB43_66:                              ;   in Loop: Header=BB43_63 Depth=1
	s_or_b32 exec_lo, exec_lo, s13
	v_mov_b32_e32 v6, s14
	s_and_saveexec_b32 s13, s12
.LBB43_67:                              ;   in Loop: Header=BB43_63 Depth=1
	v_lshrrev_b32_e32 v6, 24, v12
	s_delay_alu instid0(VALU_DEP_1)
	v_and_or_b32 v6, 0x80, v6, v13
.LBB43_68:                              ;   in Loop: Header=BB43_63 Depth=1
	s_or_b32 exec_lo, exec_lo, s13
.LBB43_69:                              ;   in Loop: Header=BB43_63 Depth=1
	s_delay_alu instid0(SALU_CYCLE_1) | instskip(SKIP_3) | instid1(VALU_DEP_1)
	s_or_b32 exec_lo, exec_lo, s9
	v_lshrrev_b32_e32 v2, 16, v2
	v_fma_mixlo_f16 v11, v28, v11, 0
	s_mov_b32 s9, exec_lo
	v_mul_f16_e32 v2, v2, v11
	s_delay_alu instid0(VALU_DEP_1) | instskip(NEXT) | instid1(VALU_DEP_1)
	v_cvt_f32_f16_e32 v2, v2
	v_div_scale_f32 v11, null, v4, v4, v2
	s_delay_alu instid0(VALU_DEP_1) | instskip(SKIP_2) | instid1(VALU_DEP_1)
	v_rcp_f32_e32 v12, v11
	s_waitcnt_depctr 0xfff
	v_fma_f32 v13, -v11, v12, 1.0
	v_fmac_f32_e32 v12, v13, v12
	v_div_scale_f32 v13, vcc_lo, v2, v4, v2
	s_delay_alu instid0(VALU_DEP_1) | instskip(NEXT) | instid1(VALU_DEP_1)
	v_mul_f32_e32 v14, v13, v12
	v_fma_f32 v15, -v11, v14, v13
	s_delay_alu instid0(VALU_DEP_1) | instskip(NEXT) | instid1(VALU_DEP_1)
	v_fmac_f32_e32 v14, v15, v12
	v_fma_f32 v11, -v11, v14, v13
	s_delay_alu instid0(VALU_DEP_1) | instskip(NEXT) | instid1(VALU_DEP_1)
	v_div_fmas_f32 v11, v11, v12, v14
	v_div_fixup_f32 v2, v11, v4, v2
	s_delay_alu instid0(VALU_DEP_1) | instskip(NEXT) | instid1(VALU_DEP_1)
	v_minmax_f32 v2, v2, s7, 0xc3600000
	v_and_b32_e32 v11, 0x7fffffff, v2
	s_delay_alu instid0(VALU_DEP_1)
	v_cmpx_gt_u32_e32 0x43800000, v11
	s_cbranch_execz .LBB43_75
; %bb.70:                               ;   in Loop: Header=BB43_63 Depth=1
	v_cmp_lt_u32_e32 vcc_lo, 0x3bffffff, v11
	s_mov_b32 s12, 0
                                        ; implicit-def: $vgpr11
	s_and_saveexec_b32 s13, vcc_lo
	s_delay_alu instid0(SALU_CYCLE_1)
	s_xor_b32 s13, exec_lo, s13
	s_cbranch_execnz .LBB43_162
; %bb.71:                               ;   in Loop: Header=BB43_63 Depth=1
	s_or_saveexec_b32 s13, s13
                                        ; implicit-def: $sgpr14
	s_delay_alu instid0(SALU_CYCLE_1)
	s_xor_b32 exec_lo, exec_lo, s13
	s_cbranch_execnz .LBB43_163
.LBB43_72:                              ;   in Loop: Header=BB43_63 Depth=1
	s_or_b32 exec_lo, exec_lo, s13
	v_mov_b32_e32 v5, s14
	s_and_saveexec_b32 s13, s12
.LBB43_73:                              ;   in Loop: Header=BB43_63 Depth=1
	v_lshrrev_b32_e32 v2, 24, v2
	s_delay_alu instid0(VALU_DEP_1)
	v_and_or_b32 v5, 0x80, v2, v11
.LBB43_74:                              ;   in Loop: Header=BB43_63 Depth=1
	s_or_b32 exec_lo, exec_lo, s13
.LBB43_75:                              ;   in Loop: Header=BB43_63 Depth=1
	s_delay_alu instid0(SALU_CYCLE_1) | instskip(SKIP_2) | instid1(VALU_DEP_1)
	s_or_b32 exec_lo, exec_lo, s9
	v_fma_mixlo_f16 v2, v28, v10, 0
	s_mov_b32 s9, exec_lo
	v_mul_f16_e32 v2, v3, v2
	s_delay_alu instid0(VALU_DEP_1) | instskip(NEXT) | instid1(VALU_DEP_1)
	v_cvt_f32_f16_e32 v2, v2
	v_div_scale_f32 v10, null, v4, v4, v2
	v_div_scale_f32 v13, vcc_lo, v2, v4, v2
	s_delay_alu instid0(VALU_DEP_2) | instskip(SKIP_2) | instid1(VALU_DEP_1)
	v_rcp_f32_e32 v11, v10
	s_waitcnt_depctr 0xfff
	v_fma_f32 v12, -v10, v11, 1.0
	v_fmac_f32_e32 v11, v12, v11
	s_delay_alu instid0(VALU_DEP_1) | instskip(NEXT) | instid1(VALU_DEP_1)
	v_mul_f32_e32 v12, v13, v11
	v_fma_f32 v14, -v10, v12, v13
	s_delay_alu instid0(VALU_DEP_1) | instskip(NEXT) | instid1(VALU_DEP_1)
	v_fmac_f32_e32 v12, v14, v11
	v_fma_f32 v10, -v10, v12, v13
	s_delay_alu instid0(VALU_DEP_1) | instskip(NEXT) | instid1(VALU_DEP_1)
	v_div_fmas_f32 v10, v10, v11, v12
	v_div_fixup_f32 v2, v10, v4, v2
	v_mov_b32_e32 v10, 0x80
	s_delay_alu instid0(VALU_DEP_2) | instskip(SKIP_1) | instid1(VALU_DEP_2)
	v_minmax_f32 v11, v2, s7, 0xc3600000
	v_mov_b32_e32 v2, 0x80
	v_and_b32_e32 v12, 0x7fffffff, v11
	s_delay_alu instid0(VALU_DEP_1)
	v_cmpx_gt_u32_e32 0x43800000, v12
	s_cbranch_execz .LBB43_81
; %bb.76:                               ;   in Loop: Header=BB43_63 Depth=1
	v_cmp_lt_u32_e32 vcc_lo, 0x3bffffff, v12
	s_mov_b32 s12, 0
                                        ; implicit-def: $vgpr12
	s_and_saveexec_b32 s13, vcc_lo
	s_delay_alu instid0(SALU_CYCLE_1)
	s_xor_b32 s13, exec_lo, s13
	s_cbranch_execnz .LBB43_164
; %bb.77:                               ;   in Loop: Header=BB43_63 Depth=1
	s_or_saveexec_b32 s13, s13
                                        ; implicit-def: $sgpr14
	s_delay_alu instid0(SALU_CYCLE_1)
	s_xor_b32 exec_lo, exec_lo, s13
	s_cbranch_execnz .LBB43_165
.LBB43_78:                              ;   in Loop: Header=BB43_63 Depth=1
	s_or_b32 exec_lo, exec_lo, s13
	v_mov_b32_e32 v10, s14
	s_and_saveexec_b32 s13, s12
.LBB43_79:                              ;   in Loop: Header=BB43_63 Depth=1
	v_lshrrev_b32_e32 v10, 24, v11
	s_delay_alu instid0(VALU_DEP_1)
	v_and_or_b32 v10, 0x80, v10, v12
.LBB43_80:                              ;   in Loop: Header=BB43_63 Depth=1
	s_or_b32 exec_lo, exec_lo, s13
.LBB43_81:                              ;   in Loop: Header=BB43_63 Depth=1
	s_delay_alu instid0(SALU_CYCLE_1) | instskip(SKIP_3) | instid1(VALU_DEP_1)
	s_or_b32 exec_lo, exec_lo, s9
	v_lshrrev_b32_e32 v3, 16, v3
	v_fma_mixlo_f16 v9, v28, v9, 0
	s_mov_b32 s9, exec_lo
	v_mul_f16_e32 v3, v3, v9
	s_delay_alu instid0(VALU_DEP_1) | instskip(NEXT) | instid1(VALU_DEP_1)
	v_cvt_f32_f16_e32 v3, v3
	v_div_scale_f32 v9, null, v4, v4, v3
	s_delay_alu instid0(VALU_DEP_1) | instskip(SKIP_2) | instid1(VALU_DEP_1)
	v_rcp_f32_e32 v11, v9
	s_waitcnt_depctr 0xfff
	v_fma_f32 v12, -v9, v11, 1.0
	v_fmac_f32_e32 v11, v12, v11
	v_div_scale_f32 v12, vcc_lo, v3, v4, v3
	s_delay_alu instid0(VALU_DEP_1) | instskip(NEXT) | instid1(VALU_DEP_1)
	v_mul_f32_e32 v13, v12, v11
	v_fma_f32 v14, -v9, v13, v12
	s_delay_alu instid0(VALU_DEP_1) | instskip(NEXT) | instid1(VALU_DEP_1)
	v_fmac_f32_e32 v13, v14, v11
	v_fma_f32 v9, -v9, v13, v12
	s_delay_alu instid0(VALU_DEP_1) | instskip(NEXT) | instid1(VALU_DEP_1)
	v_div_fmas_f32 v9, v9, v11, v13
	v_div_fixup_f32 v3, v9, v4, v3
	s_delay_alu instid0(VALU_DEP_1) | instskip(NEXT) | instid1(VALU_DEP_1)
	v_minmax_f32 v3, v3, s7, 0xc3600000
	v_and_b32_e32 v4, 0x7fffffff, v3
	s_delay_alu instid0(VALU_DEP_1)
	v_cmpx_gt_u32_e32 0x43800000, v4
	s_cbranch_execz .LBB43_87
; %bb.82:                               ;   in Loop: Header=BB43_63 Depth=1
	v_cmp_lt_u32_e32 vcc_lo, 0x3bffffff, v4
	s_mov_b32 s12, 0
                                        ; implicit-def: $vgpr4
	s_and_saveexec_b32 s13, vcc_lo
	s_delay_alu instid0(SALU_CYCLE_1)
	s_xor_b32 s13, exec_lo, s13
	s_cbranch_execnz .LBB43_166
; %bb.83:                               ;   in Loop: Header=BB43_63 Depth=1
	s_or_saveexec_b32 s13, s13
                                        ; implicit-def: $sgpr14
	s_delay_alu instid0(SALU_CYCLE_1)
	s_xor_b32 exec_lo, exec_lo, s13
	s_cbranch_execnz .LBB43_167
.LBB43_84:                              ;   in Loop: Header=BB43_63 Depth=1
	s_or_b32 exec_lo, exec_lo, s13
	v_mov_b32_e32 v2, s14
	s_and_saveexec_b32 s13, s12
.LBB43_85:                              ;   in Loop: Header=BB43_63 Depth=1
	v_lshrrev_b32_e32 v2, 24, v3
	s_delay_alu instid0(VALU_DEP_1)
	v_and_or_b32 v2, 0x80, v2, v4
.LBB43_86:                              ;   in Loop: Header=BB43_63 Depth=1
	s_or_b32 exec_lo, exec_lo, s13
.LBB43_87:                              ;   in Loop: Header=BB43_63 Depth=1
	s_delay_alu instid0(SALU_CYCLE_1)
	s_or_b32 exec_lo, exec_lo, s9
	v_lshlrev_b32_e32 v9, 16, v10
	v_lshlrev_b32_e32 v5, 8, v5
	v_lshlrev_b64 v[3:4], 2, v[0:1]
	v_and_b32_e32 v6, 0xff, v6
	s_mov_b32 s12, -1
	v_perm_b32 v9, v2, v9, 0x4020c0c
	v_and_b32_e32 v5, 0xff00, v5
	v_add_nc_u32_e32 v2, s33, v0
	v_add_co_u32 v3, vcc_lo, s0, v3
	v_add_co_ci_u32_e32 v4, vcc_lo, s1, v4, vcc_lo
	s_delay_alu instid0(VALU_DEP_4)
	v_or3_b32 v5, v9, v5, v6
	s_mov_b32 s9, exec_lo
	global_store_b32 v[3:4], v5, off
	v_cmpx_gt_u32_e64 s8, v2
	s_cbranch_execz .LBB43_62
; %bb.88:                               ;   in Loop: Header=BB43_63 Depth=1
	v_bfe_u32 v15, v2, 5, 25
	s_mov_b32 s12, exec_lo
	s_delay_alu instid0(VALU_DEP_1) | instskip(NEXT) | instid1(VALU_DEP_1)
	v_mad_u64_u32 v[9:10], null, v7, v15, 0
	v_dual_mov_b32 v3, v1 :: v_dual_mov_b32 v6, v10
	s_delay_alu instid0(VALU_DEP_1) | instskip(NEXT) | instid1(VALU_DEP_2)
	v_lshlrev_b64 v[4:5], 3, v[2:3]
	v_mad_u64_u32 v[13:14], null, v8, v15, v[6:7]
	s_delay_alu instid0(VALU_DEP_2) | instskip(NEXT) | instid1(VALU_DEP_3)
	v_add_co_u32 v11, vcc_lo, s28, v4
	v_add_co_ci_u32_e32 v12, vcc_lo, s29, v5, vcc_lo
	v_add_co_u32 v16, vcc_lo, s30, v4
	v_add_co_ci_u32_e32 v17, vcc_lo, s31, v5, vcc_lo
	global_load_b64 v[11:12], v[11:12], off
	global_load_b64 v[14:15], v[16:17], off
	v_mov_b32_e32 v10, v13
	v_add_co_u32 v4, vcc_lo, s10, v4
	v_add_co_ci_u32_e32 v5, vcc_lo, s11, v5, vcc_lo
	s_delay_alu instid0(VALU_DEP_3)
	v_lshlrev_b64 v[9:10], 2, v[9:10]
	global_load_b64 v[4:5], v[4:5], off
	v_add_co_u32 v9, vcc_lo, s4, v9
	v_add_co_ci_u32_e32 v10, vcc_lo, s5, v10, vcc_lo
	global_load_b32 v6, v[9:10], off
	s_waitcnt vmcnt(3)
	v_cvt_f32_f16_e32 v9, v11
	s_waitcnt vmcnt(2)
	v_cvt_f32_f16_e32 v10, v14
	v_lshrrev_b32_e32 v11, 16, v11
	v_lshrrev_b32_e32 v14, 16, v14
	s_delay_alu instid0(VALU_DEP_3) | instskip(NEXT) | instid1(VALU_DEP_2)
	v_add_f32_e32 v9, v9, v10
	v_cvt_f32_f16_e32 v14, v14
	s_delay_alu instid0(VALU_DEP_2) | instskip(SKIP_1) | instid1(VALU_DEP_1)
	v_fma_mixlo_f16 v10, v28, v9, 0
	s_waitcnt vmcnt(1)
	v_mul_f16_e32 v10, v4, v10
	s_delay_alu instid0(VALU_DEP_1) | instskip(SKIP_1) | instid1(VALU_DEP_1)
	v_cvt_f32_f16_e32 v10, v10
	s_waitcnt vmcnt(0)
	v_div_scale_f32 v13, null, v6, v6, v10
	v_div_scale_f32 v20, vcc_lo, v10, v6, v10
	s_delay_alu instid0(VALU_DEP_2) | instskip(SKIP_2) | instid1(VALU_DEP_1)
	v_rcp_f32_e32 v18, v13
	s_waitcnt_depctr 0xfff
	v_fma_f32 v19, -v13, v18, 1.0
	v_fmac_f32_e32 v18, v19, v18
	s_delay_alu instid0(VALU_DEP_1) | instskip(NEXT) | instid1(VALU_DEP_1)
	v_mul_f32_e32 v19, v20, v18
	v_fma_f32 v21, -v13, v19, v20
	s_delay_alu instid0(VALU_DEP_1) | instskip(SKIP_2) | instid1(VALU_DEP_3)
	v_fmac_f32_e32 v19, v21, v18
	v_lshrrev_b32_e32 v21, 16, v12
	v_cvt_f32_f16_e32 v12, v12
	v_fma_f32 v13, -v13, v19, v20
	v_lshrrev_b32_e32 v20, 16, v15
	v_cvt_f32_f16_e32 v15, v15
	s_delay_alu instid0(VALU_DEP_3)
	v_div_fmas_f32 v13, v13, v18, v19
	v_cvt_f32_f16_e32 v18, v11
	v_cvt_f32_f16_e32 v11, v21
	;; [unrolled: 1-line block ×3, first 2 shown]
	v_add_f32_e32 v12, v12, v15
	v_div_fixup_f32 v10, v13, v6, v10
	v_add_f32_e32 v13, v18, v14
	s_delay_alu instid0(VALU_DEP_4) | instskip(NEXT) | instid1(VALU_DEP_4)
	v_add_f32_e32 v11, v11, v19
	v_cvt_f16_f32_e32 v18, v12
	s_delay_alu instid0(VALU_DEP_4)
	v_minmax_f32 v14, v10, s7, 0xc3600000
	v_cvt_f16_f32_e32 v10, v9
	v_cvt_f16_f32_e32 v20, v13
	;; [unrolled: 1-line block ×3, first 2 shown]
	v_mov_b32_e32 v9, 0x80
	v_and_b32_e32 v15, 0x7fffffff, v14
	s_delay_alu instid0(VALU_DEP_3)
	v_pack_b32_f16 v19, v18, v19
	v_pack_b32_f16 v18, v10, v20
	v_mov_b32_e32 v10, 0x80
	global_store_b64 v[16:17], v[18:19], off
	v_cmpx_gt_u32_e32 0x43800000, v15
	s_cbranch_execz .LBB43_94
; %bb.89:                               ;   in Loop: Header=BB43_63 Depth=1
	v_cmp_lt_u32_e32 vcc_lo, 0x3bffffff, v15
	s_mov_b32 s13, 0
                                        ; implicit-def: $vgpr15
	s_and_saveexec_b32 s14, vcc_lo
	s_delay_alu instid0(SALU_CYCLE_1)
	s_xor_b32 s14, exec_lo, s14
	s_cbranch_execnz .LBB43_168
; %bb.90:                               ;   in Loop: Header=BB43_63 Depth=1
	s_or_saveexec_b32 s14, s14
                                        ; implicit-def: $sgpr15
	s_delay_alu instid0(SALU_CYCLE_1)
	s_xor_b32 exec_lo, exec_lo, s14
	s_cbranch_execnz .LBB43_169
.LBB43_91:                              ;   in Loop: Header=BB43_63 Depth=1
	s_or_b32 exec_lo, exec_lo, s14
	v_mov_b32_e32 v10, s15
	s_and_saveexec_b32 s14, s13
.LBB43_92:                              ;   in Loop: Header=BB43_63 Depth=1
	v_lshrrev_b32_e32 v10, 24, v14
	s_delay_alu instid0(VALU_DEP_1)
	v_and_or_b32 v10, 0x80, v10, v15
.LBB43_93:                              ;   in Loop: Header=BB43_63 Depth=1
	s_or_b32 exec_lo, exec_lo, s14
.LBB43_94:                              ;   in Loop: Header=BB43_63 Depth=1
	s_delay_alu instid0(SALU_CYCLE_1) | instskip(SKIP_3) | instid1(VALU_DEP_1)
	s_or_b32 exec_lo, exec_lo, s12
	v_lshrrev_b32_e32 v4, 16, v4
	v_fma_mixlo_f16 v13, v28, v13, 0
	s_mov_b32 s12, exec_lo
	v_mul_f16_e32 v4, v4, v13
	s_delay_alu instid0(VALU_DEP_1) | instskip(NEXT) | instid1(VALU_DEP_1)
	v_cvt_f32_f16_e32 v4, v4
	v_div_scale_f32 v13, null, v6, v6, v4
	s_delay_alu instid0(VALU_DEP_1) | instskip(SKIP_2) | instid1(VALU_DEP_1)
	v_rcp_f32_e32 v14, v13
	s_waitcnt_depctr 0xfff
	v_fma_f32 v15, -v13, v14, 1.0
	v_fmac_f32_e32 v14, v15, v14
	v_div_scale_f32 v15, vcc_lo, v4, v6, v4
	s_delay_alu instid0(VALU_DEP_1) | instskip(NEXT) | instid1(VALU_DEP_1)
	v_mul_f32_e32 v16, v15, v14
	v_fma_f32 v17, -v13, v16, v15
	s_delay_alu instid0(VALU_DEP_1) | instskip(NEXT) | instid1(VALU_DEP_1)
	v_fmac_f32_e32 v16, v17, v14
	v_fma_f32 v13, -v13, v16, v15
	s_delay_alu instid0(VALU_DEP_1) | instskip(NEXT) | instid1(VALU_DEP_1)
	v_div_fmas_f32 v13, v13, v14, v16
	v_div_fixup_f32 v4, v13, v6, v4
	s_delay_alu instid0(VALU_DEP_1) | instskip(NEXT) | instid1(VALU_DEP_1)
	v_minmax_f32 v4, v4, s7, 0xc3600000
	v_and_b32_e32 v13, 0x7fffffff, v4
	s_delay_alu instid0(VALU_DEP_1)
	v_cmpx_gt_u32_e32 0x43800000, v13
	s_cbranch_execz .LBB43_100
; %bb.95:                               ;   in Loop: Header=BB43_63 Depth=1
	v_cmp_lt_u32_e32 vcc_lo, 0x3bffffff, v13
	s_mov_b32 s13, 0
                                        ; implicit-def: $vgpr13
	s_and_saveexec_b32 s14, vcc_lo
	s_delay_alu instid0(SALU_CYCLE_1)
	s_xor_b32 s14, exec_lo, s14
	s_cbranch_execnz .LBB43_170
; %bb.96:                               ;   in Loop: Header=BB43_63 Depth=1
	s_or_saveexec_b32 s14, s14
                                        ; implicit-def: $sgpr15
	s_delay_alu instid0(SALU_CYCLE_1)
	s_xor_b32 exec_lo, exec_lo, s14
	s_cbranch_execnz .LBB43_171
.LBB43_97:                              ;   in Loop: Header=BB43_63 Depth=1
	s_or_b32 exec_lo, exec_lo, s14
	v_mov_b32_e32 v9, s15
	s_and_saveexec_b32 s14, s13
.LBB43_98:                              ;   in Loop: Header=BB43_63 Depth=1
	v_lshrrev_b32_e32 v4, 24, v4
	s_delay_alu instid0(VALU_DEP_1)
	v_and_or_b32 v9, 0x80, v4, v13
.LBB43_99:                              ;   in Loop: Header=BB43_63 Depth=1
	s_or_b32 exec_lo, exec_lo, s14
.LBB43_100:                             ;   in Loop: Header=BB43_63 Depth=1
	s_delay_alu instid0(SALU_CYCLE_1) | instskip(SKIP_2) | instid1(VALU_DEP_1)
	s_or_b32 exec_lo, exec_lo, s12
	v_fma_mixlo_f16 v4, v28, v12, 0
	s_mov_b32 s12, exec_lo
	v_mul_f16_e32 v4, v5, v4
	s_delay_alu instid0(VALU_DEP_1) | instskip(NEXT) | instid1(VALU_DEP_1)
	v_cvt_f32_f16_e32 v4, v4
	v_div_scale_f32 v12, null, v6, v6, v4
	v_div_scale_f32 v15, vcc_lo, v4, v6, v4
	s_delay_alu instid0(VALU_DEP_2) | instskip(SKIP_2) | instid1(VALU_DEP_1)
	v_rcp_f32_e32 v13, v12
	s_waitcnt_depctr 0xfff
	v_fma_f32 v14, -v12, v13, 1.0
	v_fmac_f32_e32 v13, v14, v13
	s_delay_alu instid0(VALU_DEP_1) | instskip(NEXT) | instid1(VALU_DEP_1)
	v_mul_f32_e32 v14, v15, v13
	v_fma_f32 v16, -v12, v14, v15
	s_delay_alu instid0(VALU_DEP_1) | instskip(NEXT) | instid1(VALU_DEP_1)
	v_fmac_f32_e32 v14, v16, v13
	v_fma_f32 v12, -v12, v14, v15
	s_delay_alu instid0(VALU_DEP_1) | instskip(NEXT) | instid1(VALU_DEP_1)
	v_div_fmas_f32 v12, v12, v13, v14
	v_div_fixup_f32 v4, v12, v6, v4
	v_mov_b32_e32 v12, 0x80
	s_delay_alu instid0(VALU_DEP_2) | instskip(SKIP_1) | instid1(VALU_DEP_2)
	v_minmax_f32 v13, v4, s7, 0xc3600000
	v_mov_b32_e32 v4, 0x80
	v_and_b32_e32 v14, 0x7fffffff, v13
	s_delay_alu instid0(VALU_DEP_1)
	v_cmpx_gt_u32_e32 0x43800000, v14
	s_cbranch_execz .LBB43_106
; %bb.101:                              ;   in Loop: Header=BB43_63 Depth=1
	v_cmp_lt_u32_e32 vcc_lo, 0x3bffffff, v14
	s_mov_b32 s13, 0
                                        ; implicit-def: $vgpr14
	s_and_saveexec_b32 s14, vcc_lo
	s_delay_alu instid0(SALU_CYCLE_1)
	s_xor_b32 s14, exec_lo, s14
	s_cbranch_execnz .LBB43_172
; %bb.102:                              ;   in Loop: Header=BB43_63 Depth=1
	s_or_saveexec_b32 s14, s14
                                        ; implicit-def: $sgpr15
	s_delay_alu instid0(SALU_CYCLE_1)
	s_xor_b32 exec_lo, exec_lo, s14
	s_cbranch_execnz .LBB43_173
.LBB43_103:                             ;   in Loop: Header=BB43_63 Depth=1
	s_or_b32 exec_lo, exec_lo, s14
	v_mov_b32_e32 v12, s15
	s_and_saveexec_b32 s14, s13
.LBB43_104:                             ;   in Loop: Header=BB43_63 Depth=1
	v_lshrrev_b32_e32 v12, 24, v13
	s_delay_alu instid0(VALU_DEP_1)
	v_and_or_b32 v12, 0x80, v12, v14
.LBB43_105:                             ;   in Loop: Header=BB43_63 Depth=1
	s_or_b32 exec_lo, exec_lo, s14
.LBB43_106:                             ;   in Loop: Header=BB43_63 Depth=1
	s_delay_alu instid0(SALU_CYCLE_1) | instskip(SKIP_3) | instid1(VALU_DEP_1)
	s_or_b32 exec_lo, exec_lo, s12
	v_lshrrev_b32_e32 v5, 16, v5
	v_fma_mixlo_f16 v11, v28, v11, 0
	s_mov_b32 s12, exec_lo
	v_mul_f16_e32 v5, v5, v11
	s_delay_alu instid0(VALU_DEP_1) | instskip(NEXT) | instid1(VALU_DEP_1)
	v_cvt_f32_f16_e32 v5, v5
	v_div_scale_f32 v11, null, v6, v6, v5
	s_delay_alu instid0(VALU_DEP_1) | instskip(SKIP_2) | instid1(VALU_DEP_1)
	v_rcp_f32_e32 v13, v11
	s_waitcnt_depctr 0xfff
	v_fma_f32 v14, -v11, v13, 1.0
	v_fmac_f32_e32 v13, v14, v13
	v_div_scale_f32 v14, vcc_lo, v5, v6, v5
	s_delay_alu instid0(VALU_DEP_1) | instskip(NEXT) | instid1(VALU_DEP_1)
	v_mul_f32_e32 v15, v14, v13
	v_fma_f32 v16, -v11, v15, v14
	s_delay_alu instid0(VALU_DEP_1) | instskip(NEXT) | instid1(VALU_DEP_1)
	v_fmac_f32_e32 v15, v16, v13
	v_fma_f32 v11, -v11, v15, v14
	s_delay_alu instid0(VALU_DEP_1) | instskip(NEXT) | instid1(VALU_DEP_1)
	v_div_fmas_f32 v11, v11, v13, v15
	v_div_fixup_f32 v5, v11, v6, v5
	s_delay_alu instid0(VALU_DEP_1) | instskip(NEXT) | instid1(VALU_DEP_1)
	v_minmax_f32 v5, v5, s7, 0xc3600000
	v_and_b32_e32 v6, 0x7fffffff, v5
	s_delay_alu instid0(VALU_DEP_1)
	v_cmpx_gt_u32_e32 0x43800000, v6
	s_cbranch_execz .LBB43_112
; %bb.107:                              ;   in Loop: Header=BB43_63 Depth=1
	v_cmp_lt_u32_e32 vcc_lo, 0x3bffffff, v6
	s_mov_b32 s13, 0
                                        ; implicit-def: $vgpr6
	s_and_saveexec_b32 s14, vcc_lo
	s_delay_alu instid0(SALU_CYCLE_1)
	s_xor_b32 s14, exec_lo, s14
	s_cbranch_execnz .LBB43_174
; %bb.108:                              ;   in Loop: Header=BB43_63 Depth=1
	s_or_saveexec_b32 s14, s14
                                        ; implicit-def: $sgpr15
	s_delay_alu instid0(SALU_CYCLE_1)
	s_xor_b32 exec_lo, exec_lo, s14
	s_cbranch_execnz .LBB43_175
.LBB43_109:                             ;   in Loop: Header=BB43_63 Depth=1
	s_or_b32 exec_lo, exec_lo, s14
	v_mov_b32_e32 v4, s15
	s_and_saveexec_b32 s14, s13
.LBB43_110:                             ;   in Loop: Header=BB43_63 Depth=1
	v_lshrrev_b32_e32 v4, 24, v5
	s_delay_alu instid0(VALU_DEP_1)
	v_and_or_b32 v4, 0x80, v4, v6
.LBB43_111:                             ;   in Loop: Header=BB43_63 Depth=1
	s_or_b32 exec_lo, exec_lo, s14
.LBB43_112:                             ;   in Loop: Header=BB43_63 Depth=1
	s_delay_alu instid0(SALU_CYCLE_1)
	s_or_b32 exec_lo, exec_lo, s12
	v_lshlrev_b32_e32 v11, 16, v12
	v_lshlrev_b32_e32 v9, 8, v9
	v_lshlrev_b64 v[5:6], 2, v[2:3]
	v_and_b32_e32 v10, 0xff, v10
	v_add_nc_u32_e32 v3, s3, v0
	v_perm_b32 v11, v4, v11, 0x4020c0c
	v_and_b32_e32 v9, 0xff00, v9
	s_mov_b32 s13, -1
	v_add_co_u32 v4, vcc_lo, s0, v5
	v_add_co_ci_u32_e32 v5, vcc_lo, s1, v6, vcc_lo
	s_delay_alu instid0(VALU_DEP_3)
	v_or3_b32 v6, v11, v9, v10
	s_mov_b32 s12, exec_lo
	global_store_b32 v[4:5], v6, off
	v_cmpx_gt_u32_e64 s8, v3
	s_cbranch_execz .LBB43_61
; %bb.113:                              ;   in Loop: Header=BB43_63 Depth=1
	v_mov_b32_e32 v4, v1
	v_bfe_u32 v15, v3, 5, 25
	s_mov_b32 s13, exec_lo
	s_delay_alu instid0(VALU_DEP_2) | instskip(NEXT) | instid1(VALU_DEP_2)
	v_lshlrev_b64 v[5:6], 3, v[3:4]
	v_mad_u64_u32 v[9:10], null, v7, v15, 0
	s_delay_alu instid0(VALU_DEP_2) | instskip(NEXT) | instid1(VALU_DEP_3)
	v_add_co_u32 v11, vcc_lo, s28, v5
	v_add_co_ci_u32_e32 v12, vcc_lo, s29, v6, vcc_lo
	v_add_co_u32 v17, vcc_lo, s30, v5
	v_add_co_ci_u32_e32 v18, vcc_lo, s31, v6, vcc_lo
	s_delay_alu instid0(VALU_DEP_4)
	v_mad_u64_u32 v[13:14], null, v8, v15, v[10:11]
	global_load_b64 v[11:12], v[11:12], off
	global_load_b64 v[14:15], v[17:18], off
	v_add_co_u32 v5, vcc_lo, s10, v5
	v_add_co_ci_u32_e32 v6, vcc_lo, s11, v6, vcc_lo
	v_mov_b32_e32 v10, v13
	global_load_b64 v[5:6], v[5:6], off
	v_lshlrev_b64 v[9:10], 2, v[9:10]
	s_delay_alu instid0(VALU_DEP_1) | instskip(NEXT) | instid1(VALU_DEP_2)
	v_add_co_u32 v9, vcc_lo, s4, v9
	v_add_co_ci_u32_e32 v10, vcc_lo, s5, v10, vcc_lo
	global_load_b32 v9, v[9:10], off
	s_waitcnt vmcnt(3)
	v_cvt_f32_f16_e32 v10, v11
	s_waitcnt vmcnt(2)
	v_cvt_f32_f16_e32 v13, v14
	v_lshrrev_b32_e32 v11, 16, v11
	v_lshrrev_b32_e32 v14, 16, v14
	s_delay_alu instid0(VALU_DEP_3) | instskip(NEXT) | instid1(VALU_DEP_3)
	v_add_f32_e32 v10, v10, v13
	v_cvt_f32_f16_e32 v11, v11
	s_delay_alu instid0(VALU_DEP_3) | instskip(NEXT) | instid1(VALU_DEP_3)
	v_cvt_f32_f16_e32 v14, v14
	v_fma_mixlo_f16 v13, v28, v10, 0
	s_delay_alu instid0(VALU_DEP_2) | instskip(SKIP_4) | instid1(VALU_DEP_1)
	v_add_f32_e32 v14, v11, v14
	v_cvt_f16_f32_e32 v11, v10
	v_mov_b32_e32 v10, 0x80
	s_waitcnt vmcnt(1)
	v_mul_f16_e32 v13, v5, v13
	v_cvt_f32_f16_e32 v13, v13
	s_waitcnt vmcnt(0)
	s_delay_alu instid0(VALU_DEP_1) | instskip(SKIP_1) | instid1(VALU_DEP_2)
	v_div_scale_f32 v16, null, v9, v9, v13
	v_div_scale_f32 v21, vcc_lo, v13, v9, v13
	v_rcp_f32_e32 v19, v16
	s_waitcnt_depctr 0xfff
	v_fma_f32 v20, -v16, v19, 1.0
	s_delay_alu instid0(VALU_DEP_1) | instskip(NEXT) | instid1(VALU_DEP_1)
	v_fmac_f32_e32 v19, v20, v19
	v_mul_f32_e32 v20, v21, v19
	s_delay_alu instid0(VALU_DEP_1) | instskip(NEXT) | instid1(VALU_DEP_1)
	v_fma_f32 v22, -v16, v20, v21
	v_fmac_f32_e32 v20, v22, v19
	v_lshrrev_b32_e32 v22, 16, v12
	v_cvt_f32_f16_e32 v12, v12
	s_delay_alu instid0(VALU_DEP_3) | instskip(SKIP_2) | instid1(VALU_DEP_3)
	v_fma_f32 v16, -v16, v20, v21
	v_lshrrev_b32_e32 v21, 16, v15
	v_cvt_f32_f16_e32 v15, v15
	v_div_fmas_f32 v16, v16, v19, v20
	v_cvt_f32_f16_e32 v19, v22
	s_delay_alu instid0(VALU_DEP_4) | instskip(SKIP_1) | instid1(VALU_DEP_4)
	v_cvt_f32_f16_e32 v20, v21
	v_cvt_f16_f32_e32 v21, v14
	v_div_fixup_f32 v16, v16, v9, v13
	s_delay_alu instid0(VALU_DEP_3) | instskip(NEXT) | instid1(VALU_DEP_2)
	v_dual_add_f32 v13, v12, v15 :: v_dual_add_f32 v12, v19, v20
	v_minmax_f32 v15, v16, s7, 0xc3600000
	s_delay_alu instid0(VALU_DEP_2) | instskip(NEXT) | instid1(VALU_DEP_3)
	v_cvt_f16_f32_e32 v19, v13
	v_cvt_f16_f32_e32 v20, v12
	s_delay_alu instid0(VALU_DEP_3) | instskip(NEXT) | instid1(VALU_DEP_2)
	v_and_b32_e32 v16, 0x7fffffff, v15
	v_pack_b32_f16 v20, v19, v20
	v_pack_b32_f16 v19, v11, v21
	v_mov_b32_e32 v11, 0x80
	global_store_b64 v[17:18], v[19:20], off
	v_cmpx_gt_u32_e32 0x43800000, v16
	s_cbranch_execz .LBB43_119
; %bb.114:                              ;   in Loop: Header=BB43_63 Depth=1
	v_cmp_lt_u32_e32 vcc_lo, 0x3bffffff, v16
	s_mov_b32 s14, 0
                                        ; implicit-def: $vgpr16
	s_and_saveexec_b32 s15, vcc_lo
	s_delay_alu instid0(SALU_CYCLE_1)
	s_xor_b32 s15, exec_lo, s15
	s_cbranch_execnz .LBB43_176
; %bb.115:                              ;   in Loop: Header=BB43_63 Depth=1
	s_or_saveexec_b32 s15, s15
                                        ; implicit-def: $sgpr16
	s_delay_alu instid0(SALU_CYCLE_1)
	s_xor_b32 exec_lo, exec_lo, s15
	s_cbranch_execnz .LBB43_177
.LBB43_116:                             ;   in Loop: Header=BB43_63 Depth=1
	s_or_b32 exec_lo, exec_lo, s15
	v_mov_b32_e32 v11, s16
	s_and_saveexec_b32 s15, s14
.LBB43_117:                             ;   in Loop: Header=BB43_63 Depth=1
	v_lshrrev_b32_e32 v11, 24, v15
	s_delay_alu instid0(VALU_DEP_1)
	v_and_or_b32 v11, 0x80, v11, v16
.LBB43_118:                             ;   in Loop: Header=BB43_63 Depth=1
	s_or_b32 exec_lo, exec_lo, s15
.LBB43_119:                             ;   in Loop: Header=BB43_63 Depth=1
	s_delay_alu instid0(SALU_CYCLE_1) | instskip(SKIP_3) | instid1(VALU_DEP_1)
	s_or_b32 exec_lo, exec_lo, s13
	v_lshrrev_b32_e32 v5, 16, v5
	v_fma_mixlo_f16 v14, v28, v14, 0
	s_mov_b32 s13, exec_lo
	v_mul_f16_e32 v5, v5, v14
	s_delay_alu instid0(VALU_DEP_1) | instskip(NEXT) | instid1(VALU_DEP_1)
	v_cvt_f32_f16_e32 v5, v5
	v_div_scale_f32 v14, null, v9, v9, v5
	s_delay_alu instid0(VALU_DEP_1) | instskip(SKIP_2) | instid1(VALU_DEP_1)
	v_rcp_f32_e32 v15, v14
	s_waitcnt_depctr 0xfff
	v_fma_f32 v16, -v14, v15, 1.0
	v_fmac_f32_e32 v15, v16, v15
	v_div_scale_f32 v16, vcc_lo, v5, v9, v5
	s_delay_alu instid0(VALU_DEP_1) | instskip(NEXT) | instid1(VALU_DEP_1)
	v_mul_f32_e32 v17, v16, v15
	v_fma_f32 v18, -v14, v17, v16
	s_delay_alu instid0(VALU_DEP_1) | instskip(NEXT) | instid1(VALU_DEP_1)
	v_fmac_f32_e32 v17, v18, v15
	v_fma_f32 v14, -v14, v17, v16
	s_delay_alu instid0(VALU_DEP_1) | instskip(NEXT) | instid1(VALU_DEP_1)
	v_div_fmas_f32 v14, v14, v15, v17
	v_div_fixup_f32 v5, v14, v9, v5
	s_delay_alu instid0(VALU_DEP_1) | instskip(NEXT) | instid1(VALU_DEP_1)
	v_minmax_f32 v5, v5, s7, 0xc3600000
	v_and_b32_e32 v14, 0x7fffffff, v5
	s_delay_alu instid0(VALU_DEP_1)
	v_cmpx_gt_u32_e32 0x43800000, v14
	s_cbranch_execz .LBB43_125
; %bb.120:                              ;   in Loop: Header=BB43_63 Depth=1
	v_cmp_lt_u32_e32 vcc_lo, 0x3bffffff, v14
	s_mov_b32 s14, 0
                                        ; implicit-def: $vgpr14
	s_and_saveexec_b32 s15, vcc_lo
	s_delay_alu instid0(SALU_CYCLE_1)
	s_xor_b32 s15, exec_lo, s15
	s_cbranch_execnz .LBB43_178
; %bb.121:                              ;   in Loop: Header=BB43_63 Depth=1
	s_or_saveexec_b32 s15, s15
                                        ; implicit-def: $sgpr16
	s_delay_alu instid0(SALU_CYCLE_1)
	s_xor_b32 exec_lo, exec_lo, s15
	s_cbranch_execnz .LBB43_179
.LBB43_122:                             ;   in Loop: Header=BB43_63 Depth=1
	s_or_b32 exec_lo, exec_lo, s15
	v_mov_b32_e32 v10, s16
	s_and_saveexec_b32 s15, s14
.LBB43_123:                             ;   in Loop: Header=BB43_63 Depth=1
	v_lshrrev_b32_e32 v5, 24, v5
	s_delay_alu instid0(VALU_DEP_1)
	v_and_or_b32 v10, 0x80, v5, v14
.LBB43_124:                             ;   in Loop: Header=BB43_63 Depth=1
	s_or_b32 exec_lo, exec_lo, s15
.LBB43_125:                             ;   in Loop: Header=BB43_63 Depth=1
	s_delay_alu instid0(SALU_CYCLE_1) | instskip(SKIP_2) | instid1(VALU_DEP_1)
	s_or_b32 exec_lo, exec_lo, s13
	v_fma_mixlo_f16 v5, v28, v13, 0
	s_mov_b32 s13, exec_lo
	v_mul_f16_e32 v5, v6, v5
	s_delay_alu instid0(VALU_DEP_1) | instskip(NEXT) | instid1(VALU_DEP_1)
	v_cvt_f32_f16_e32 v5, v5
	v_div_scale_f32 v13, null, v9, v9, v5
	v_div_scale_f32 v16, vcc_lo, v5, v9, v5
	s_delay_alu instid0(VALU_DEP_2) | instskip(SKIP_2) | instid1(VALU_DEP_1)
	v_rcp_f32_e32 v14, v13
	s_waitcnt_depctr 0xfff
	v_fma_f32 v15, -v13, v14, 1.0
	v_fmac_f32_e32 v14, v15, v14
	s_delay_alu instid0(VALU_DEP_1) | instskip(NEXT) | instid1(VALU_DEP_1)
	v_mul_f32_e32 v15, v16, v14
	v_fma_f32 v17, -v13, v15, v16
	s_delay_alu instid0(VALU_DEP_1) | instskip(NEXT) | instid1(VALU_DEP_1)
	v_fmac_f32_e32 v15, v17, v14
	v_fma_f32 v13, -v13, v15, v16
	s_delay_alu instid0(VALU_DEP_1) | instskip(NEXT) | instid1(VALU_DEP_1)
	v_div_fmas_f32 v13, v13, v14, v15
	v_div_fixup_f32 v5, v13, v9, v5
	v_mov_b32_e32 v13, 0x80
	s_delay_alu instid0(VALU_DEP_2) | instskip(SKIP_1) | instid1(VALU_DEP_2)
	v_minmax_f32 v14, v5, s7, 0xc3600000
	v_mov_b32_e32 v5, 0x80
	v_and_b32_e32 v15, 0x7fffffff, v14
	s_delay_alu instid0(VALU_DEP_1)
	v_cmpx_gt_u32_e32 0x43800000, v15
	s_cbranch_execz .LBB43_131
; %bb.126:                              ;   in Loop: Header=BB43_63 Depth=1
	v_cmp_lt_u32_e32 vcc_lo, 0x3bffffff, v15
	s_mov_b32 s14, 0
                                        ; implicit-def: $vgpr15
	s_and_saveexec_b32 s15, vcc_lo
	s_delay_alu instid0(SALU_CYCLE_1)
	s_xor_b32 s15, exec_lo, s15
	s_cbranch_execnz .LBB43_180
; %bb.127:                              ;   in Loop: Header=BB43_63 Depth=1
	s_or_saveexec_b32 s15, s15
                                        ; implicit-def: $sgpr16
	s_delay_alu instid0(SALU_CYCLE_1)
	s_xor_b32 exec_lo, exec_lo, s15
	s_cbranch_execnz .LBB43_181
.LBB43_128:                             ;   in Loop: Header=BB43_63 Depth=1
	s_or_b32 exec_lo, exec_lo, s15
	v_mov_b32_e32 v13, s16
	s_and_saveexec_b32 s15, s14
.LBB43_129:                             ;   in Loop: Header=BB43_63 Depth=1
	v_lshrrev_b32_e32 v13, 24, v14
	s_delay_alu instid0(VALU_DEP_1)
	v_and_or_b32 v13, 0x80, v13, v15
.LBB43_130:                             ;   in Loop: Header=BB43_63 Depth=1
	s_or_b32 exec_lo, exec_lo, s15
.LBB43_131:                             ;   in Loop: Header=BB43_63 Depth=1
	s_delay_alu instid0(SALU_CYCLE_1) | instskip(SKIP_3) | instid1(VALU_DEP_1)
	s_or_b32 exec_lo, exec_lo, s13
	v_lshrrev_b32_e32 v6, 16, v6
	v_fma_mixlo_f16 v12, v28, v12, 0
	s_mov_b32 s13, exec_lo
	v_mul_f16_e32 v6, v6, v12
	s_delay_alu instid0(VALU_DEP_1) | instskip(NEXT) | instid1(VALU_DEP_1)
	v_cvt_f32_f16_e32 v6, v6
	v_div_scale_f32 v12, null, v9, v9, v6
	s_delay_alu instid0(VALU_DEP_1) | instskip(SKIP_2) | instid1(VALU_DEP_1)
	v_rcp_f32_e32 v14, v12
	s_waitcnt_depctr 0xfff
	v_fma_f32 v15, -v12, v14, 1.0
	v_fmac_f32_e32 v14, v15, v14
	v_div_scale_f32 v15, vcc_lo, v6, v9, v6
	s_delay_alu instid0(VALU_DEP_1) | instskip(NEXT) | instid1(VALU_DEP_1)
	v_mul_f32_e32 v16, v15, v14
	v_fma_f32 v17, -v12, v16, v15
	s_delay_alu instid0(VALU_DEP_1) | instskip(NEXT) | instid1(VALU_DEP_1)
	v_fmac_f32_e32 v16, v17, v14
	v_fma_f32 v12, -v12, v16, v15
	s_delay_alu instid0(VALU_DEP_1) | instskip(NEXT) | instid1(VALU_DEP_1)
	v_div_fmas_f32 v12, v12, v14, v16
	v_div_fixup_f32 v6, v12, v9, v6
	s_delay_alu instid0(VALU_DEP_1) | instskip(NEXT) | instid1(VALU_DEP_1)
	v_minmax_f32 v6, v6, s7, 0xc3600000
	v_and_b32_e32 v9, 0x7fffffff, v6
	s_delay_alu instid0(VALU_DEP_1)
	v_cmpx_gt_u32_e32 0x43800000, v9
	s_cbranch_execz .LBB43_137
; %bb.132:                              ;   in Loop: Header=BB43_63 Depth=1
	v_cmp_lt_u32_e32 vcc_lo, 0x3bffffff, v9
	s_mov_b32 s14, 0
                                        ; implicit-def: $vgpr9
	s_and_saveexec_b32 s15, vcc_lo
	s_delay_alu instid0(SALU_CYCLE_1)
	s_xor_b32 s15, exec_lo, s15
	s_cbranch_execnz .LBB43_182
; %bb.133:                              ;   in Loop: Header=BB43_63 Depth=1
	s_or_saveexec_b32 s15, s15
                                        ; implicit-def: $sgpr16
	s_delay_alu instid0(SALU_CYCLE_1)
	s_xor_b32 exec_lo, exec_lo, s15
	s_cbranch_execnz .LBB43_183
.LBB43_134:                             ;   in Loop: Header=BB43_63 Depth=1
	s_or_b32 exec_lo, exec_lo, s15
	v_mov_b32_e32 v5, s16
	s_and_saveexec_b32 s15, s14
.LBB43_135:                             ;   in Loop: Header=BB43_63 Depth=1
	v_lshrrev_b32_e32 v5, 24, v6
	s_delay_alu instid0(VALU_DEP_1)
	v_and_or_b32 v5, 0x80, v5, v9
.LBB43_136:                             ;   in Loop: Header=BB43_63 Depth=1
	s_or_b32 exec_lo, exec_lo, s15
.LBB43_137:                             ;   in Loop: Header=BB43_63 Depth=1
	s_delay_alu instid0(SALU_CYCLE_1)
	s_or_b32 exec_lo, exec_lo, s13
	v_lshlrev_b32_e32 v6, 16, v13
	v_lshlrev_b32_e32 v9, 8, v10
	v_lshlrev_b64 v[3:4], 2, v[3:4]
	v_and_b32_e32 v10, 0xff, v11
	v_add_nc_u32_e32 v0, s2, v0
	v_perm_b32 v5, v5, v6, 0x4020c0c
	v_and_b32_e32 v6, 0xff00, v9
	s_mov_b32 s14, -1
	v_add_co_u32 v3, vcc_lo, s0, v3
	v_add_co_ci_u32_e32 v4, vcc_lo, s1, v4, vcc_lo
	s_delay_alu instid0(VALU_DEP_3)
	v_or3_b32 v5, v5, v6, v10
	s_mov_b32 s13, exec_lo
	global_store_b32 v[3:4], v5, off
	v_cmpx_gt_u32_e64 s8, v0
	s_cbranch_execz .LBB43_60
; %bb.138:                              ;   in Loop: Header=BB43_63 Depth=1
	v_lshlrev_b64 v[3:4], 3, v[0:1]
	v_bfe_u32 v13, v0, 5, 25
	s_mov_b32 s14, exec_lo
	s_delay_alu instid0(VALU_DEP_1) | instskip(NEXT) | instid1(VALU_DEP_3)
	v_mad_u64_u32 v[5:6], null, v7, v13, 0
	v_add_co_u32 v9, vcc_lo, s28, v3
	s_delay_alu instid0(VALU_DEP_4)
	v_add_co_ci_u32_e32 v10, vcc_lo, s29, v4, vcc_lo
	v_add_co_u32 v15, vcc_lo, s30, v3
	v_add_co_ci_u32_e32 v16, vcc_lo, s31, v4, vcc_lo
	v_mad_u64_u32 v[11:12], null, v8, v13, v[6:7]
	global_load_b64 v[9:10], v[9:10], off
	global_load_b64 v[12:13], v[15:16], off
	v_add_co_u32 v3, vcc_lo, s10, v3
	v_add_co_ci_u32_e32 v4, vcc_lo, s11, v4, vcc_lo
	v_mov_b32_e32 v6, v11
	global_load_b64 v[3:4], v[3:4], off
	v_lshlrev_b64 v[5:6], 2, v[5:6]
	s_delay_alu instid0(VALU_DEP_1) | instskip(NEXT) | instid1(VALU_DEP_2)
	v_add_co_u32 v5, vcc_lo, s4, v5
	v_add_co_ci_u32_e32 v6, vcc_lo, s5, v6, vcc_lo
	global_load_b32 v5, v[5:6], off
	s_waitcnt vmcnt(3)
	v_cvt_f32_f16_e32 v6, v9
	s_waitcnt vmcnt(2)
	v_cvt_f32_f16_e32 v11, v12
	v_lshrrev_b32_e32 v9, 16, v9
	v_lshrrev_b32_e32 v12, 16, v12
	s_delay_alu instid0(VALU_DEP_3) | instskip(NEXT) | instid1(VALU_DEP_3)
	v_add_f32_e32 v6, v6, v11
	v_cvt_f32_f16_e32 v9, v9
	s_delay_alu instid0(VALU_DEP_3) | instskip(NEXT) | instid1(VALU_DEP_1)
	v_cvt_f32_f16_e32 v12, v12
	v_dual_add_f32 v12, v9, v12 :: v_dual_mov_b32 v9, 0x80
	s_delay_alu instid0(VALU_DEP_4) | instskip(SKIP_2) | instid1(VALU_DEP_2)
	v_fma_mixlo_f16 v11, v28, v6, 0
	v_cvt_f16_f32_e32 v6, v6
	s_waitcnt vmcnt(1)
	v_mul_f16_e32 v11, v3, v11
	s_delay_alu instid0(VALU_DEP_1) | instskip(SKIP_1) | instid1(VALU_DEP_1)
	v_cvt_f32_f16_e32 v11, v11
	s_waitcnt vmcnt(0)
	v_div_scale_f32 v14, null, v5, v5, v11
	v_div_scale_f32 v19, vcc_lo, v11, v5, v11
	s_delay_alu instid0(VALU_DEP_2) | instskip(SKIP_2) | instid1(VALU_DEP_1)
	v_rcp_f32_e32 v17, v14
	s_waitcnt_depctr 0xfff
	v_fma_f32 v18, -v14, v17, 1.0
	v_fmac_f32_e32 v17, v18, v17
	s_delay_alu instid0(VALU_DEP_1) | instskip(NEXT) | instid1(VALU_DEP_1)
	v_mul_f32_e32 v18, v19, v17
	v_fma_f32 v20, -v14, v18, v19
	s_delay_alu instid0(VALU_DEP_1) | instskip(SKIP_2) | instid1(VALU_DEP_3)
	v_fmac_f32_e32 v18, v20, v17
	v_lshrrev_b32_e32 v20, 16, v10
	v_cvt_f32_f16_e32 v10, v10
	v_fma_f32 v14, -v14, v18, v19
	v_lshrrev_b32_e32 v19, 16, v13
	v_cvt_f32_f16_e32 v13, v13
	s_delay_alu instid0(VALU_DEP_3) | instskip(SKIP_1) | instid1(VALU_DEP_4)
	v_div_fmas_f32 v14, v14, v17, v18
	v_cvt_f32_f16_e32 v17, v20
	v_cvt_f32_f16_e32 v18, v19
	v_cvt_f16_f32_e32 v19, v12
	s_delay_alu instid0(VALU_DEP_4) | instskip(NEXT) | instid1(VALU_DEP_3)
	v_div_fixup_f32 v14, v14, v5, v11
	v_dual_add_f32 v11, v10, v13 :: v_dual_add_f32 v10, v17, v18
	s_delay_alu instid0(VALU_DEP_2) | instskip(NEXT) | instid1(VALU_DEP_2)
	v_minmax_f32 v13, v14, s7, 0xc3600000
	v_cvt_f16_f32_e32 v17, v11
	s_delay_alu instid0(VALU_DEP_3) | instskip(NEXT) | instid1(VALU_DEP_3)
	v_cvt_f16_f32_e32 v18, v10
	v_and_b32_e32 v14, 0x7fffffff, v13
	s_delay_alu instid0(VALU_DEP_2)
	v_pack_b32_f16 v18, v17, v18
	v_pack_b32_f16 v17, v6, v19
	v_mov_b32_e32 v6, 0x80
	global_store_b64 v[15:16], v[17:18], off
	v_cmpx_gt_u32_e32 0x43800000, v14
	s_cbranch_execz .LBB43_144
; %bb.139:                              ;   in Loop: Header=BB43_63 Depth=1
	v_cmp_lt_u32_e32 vcc_lo, 0x3bffffff, v14
	s_mov_b32 s15, 0
                                        ; implicit-def: $vgpr14
	s_and_saveexec_b32 s16, vcc_lo
	s_delay_alu instid0(SALU_CYCLE_1)
	s_xor_b32 s16, exec_lo, s16
	s_cbranch_execnz .LBB43_184
; %bb.140:                              ;   in Loop: Header=BB43_63 Depth=1
	s_or_saveexec_b32 s16, s16
                                        ; implicit-def: $sgpr17
	s_delay_alu instid0(SALU_CYCLE_1)
	s_xor_b32 exec_lo, exec_lo, s16
	s_cbranch_execnz .LBB43_185
.LBB43_141:                             ;   in Loop: Header=BB43_63 Depth=1
	s_or_b32 exec_lo, exec_lo, s16
	v_mov_b32_e32 v6, s17
	s_and_saveexec_b32 s16, s15
.LBB43_142:                             ;   in Loop: Header=BB43_63 Depth=1
	v_lshrrev_b32_e32 v6, 24, v13
	s_delay_alu instid0(VALU_DEP_1)
	v_and_or_b32 v6, 0x80, v6, v14
.LBB43_143:                             ;   in Loop: Header=BB43_63 Depth=1
	s_or_b32 exec_lo, exec_lo, s16
.LBB43_144:                             ;   in Loop: Header=BB43_63 Depth=1
	s_delay_alu instid0(SALU_CYCLE_1) | instskip(SKIP_3) | instid1(VALU_DEP_1)
	s_or_b32 exec_lo, exec_lo, s14
	v_lshrrev_b32_e32 v3, 16, v3
	v_fma_mixlo_f16 v12, v28, v12, 0
	s_mov_b32 s14, exec_lo
	v_mul_f16_e32 v3, v3, v12
	s_delay_alu instid0(VALU_DEP_1) | instskip(NEXT) | instid1(VALU_DEP_1)
	v_cvt_f32_f16_e32 v3, v3
	v_div_scale_f32 v12, null, v5, v5, v3
	s_delay_alu instid0(VALU_DEP_1) | instskip(SKIP_2) | instid1(VALU_DEP_1)
	v_rcp_f32_e32 v13, v12
	s_waitcnt_depctr 0xfff
	v_fma_f32 v14, -v12, v13, 1.0
	v_fmac_f32_e32 v13, v14, v13
	v_div_scale_f32 v14, vcc_lo, v3, v5, v3
	s_delay_alu instid0(VALU_DEP_1) | instskip(NEXT) | instid1(VALU_DEP_1)
	v_mul_f32_e32 v15, v14, v13
	v_fma_f32 v16, -v12, v15, v14
	s_delay_alu instid0(VALU_DEP_1) | instskip(NEXT) | instid1(VALU_DEP_1)
	v_fmac_f32_e32 v15, v16, v13
	v_fma_f32 v12, -v12, v15, v14
	s_delay_alu instid0(VALU_DEP_1) | instskip(NEXT) | instid1(VALU_DEP_1)
	v_div_fmas_f32 v12, v12, v13, v15
	v_div_fixup_f32 v3, v12, v5, v3
	s_delay_alu instid0(VALU_DEP_1) | instskip(NEXT) | instid1(VALU_DEP_1)
	v_minmax_f32 v3, v3, s7, 0xc3600000
	v_and_b32_e32 v12, 0x7fffffff, v3
	s_delay_alu instid0(VALU_DEP_1)
	v_cmpx_gt_u32_e32 0x43800000, v12
	s_cbranch_execz .LBB43_150
; %bb.145:                              ;   in Loop: Header=BB43_63 Depth=1
	v_cmp_lt_u32_e32 vcc_lo, 0x3bffffff, v12
	s_mov_b32 s15, 0
                                        ; implicit-def: $vgpr12
	s_and_saveexec_b32 s16, vcc_lo
	s_delay_alu instid0(SALU_CYCLE_1)
	s_xor_b32 s16, exec_lo, s16
	s_cbranch_execnz .LBB43_186
; %bb.146:                              ;   in Loop: Header=BB43_63 Depth=1
	s_or_saveexec_b32 s16, s16
                                        ; implicit-def: $sgpr17
	s_delay_alu instid0(SALU_CYCLE_1)
	s_xor_b32 exec_lo, exec_lo, s16
	s_cbranch_execnz .LBB43_187
.LBB43_147:                             ;   in Loop: Header=BB43_63 Depth=1
	s_or_b32 exec_lo, exec_lo, s16
	v_mov_b32_e32 v9, s17
	s_and_saveexec_b32 s16, s15
.LBB43_148:                             ;   in Loop: Header=BB43_63 Depth=1
	v_lshrrev_b32_e32 v3, 24, v3
	s_delay_alu instid0(VALU_DEP_1)
	v_and_or_b32 v9, 0x80, v3, v12
.LBB43_149:                             ;   in Loop: Header=BB43_63 Depth=1
	s_or_b32 exec_lo, exec_lo, s16
.LBB43_150:                             ;   in Loop: Header=BB43_63 Depth=1
	s_delay_alu instid0(SALU_CYCLE_1) | instskip(SKIP_2) | instid1(VALU_DEP_1)
	s_or_b32 exec_lo, exec_lo, s14
	v_fma_mixlo_f16 v3, v28, v11, 0
	s_mov_b32 s14, exec_lo
	v_mul_f16_e32 v3, v4, v3
	s_delay_alu instid0(VALU_DEP_1) | instskip(NEXT) | instid1(VALU_DEP_1)
	v_cvt_f32_f16_e32 v3, v3
	v_div_scale_f32 v11, null, v5, v5, v3
	v_div_scale_f32 v14, vcc_lo, v3, v5, v3
	s_delay_alu instid0(VALU_DEP_2) | instskip(SKIP_2) | instid1(VALU_DEP_1)
	v_rcp_f32_e32 v12, v11
	s_waitcnt_depctr 0xfff
	v_fma_f32 v13, -v11, v12, 1.0
	v_fmac_f32_e32 v12, v13, v12
	s_delay_alu instid0(VALU_DEP_1) | instskip(NEXT) | instid1(VALU_DEP_1)
	v_mul_f32_e32 v13, v14, v12
	v_fma_f32 v15, -v11, v13, v14
	s_delay_alu instid0(VALU_DEP_1) | instskip(NEXT) | instid1(VALU_DEP_1)
	v_fmac_f32_e32 v13, v15, v12
	v_fma_f32 v11, -v11, v13, v14
	s_delay_alu instid0(VALU_DEP_1) | instskip(NEXT) | instid1(VALU_DEP_1)
	v_div_fmas_f32 v11, v11, v12, v13
	v_div_fixup_f32 v3, v11, v5, v3
	v_mov_b32_e32 v11, 0x80
	s_delay_alu instid0(VALU_DEP_2) | instskip(SKIP_1) | instid1(VALU_DEP_2)
	v_minmax_f32 v12, v3, s7, 0xc3600000
	v_mov_b32_e32 v3, 0x80
	v_and_b32_e32 v13, 0x7fffffff, v12
	s_delay_alu instid0(VALU_DEP_1)
	v_cmpx_gt_u32_e32 0x43800000, v13
	s_cbranch_execz .LBB43_156
; %bb.151:                              ;   in Loop: Header=BB43_63 Depth=1
	v_cmp_lt_u32_e32 vcc_lo, 0x3bffffff, v13
	s_mov_b32 s15, 0
                                        ; implicit-def: $vgpr13
	s_and_saveexec_b32 s16, vcc_lo
	s_delay_alu instid0(SALU_CYCLE_1)
	s_xor_b32 s16, exec_lo, s16
	s_cbranch_execnz .LBB43_188
; %bb.152:                              ;   in Loop: Header=BB43_63 Depth=1
	s_or_saveexec_b32 s16, s16
                                        ; implicit-def: $sgpr17
	s_delay_alu instid0(SALU_CYCLE_1)
	s_xor_b32 exec_lo, exec_lo, s16
	s_cbranch_execnz .LBB43_189
.LBB43_153:                             ;   in Loop: Header=BB43_63 Depth=1
	s_or_b32 exec_lo, exec_lo, s16
	v_mov_b32_e32 v11, s17
	s_and_saveexec_b32 s16, s15
.LBB43_154:                             ;   in Loop: Header=BB43_63 Depth=1
	v_lshrrev_b32_e32 v11, 24, v12
	s_delay_alu instid0(VALU_DEP_1)
	v_and_or_b32 v11, 0x80, v11, v13
.LBB43_155:                             ;   in Loop: Header=BB43_63 Depth=1
	s_or_b32 exec_lo, exec_lo, s16
.LBB43_156:                             ;   in Loop: Header=BB43_63 Depth=1
	s_delay_alu instid0(SALU_CYCLE_1) | instskip(SKIP_3) | instid1(VALU_DEP_1)
	s_or_b32 exec_lo, exec_lo, s14
	v_lshrrev_b32_e32 v4, 16, v4
	v_fma_mixlo_f16 v10, v28, v10, 0
	s_mov_b32 s14, exec_lo
	v_mul_f16_e32 v4, v4, v10
	s_delay_alu instid0(VALU_DEP_1) | instskip(NEXT) | instid1(VALU_DEP_1)
	v_cvt_f32_f16_e32 v4, v4
	v_div_scale_f32 v10, null, v5, v5, v4
	s_delay_alu instid0(VALU_DEP_1) | instskip(SKIP_2) | instid1(VALU_DEP_1)
	v_rcp_f32_e32 v12, v10
	s_waitcnt_depctr 0xfff
	v_fma_f32 v13, -v10, v12, 1.0
	v_fmac_f32_e32 v12, v13, v12
	v_div_scale_f32 v13, vcc_lo, v4, v5, v4
	s_delay_alu instid0(VALU_DEP_1) | instskip(NEXT) | instid1(VALU_DEP_1)
	v_mul_f32_e32 v14, v13, v12
	v_fma_f32 v15, -v10, v14, v13
	s_delay_alu instid0(VALU_DEP_1) | instskip(NEXT) | instid1(VALU_DEP_1)
	v_fmac_f32_e32 v14, v15, v12
	v_fma_f32 v10, -v10, v14, v13
	s_delay_alu instid0(VALU_DEP_1) | instskip(NEXT) | instid1(VALU_DEP_1)
	v_div_fmas_f32 v10, v10, v12, v14
	v_div_fixup_f32 v4, v10, v5, v4
	s_delay_alu instid0(VALU_DEP_1) | instskip(NEXT) | instid1(VALU_DEP_1)
	v_minmax_f32 v4, v4, s7, 0xc3600000
	v_and_b32_e32 v5, 0x7fffffff, v4
	s_delay_alu instid0(VALU_DEP_1)
	v_cmpx_gt_u32_e32 0x43800000, v5
	s_cbranch_execz .LBB43_59
; %bb.157:                              ;   in Loop: Header=BB43_63 Depth=1
	v_cmp_lt_u32_e32 vcc_lo, 0x3bffffff, v5
	s_mov_b32 s15, 0
                                        ; implicit-def: $vgpr5
	s_and_saveexec_b32 s16, vcc_lo
	s_delay_alu instid0(SALU_CYCLE_1)
	s_xor_b32 s16, exec_lo, s16
	s_cbranch_execnz .LBB43_190
; %bb.158:                              ;   in Loop: Header=BB43_63 Depth=1
	s_or_saveexec_b32 s16, s16
                                        ; implicit-def: $sgpr17
	s_delay_alu instid0(SALU_CYCLE_1)
	s_xor_b32 exec_lo, exec_lo, s16
	s_cbranch_execnz .LBB43_191
.LBB43_159:                             ;   in Loop: Header=BB43_63 Depth=1
	s_or_b32 exec_lo, exec_lo, s16
	v_mov_b32_e32 v3, s17
	s_and_saveexec_b32 s16, s15
	s_cbranch_execz .LBB43_58
	s_branch .LBB43_192
.LBB43_160:                             ;   in Loop: Header=BB43_63 Depth=1
	v_bfe_u32 v6, v12, 20, 1
	s_mov_b32 s12, exec_lo
	s_delay_alu instid0(VALU_DEP_1) | instskip(NEXT) | instid1(VALU_DEP_1)
	v_add3_u32 v6, v12, v6, 0x487ffff
	v_lshrrev_b32_e32 v13, 20, v6
	s_or_saveexec_b32 s13, s13
                                        ; implicit-def: $sgpr14
	s_delay_alu instid0(SALU_CYCLE_1)
	s_xor_b32 exec_lo, exec_lo, s13
	s_cbranch_execz .LBB43_66
.LBB43_161:                             ;   in Loop: Header=BB43_63 Depth=1
	v_add_f32_e64 v6, 0x46000000, |v12|
	s_and_not1_b32 s12, s12, exec_lo
	s_mov_b32 s14, 0
	s_delay_alu instid0(VALU_DEP_1) | instskip(NEXT) | instid1(VALU_DEP_1)
	v_and_b32_e32 v13, 0xff, v6
	v_cmp_ne_u32_e32 vcc_lo, 0, v13
	s_and_b32 s15, vcc_lo, exec_lo
	s_delay_alu instid0(SALU_CYCLE_1)
	s_or_b32 s12, s12, s15
	s_or_b32 exec_lo, exec_lo, s13
	v_mov_b32_e32 v6, s14
	s_and_saveexec_b32 s13, s12
	s_cbranch_execnz .LBB43_67
	s_branch .LBB43_68
.LBB43_162:                             ;   in Loop: Header=BB43_63 Depth=1
	v_bfe_u32 v5, v2, 20, 1
	s_mov_b32 s12, exec_lo
	s_delay_alu instid0(VALU_DEP_1) | instskip(NEXT) | instid1(VALU_DEP_1)
	v_add3_u32 v5, v2, v5, 0x487ffff
	v_lshrrev_b32_e32 v11, 20, v5
	s_or_saveexec_b32 s13, s13
                                        ; implicit-def: $sgpr14
	s_delay_alu instid0(SALU_CYCLE_1)
	s_xor_b32 exec_lo, exec_lo, s13
	s_cbranch_execz .LBB43_72
.LBB43_163:                             ;   in Loop: Header=BB43_63 Depth=1
	v_add_f32_e64 v5, 0x46000000, |v2|
	s_and_not1_b32 s12, s12, exec_lo
	s_mov_b32 s14, 0
	s_delay_alu instid0(VALU_DEP_1) | instskip(NEXT) | instid1(VALU_DEP_1)
	v_and_b32_e32 v11, 0xff, v5
	v_cmp_ne_u32_e32 vcc_lo, 0, v11
	s_and_b32 s15, vcc_lo, exec_lo
	s_delay_alu instid0(SALU_CYCLE_1)
	s_or_b32 s12, s12, s15
	s_or_b32 exec_lo, exec_lo, s13
	v_mov_b32_e32 v5, s14
	s_and_saveexec_b32 s13, s12
	s_cbranch_execnz .LBB43_73
	s_branch .LBB43_74
.LBB43_164:                             ;   in Loop: Header=BB43_63 Depth=1
	v_bfe_u32 v10, v11, 20, 1
	s_mov_b32 s12, exec_lo
	s_delay_alu instid0(VALU_DEP_1) | instskip(NEXT) | instid1(VALU_DEP_1)
	v_add3_u32 v10, v11, v10, 0x487ffff
	v_lshrrev_b32_e32 v12, 20, v10
	s_or_saveexec_b32 s13, s13
                                        ; implicit-def: $sgpr14
	s_delay_alu instid0(SALU_CYCLE_1)
	s_xor_b32 exec_lo, exec_lo, s13
	s_cbranch_execz .LBB43_78
.LBB43_165:                             ;   in Loop: Header=BB43_63 Depth=1
	v_add_f32_e64 v10, 0x46000000, |v11|
	s_and_not1_b32 s12, s12, exec_lo
	s_mov_b32 s14, 0
	s_delay_alu instid0(VALU_DEP_1) | instskip(NEXT) | instid1(VALU_DEP_1)
	v_and_b32_e32 v12, 0xff, v10
	v_cmp_ne_u32_e32 vcc_lo, 0, v12
	s_and_b32 s15, vcc_lo, exec_lo
	s_delay_alu instid0(SALU_CYCLE_1)
	s_or_b32 s12, s12, s15
	s_or_b32 exec_lo, exec_lo, s13
	v_mov_b32_e32 v10, s14
	s_and_saveexec_b32 s13, s12
	s_cbranch_execnz .LBB43_79
	s_branch .LBB43_80
.LBB43_166:                             ;   in Loop: Header=BB43_63 Depth=1
	v_bfe_u32 v2, v3, 20, 1
	s_mov_b32 s12, exec_lo
	s_delay_alu instid0(VALU_DEP_1) | instskip(NEXT) | instid1(VALU_DEP_1)
	v_add3_u32 v2, v3, v2, 0x487ffff
	v_lshrrev_b32_e32 v4, 20, v2
	s_or_saveexec_b32 s13, s13
                                        ; implicit-def: $sgpr14
	s_delay_alu instid0(SALU_CYCLE_1)
	s_xor_b32 exec_lo, exec_lo, s13
	s_cbranch_execz .LBB43_84
.LBB43_167:                             ;   in Loop: Header=BB43_63 Depth=1
	v_add_f32_e64 v2, 0x46000000, |v3|
	s_and_not1_b32 s12, s12, exec_lo
	s_mov_b32 s14, 0
	s_delay_alu instid0(VALU_DEP_1) | instskip(NEXT) | instid1(VALU_DEP_1)
	v_and_b32_e32 v4, 0xff, v2
	v_cmp_ne_u32_e32 vcc_lo, 0, v4
	s_and_b32 s15, vcc_lo, exec_lo
	s_delay_alu instid0(SALU_CYCLE_1)
	s_or_b32 s12, s12, s15
	s_or_b32 exec_lo, exec_lo, s13
	v_mov_b32_e32 v2, s14
	s_and_saveexec_b32 s13, s12
	s_cbranch_execnz .LBB43_85
	s_branch .LBB43_86
.LBB43_168:                             ;   in Loop: Header=BB43_63 Depth=1
	v_bfe_u32 v10, v14, 20, 1
	s_mov_b32 s13, exec_lo
	s_delay_alu instid0(VALU_DEP_1) | instskip(NEXT) | instid1(VALU_DEP_1)
	v_add3_u32 v10, v14, v10, 0x487ffff
	v_lshrrev_b32_e32 v15, 20, v10
	s_or_saveexec_b32 s14, s14
                                        ; implicit-def: $sgpr15
	s_delay_alu instid0(SALU_CYCLE_1)
	s_xor_b32 exec_lo, exec_lo, s14
	s_cbranch_execz .LBB43_91
.LBB43_169:                             ;   in Loop: Header=BB43_63 Depth=1
	v_add_f32_e64 v10, 0x46000000, |v14|
	s_and_not1_b32 s13, s13, exec_lo
	s_mov_b32 s15, 0
	s_delay_alu instid0(VALU_DEP_1) | instskip(NEXT) | instid1(VALU_DEP_1)
	v_and_b32_e32 v15, 0xff, v10
	v_cmp_ne_u32_e32 vcc_lo, 0, v15
	s_and_b32 s16, vcc_lo, exec_lo
	s_delay_alu instid0(SALU_CYCLE_1)
	s_or_b32 s13, s13, s16
	s_or_b32 exec_lo, exec_lo, s14
	v_mov_b32_e32 v10, s15
	s_and_saveexec_b32 s14, s13
	s_cbranch_execnz .LBB43_92
	s_branch .LBB43_93
.LBB43_170:                             ;   in Loop: Header=BB43_63 Depth=1
	v_bfe_u32 v9, v4, 20, 1
	s_mov_b32 s13, exec_lo
	s_delay_alu instid0(VALU_DEP_1) | instskip(NEXT) | instid1(VALU_DEP_1)
	v_add3_u32 v9, v4, v9, 0x487ffff
	v_lshrrev_b32_e32 v13, 20, v9
	s_or_saveexec_b32 s14, s14
                                        ; implicit-def: $sgpr15
	s_delay_alu instid0(SALU_CYCLE_1)
	s_xor_b32 exec_lo, exec_lo, s14
	s_cbranch_execz .LBB43_97
.LBB43_171:                             ;   in Loop: Header=BB43_63 Depth=1
	v_add_f32_e64 v9, 0x46000000, |v4|
	s_and_not1_b32 s13, s13, exec_lo
	s_mov_b32 s15, 0
	s_delay_alu instid0(VALU_DEP_1) | instskip(NEXT) | instid1(VALU_DEP_1)
	v_and_b32_e32 v13, 0xff, v9
	v_cmp_ne_u32_e32 vcc_lo, 0, v13
	s_and_b32 s16, vcc_lo, exec_lo
	s_delay_alu instid0(SALU_CYCLE_1)
	s_or_b32 s13, s13, s16
	s_or_b32 exec_lo, exec_lo, s14
	v_mov_b32_e32 v9, s15
	s_and_saveexec_b32 s14, s13
	s_cbranch_execnz .LBB43_98
	s_branch .LBB43_99
.LBB43_172:                             ;   in Loop: Header=BB43_63 Depth=1
	v_bfe_u32 v12, v13, 20, 1
	s_mov_b32 s13, exec_lo
	s_delay_alu instid0(VALU_DEP_1) | instskip(NEXT) | instid1(VALU_DEP_1)
	v_add3_u32 v12, v13, v12, 0x487ffff
	v_lshrrev_b32_e32 v14, 20, v12
	s_or_saveexec_b32 s14, s14
                                        ; implicit-def: $sgpr15
	s_delay_alu instid0(SALU_CYCLE_1)
	s_xor_b32 exec_lo, exec_lo, s14
	s_cbranch_execz .LBB43_103
.LBB43_173:                             ;   in Loop: Header=BB43_63 Depth=1
	v_add_f32_e64 v12, 0x46000000, |v13|
	s_and_not1_b32 s13, s13, exec_lo
	s_mov_b32 s15, 0
	s_delay_alu instid0(VALU_DEP_1) | instskip(NEXT) | instid1(VALU_DEP_1)
	v_and_b32_e32 v14, 0xff, v12
	v_cmp_ne_u32_e32 vcc_lo, 0, v14
	s_and_b32 s16, vcc_lo, exec_lo
	s_delay_alu instid0(SALU_CYCLE_1)
	s_or_b32 s13, s13, s16
	s_or_b32 exec_lo, exec_lo, s14
	v_mov_b32_e32 v12, s15
	s_and_saveexec_b32 s14, s13
	s_cbranch_execnz .LBB43_104
	s_branch .LBB43_105
.LBB43_174:                             ;   in Loop: Header=BB43_63 Depth=1
	v_bfe_u32 v4, v5, 20, 1
	s_mov_b32 s13, exec_lo
	s_delay_alu instid0(VALU_DEP_1) | instskip(NEXT) | instid1(VALU_DEP_1)
	v_add3_u32 v4, v5, v4, 0x487ffff
	v_lshrrev_b32_e32 v6, 20, v4
	s_or_saveexec_b32 s14, s14
                                        ; implicit-def: $sgpr15
	s_delay_alu instid0(SALU_CYCLE_1)
	s_xor_b32 exec_lo, exec_lo, s14
	s_cbranch_execz .LBB43_109
.LBB43_175:                             ;   in Loop: Header=BB43_63 Depth=1
	v_add_f32_e64 v4, 0x46000000, |v5|
	s_and_not1_b32 s13, s13, exec_lo
	s_mov_b32 s15, 0
	s_delay_alu instid0(VALU_DEP_1) | instskip(NEXT) | instid1(VALU_DEP_1)
	v_and_b32_e32 v6, 0xff, v4
	v_cmp_ne_u32_e32 vcc_lo, 0, v6
	s_and_b32 s16, vcc_lo, exec_lo
	s_delay_alu instid0(SALU_CYCLE_1)
	s_or_b32 s13, s13, s16
	s_or_b32 exec_lo, exec_lo, s14
	v_mov_b32_e32 v4, s15
	s_and_saveexec_b32 s14, s13
	s_cbranch_execnz .LBB43_110
	s_branch .LBB43_111
.LBB43_176:                             ;   in Loop: Header=BB43_63 Depth=1
	v_bfe_u32 v11, v15, 20, 1
	s_mov_b32 s14, exec_lo
	s_delay_alu instid0(VALU_DEP_1) | instskip(NEXT) | instid1(VALU_DEP_1)
	v_add3_u32 v11, v15, v11, 0x487ffff
	v_lshrrev_b32_e32 v16, 20, v11
	s_or_saveexec_b32 s15, s15
                                        ; implicit-def: $sgpr16
	s_delay_alu instid0(SALU_CYCLE_1)
	s_xor_b32 exec_lo, exec_lo, s15
	s_cbranch_execz .LBB43_116
.LBB43_177:                             ;   in Loop: Header=BB43_63 Depth=1
	v_add_f32_e64 v11, 0x46000000, |v15|
	s_and_not1_b32 s14, s14, exec_lo
	s_mov_b32 s16, 0
	s_delay_alu instid0(VALU_DEP_1) | instskip(NEXT) | instid1(VALU_DEP_1)
	v_and_b32_e32 v16, 0xff, v11
	v_cmp_ne_u32_e32 vcc_lo, 0, v16
	s_and_b32 s17, vcc_lo, exec_lo
	s_delay_alu instid0(SALU_CYCLE_1)
	s_or_b32 s14, s14, s17
	s_or_b32 exec_lo, exec_lo, s15
	v_mov_b32_e32 v11, s16
	s_and_saveexec_b32 s15, s14
	s_cbranch_execnz .LBB43_117
	s_branch .LBB43_118
.LBB43_178:                             ;   in Loop: Header=BB43_63 Depth=1
	v_bfe_u32 v10, v5, 20, 1
	s_mov_b32 s14, exec_lo
	s_delay_alu instid0(VALU_DEP_1) | instskip(NEXT) | instid1(VALU_DEP_1)
	v_add3_u32 v10, v5, v10, 0x487ffff
	v_lshrrev_b32_e32 v14, 20, v10
	s_or_saveexec_b32 s15, s15
                                        ; implicit-def: $sgpr16
	s_delay_alu instid0(SALU_CYCLE_1)
	s_xor_b32 exec_lo, exec_lo, s15
	s_cbranch_execz .LBB43_122
.LBB43_179:                             ;   in Loop: Header=BB43_63 Depth=1
	v_add_f32_e64 v10, 0x46000000, |v5|
	s_and_not1_b32 s14, s14, exec_lo
	s_mov_b32 s16, 0
	s_delay_alu instid0(VALU_DEP_1) | instskip(NEXT) | instid1(VALU_DEP_1)
	v_and_b32_e32 v14, 0xff, v10
	v_cmp_ne_u32_e32 vcc_lo, 0, v14
	s_and_b32 s17, vcc_lo, exec_lo
	s_delay_alu instid0(SALU_CYCLE_1)
	s_or_b32 s14, s14, s17
	s_or_b32 exec_lo, exec_lo, s15
	v_mov_b32_e32 v10, s16
	s_and_saveexec_b32 s15, s14
	s_cbranch_execnz .LBB43_123
	s_branch .LBB43_124
.LBB43_180:                             ;   in Loop: Header=BB43_63 Depth=1
	v_bfe_u32 v13, v14, 20, 1
	s_mov_b32 s14, exec_lo
	s_delay_alu instid0(VALU_DEP_1) | instskip(NEXT) | instid1(VALU_DEP_1)
	v_add3_u32 v13, v14, v13, 0x487ffff
	v_lshrrev_b32_e32 v15, 20, v13
	s_or_saveexec_b32 s15, s15
                                        ; implicit-def: $sgpr16
	s_delay_alu instid0(SALU_CYCLE_1)
	s_xor_b32 exec_lo, exec_lo, s15
	s_cbranch_execz .LBB43_128
.LBB43_181:                             ;   in Loop: Header=BB43_63 Depth=1
	v_add_f32_e64 v13, 0x46000000, |v14|
	s_and_not1_b32 s14, s14, exec_lo
	s_mov_b32 s16, 0
	s_delay_alu instid0(VALU_DEP_1) | instskip(NEXT) | instid1(VALU_DEP_1)
	v_and_b32_e32 v15, 0xff, v13
	v_cmp_ne_u32_e32 vcc_lo, 0, v15
	s_and_b32 s17, vcc_lo, exec_lo
	s_delay_alu instid0(SALU_CYCLE_1)
	s_or_b32 s14, s14, s17
	s_or_b32 exec_lo, exec_lo, s15
	v_mov_b32_e32 v13, s16
	s_and_saveexec_b32 s15, s14
	s_cbranch_execnz .LBB43_129
	s_branch .LBB43_130
.LBB43_182:                             ;   in Loop: Header=BB43_63 Depth=1
	v_bfe_u32 v5, v6, 20, 1
	s_mov_b32 s14, exec_lo
	s_delay_alu instid0(VALU_DEP_1) | instskip(NEXT) | instid1(VALU_DEP_1)
	v_add3_u32 v5, v6, v5, 0x487ffff
	v_lshrrev_b32_e32 v9, 20, v5
	s_or_saveexec_b32 s15, s15
                                        ; implicit-def: $sgpr16
	s_delay_alu instid0(SALU_CYCLE_1)
	s_xor_b32 exec_lo, exec_lo, s15
	s_cbranch_execz .LBB43_134
.LBB43_183:                             ;   in Loop: Header=BB43_63 Depth=1
	v_add_f32_e64 v5, 0x46000000, |v6|
	s_and_not1_b32 s14, s14, exec_lo
	s_mov_b32 s16, 0
	s_delay_alu instid0(VALU_DEP_1) | instskip(NEXT) | instid1(VALU_DEP_1)
	v_and_b32_e32 v9, 0xff, v5
	v_cmp_ne_u32_e32 vcc_lo, 0, v9
	s_and_b32 s17, vcc_lo, exec_lo
	s_delay_alu instid0(SALU_CYCLE_1)
	s_or_b32 s14, s14, s17
	s_or_b32 exec_lo, exec_lo, s15
	v_mov_b32_e32 v5, s16
	s_and_saveexec_b32 s15, s14
	s_cbranch_execnz .LBB43_135
	s_branch .LBB43_136
.LBB43_184:                             ;   in Loop: Header=BB43_63 Depth=1
	v_bfe_u32 v6, v13, 20, 1
	s_mov_b32 s15, exec_lo
	s_delay_alu instid0(VALU_DEP_1) | instskip(NEXT) | instid1(VALU_DEP_1)
	v_add3_u32 v6, v13, v6, 0x487ffff
	v_lshrrev_b32_e32 v14, 20, v6
	s_or_saveexec_b32 s16, s16
                                        ; implicit-def: $sgpr17
	s_delay_alu instid0(SALU_CYCLE_1)
	s_xor_b32 exec_lo, exec_lo, s16
	s_cbranch_execz .LBB43_141
.LBB43_185:                             ;   in Loop: Header=BB43_63 Depth=1
	v_add_f32_e64 v6, 0x46000000, |v13|
	s_and_not1_b32 s15, s15, exec_lo
	s_mov_b32 s17, 0
	s_delay_alu instid0(VALU_DEP_1) | instskip(NEXT) | instid1(VALU_DEP_1)
	v_and_b32_e32 v14, 0xff, v6
	v_cmp_ne_u32_e32 vcc_lo, 0, v14
	s_and_b32 s18, vcc_lo, exec_lo
	s_delay_alu instid0(SALU_CYCLE_1)
	s_or_b32 s15, s15, s18
	s_or_b32 exec_lo, exec_lo, s16
	v_mov_b32_e32 v6, s17
	s_and_saveexec_b32 s16, s15
	s_cbranch_execnz .LBB43_142
	s_branch .LBB43_143
.LBB43_186:                             ;   in Loop: Header=BB43_63 Depth=1
	v_bfe_u32 v9, v3, 20, 1
	s_mov_b32 s15, exec_lo
	s_delay_alu instid0(VALU_DEP_1) | instskip(NEXT) | instid1(VALU_DEP_1)
	v_add3_u32 v9, v3, v9, 0x487ffff
	v_lshrrev_b32_e32 v12, 20, v9
	s_or_saveexec_b32 s16, s16
                                        ; implicit-def: $sgpr17
	s_delay_alu instid0(SALU_CYCLE_1)
	s_xor_b32 exec_lo, exec_lo, s16
	s_cbranch_execz .LBB43_147
.LBB43_187:                             ;   in Loop: Header=BB43_63 Depth=1
	v_add_f32_e64 v9, 0x46000000, |v3|
	s_and_not1_b32 s15, s15, exec_lo
	s_mov_b32 s17, 0
	s_delay_alu instid0(VALU_DEP_1) | instskip(NEXT) | instid1(VALU_DEP_1)
	v_and_b32_e32 v12, 0xff, v9
	v_cmp_ne_u32_e32 vcc_lo, 0, v12
	s_and_b32 s18, vcc_lo, exec_lo
	s_delay_alu instid0(SALU_CYCLE_1)
	s_or_b32 s15, s15, s18
	s_or_b32 exec_lo, exec_lo, s16
	v_mov_b32_e32 v9, s17
	s_and_saveexec_b32 s16, s15
	s_cbranch_execnz .LBB43_148
	s_branch .LBB43_149
.LBB43_188:                             ;   in Loop: Header=BB43_63 Depth=1
	v_bfe_u32 v11, v12, 20, 1
	s_mov_b32 s15, exec_lo
	s_delay_alu instid0(VALU_DEP_1) | instskip(NEXT) | instid1(VALU_DEP_1)
	v_add3_u32 v11, v12, v11, 0x487ffff
	v_lshrrev_b32_e32 v13, 20, v11
	s_or_saveexec_b32 s16, s16
                                        ; implicit-def: $sgpr17
	s_delay_alu instid0(SALU_CYCLE_1)
	s_xor_b32 exec_lo, exec_lo, s16
	s_cbranch_execz .LBB43_153
.LBB43_189:                             ;   in Loop: Header=BB43_63 Depth=1
	v_add_f32_e64 v11, 0x46000000, |v12|
	s_and_not1_b32 s15, s15, exec_lo
	s_mov_b32 s17, 0
	s_delay_alu instid0(VALU_DEP_1) | instskip(NEXT) | instid1(VALU_DEP_1)
	v_and_b32_e32 v13, 0xff, v11
	v_cmp_ne_u32_e32 vcc_lo, 0, v13
	s_and_b32 s18, vcc_lo, exec_lo
	s_delay_alu instid0(SALU_CYCLE_1)
	s_or_b32 s15, s15, s18
	s_or_b32 exec_lo, exec_lo, s16
	v_mov_b32_e32 v11, s17
	s_and_saveexec_b32 s16, s15
	s_cbranch_execnz .LBB43_154
	s_branch .LBB43_155
.LBB43_190:                             ;   in Loop: Header=BB43_63 Depth=1
	v_bfe_u32 v3, v4, 20, 1
	s_mov_b32 s15, exec_lo
	s_delay_alu instid0(VALU_DEP_1) | instskip(NEXT) | instid1(VALU_DEP_1)
	v_add3_u32 v3, v4, v3, 0x487ffff
	v_lshrrev_b32_e32 v5, 20, v3
	s_or_saveexec_b32 s16, s16
                                        ; implicit-def: $sgpr17
	s_delay_alu instid0(SALU_CYCLE_1)
	s_xor_b32 exec_lo, exec_lo, s16
	s_cbranch_execz .LBB43_159
.LBB43_191:                             ;   in Loop: Header=BB43_63 Depth=1
	v_add_f32_e64 v3, 0x46000000, |v4|
	s_and_not1_b32 s15, s15, exec_lo
	s_mov_b32 s17, 0
	s_delay_alu instid0(VALU_DEP_1) | instskip(NEXT) | instid1(VALU_DEP_1)
	v_and_b32_e32 v5, 0xff, v3
	v_cmp_ne_u32_e32 vcc_lo, 0, v5
	s_and_b32 s18, vcc_lo, exec_lo
	s_delay_alu instid0(SALU_CYCLE_1)
	s_or_b32 s15, s15, s18
	s_or_b32 exec_lo, exec_lo, s16
	v_mov_b32_e32 v3, s17
	s_and_saveexec_b32 s16, s15
	s_cbranch_execz .LBB43_58
.LBB43_192:                             ;   in Loop: Header=BB43_63 Depth=1
	v_lshrrev_b32_e32 v3, 24, v4
	s_delay_alu instid0(VALU_DEP_1)
	v_and_or_b32 v3, 0x80, v3, v5
	s_branch .LBB43_58
.LBB43_193:
	s_nop 0
	s_sendmsg sendmsg(MSG_DEALLOC_VGPRS)
	s_endpgm
.LBB43_194:
                                        ; implicit-def: $vgpr3_vgpr4
	s_branch .LBB43_51
.LBB43_195:
                                        ; implicit-def: $vgpr1_vgpr2
	s_branch .LBB43_56
	.section	.rodata,"a",@progbits
	.p2align	6, 0x0
	.amdhsa_kernel _ZN4vllm31rms_norm_per_block_quant_kernelIN3c104HalfENS1_15Float8_e4m3fnuzELb1ELb1ELi128EEEvPT0_PfPKT_S9_PKffiiPS7_l
		.amdhsa_group_segment_fixed_size 4228
		.amdhsa_private_segment_fixed_size 0
		.amdhsa_kernarg_size 328
		.amdhsa_user_sgpr_count 15
		.amdhsa_user_sgpr_dispatch_ptr 0
		.amdhsa_user_sgpr_queue_ptr 0
		.amdhsa_user_sgpr_kernarg_segment_ptr 1
		.amdhsa_user_sgpr_dispatch_id 0
		.amdhsa_user_sgpr_private_segment_size 0
		.amdhsa_wavefront_size32 1
		.amdhsa_uses_dynamic_stack 0
		.amdhsa_enable_private_segment 0
		.amdhsa_system_sgpr_workgroup_id_x 1
		.amdhsa_system_sgpr_workgroup_id_y 0
		.amdhsa_system_sgpr_workgroup_id_z 0
		.amdhsa_system_sgpr_workgroup_info 0
		.amdhsa_system_vgpr_workitem_id 0
		.amdhsa_next_free_vgpr 35
		.amdhsa_next_free_sgpr 42
		.amdhsa_reserve_vcc 1
		.amdhsa_float_round_mode_32 0
		.amdhsa_float_round_mode_16_64 0
		.amdhsa_float_denorm_mode_32 3
		.amdhsa_float_denorm_mode_16_64 3
		.amdhsa_dx10_clamp 1
		.amdhsa_ieee_mode 1
		.amdhsa_fp16_overflow 0
		.amdhsa_workgroup_processor_mode 1
		.amdhsa_memory_ordered 1
		.amdhsa_forward_progress 0
		.amdhsa_shared_vgpr_count 0
		.amdhsa_exception_fp_ieee_invalid_op 0
		.amdhsa_exception_fp_denorm_src 0
		.amdhsa_exception_fp_ieee_div_zero 0
		.amdhsa_exception_fp_ieee_overflow 0
		.amdhsa_exception_fp_ieee_underflow 0
		.amdhsa_exception_fp_ieee_inexact 0
		.amdhsa_exception_int_div_zero 0
	.end_amdhsa_kernel
	.section	.text._ZN4vllm31rms_norm_per_block_quant_kernelIN3c104HalfENS1_15Float8_e4m3fnuzELb1ELb1ELi128EEEvPT0_PfPKT_S9_PKffiiPS7_l,"axG",@progbits,_ZN4vllm31rms_norm_per_block_quant_kernelIN3c104HalfENS1_15Float8_e4m3fnuzELb1ELb1ELi128EEEvPT0_PfPKT_S9_PKffiiPS7_l,comdat
.Lfunc_end43:
	.size	_ZN4vllm31rms_norm_per_block_quant_kernelIN3c104HalfENS1_15Float8_e4m3fnuzELb1ELb1ELi128EEEvPT0_PfPKT_S9_PKffiiPS7_l, .Lfunc_end43-_ZN4vllm31rms_norm_per_block_quant_kernelIN3c104HalfENS1_15Float8_e4m3fnuzELb1ELb1ELi128EEEvPT0_PfPKT_S9_PKffiiPS7_l
                                        ; -- End function
	.section	.AMDGPU.csdata,"",@progbits
; Kernel info:
; codeLenInByte = 14256
; NumSgprs: 44
; NumVgprs: 35
; ScratchSize: 0
; MemoryBound: 0
; FloatMode: 240
; IeeeMode: 1
; LDSByteSize: 4228 bytes/workgroup (compile time only)
; SGPRBlocks: 5
; VGPRBlocks: 4
; NumSGPRsForWavesPerEU: 44
; NumVGPRsForWavesPerEU: 35
; Occupancy: 16
; WaveLimiterHint : 0
; COMPUTE_PGM_RSRC2:SCRATCH_EN: 0
; COMPUTE_PGM_RSRC2:USER_SGPR: 15
; COMPUTE_PGM_RSRC2:TRAP_HANDLER: 0
; COMPUTE_PGM_RSRC2:TGID_X_EN: 1
; COMPUTE_PGM_RSRC2:TGID_Y_EN: 0
; COMPUTE_PGM_RSRC2:TGID_Z_EN: 0
; COMPUTE_PGM_RSRC2:TIDIG_COMP_CNT: 0
	.section	.text._ZN4vllm31rms_norm_per_block_quant_kernelIN3c104HalfEaLb1ELb1ELi128EEEvPT0_PfPKT_S8_PKffiiPS6_l,"axG",@progbits,_ZN4vllm31rms_norm_per_block_quant_kernelIN3c104HalfEaLb1ELb1ELi128EEEvPT0_PfPKT_S8_PKffiiPS6_l,comdat
	.protected	_ZN4vllm31rms_norm_per_block_quant_kernelIN3c104HalfEaLb1ELb1ELi128EEEvPT0_PfPKT_S8_PKffiiPS6_l ; -- Begin function _ZN4vllm31rms_norm_per_block_quant_kernelIN3c104HalfEaLb1ELb1ELi128EEEvPT0_PfPKT_S8_PKffiiPS6_l
	.globl	_ZN4vllm31rms_norm_per_block_quant_kernelIN3c104HalfEaLb1ELb1ELi128EEEvPT0_PfPKT_S8_PKffiiPS6_l
	.p2align	8
	.type	_ZN4vllm31rms_norm_per_block_quant_kernelIN3c104HalfEaLb1ELb1ELi128EEEvPT0_PfPKT_S8_PKffiiPS6_l,@function
_ZN4vllm31rms_norm_per_block_quant_kernelIN3c104HalfEaLb1ELb1ELi128EEEvPT0_PfPKT_S8_PKffiiPS6_l: ; @_ZN4vllm31rms_norm_per_block_quant_kernelIN3c104HalfEaLb1ELb1ELi128EEEvPT0_PfPKT_S8_PKffiiPS6_l
; %bb.0:
	s_mov_b32 s16, s15
	s_clause 0x3
	s_load_b128 s[12:15], s[0:1], 0x28
	s_load_b256 s[4:11], s[0:1], 0x0
	s_load_b64 s[2:3], s[0:1], 0x38
	s_load_b32 s34, s[0:1], 0x48
	v_mov_b32_e32 v6, 0
	s_waitcnt lgkmcnt(0)
	s_ashr_i32 s15, s14, 31
	s_mul_hi_u32 s17, s14, s16
	s_mul_i32 s15, s15, s16
	s_ashr_i32 s19, s13, 31
	s_mul_i32 s20, s14, s16
	s_add_i32 s21, s17, s15
	s_mul_hi_u32 s18, s13, s16
	s_mul_i32 s15, s19, s16
	s_lshl_b64 s[20:21], s[20:21], 1
	s_mul_i32 s14, s13, s16
	s_add_i32 s15, s18, s15
	s_add_u32 s28, s8, s20
	s_addc_u32 s29, s9, s21
	s_lshl_b64 s[8:9], s[14:15], 1
	s_mov_b32 s17, 0
	s_add_u32 s30, s2, s8
	s_addc_u32 s31, s3, s9
	s_ashr_i32 s8, s13, 2
	s_add_u32 s20, s0, 0x48
	v_cmp_gt_u32_e64 s2, s8, v0
	s_mov_b32 s18, s13
	s_addc_u32 s21, s1, 0
	s_delay_alu instid0(VALU_DEP_1)
	s_and_saveexec_b32 s3, s2
	s_cbranch_execz .LBB44_10
; %bb.1:
	s_cmp_lt_u32 s16, s34
	v_mov_b32_e32 v2, 0
	s_cselect_b32 s9, 12, 18
                                        ; implicit-def: $sgpr13
	v_mov_b32_e32 v1, v0
	s_add_u32 s22, s20, s9
	s_addc_u32 s23, s21, 0
	s_mov_b32 s9, s17
	global_load_u16 v7, v2, s[22:23]
	s_waitcnt vmcnt(0)
	v_lshlrev_b32_e32 v9, 1, v7
	v_mul_lo_u32 v8, v7, 3
	v_add_nc_u32_e32 v10, v7, v7
	v_mov_b32_e32 v6, v2
	s_branch .LBB44_5
.LBB44_2:                               ;   in Loop: Header=BB44_5 Depth=1
	s_or_b32 exec_lo, exec_lo, s24
	s_delay_alu instid0(SALU_CYCLE_1)
	s_or_not1_b32 s24, s25, exec_lo
.LBB44_3:                               ;   in Loop: Header=BB44_5 Depth=1
	s_or_b32 exec_lo, exec_lo, s23
	s_delay_alu instid0(SALU_CYCLE_1) | instskip(SKIP_1) | instid1(SALU_CYCLE_1)
	s_and_not1_b32 s13, s13, exec_lo
	s_and_b32 s23, s24, exec_lo
	s_or_b32 s13, s13, s23
.LBB44_4:                               ;   in Loop: Header=BB44_5 Depth=1
	s_or_b32 exec_lo, exec_lo, s22
	s_delay_alu instid0(SALU_CYCLE_1) | instskip(NEXT) | instid1(SALU_CYCLE_1)
	s_and_b32 s22, exec_lo, s13
	s_or_b32 s9, s22, s9
	s_delay_alu instid0(SALU_CYCLE_1)
	s_and_not1_b32 exec_lo, exec_lo, s9
	s_cbranch_execz .LBB44_9
.LBB44_5:                               ; =>This Inner Loop Header: Depth=1
	v_lshlrev_b64 v[3:4], 3, v[1:2]
	s_or_b32 s13, s13, exec_lo
	s_mov_b32 s22, exec_lo
	s_delay_alu instid0(VALU_DEP_1) | instskip(NEXT) | instid1(VALU_DEP_2)
	v_add_co_u32 v11, vcc_lo, s28, v3
	v_add_co_ci_u32_e32 v12, vcc_lo, s29, v4, vcc_lo
	v_add_co_u32 v3, vcc_lo, s30, v3
	v_add_co_ci_u32_e32 v4, vcc_lo, s31, v4, vcc_lo
	global_load_b64 v[11:12], v[11:12], off
	global_load_b64 v[3:4], v[3:4], off
	s_waitcnt vmcnt(1)
	v_lshrrev_b32_e32 v5, 16, v11
	s_waitcnt vmcnt(0)
	v_lshrrev_b32_e32 v13, 16, v3
	v_cvt_f32_f16_e32 v11, v11
	v_cvt_f32_f16_e32 v3, v3
	v_lshrrev_b32_e32 v14, 16, v12
	v_cvt_f32_f16_e32 v5, v5
	v_cvt_f32_f16_e32 v13, v13
	s_delay_alu instid0(VALU_DEP_1) | instskip(SKIP_4) | instid1(VALU_DEP_4)
	v_add_f32_e32 v5, v5, v13
	v_add_f32_e32 v3, v11, v3
	v_cvt_f32_f16_e32 v11, v12
	v_lshrrev_b32_e32 v12, 16, v4
	v_cvt_f32_f16_e32 v4, v4
	v_fmac_f32_e32 v6, v3, v3
	v_cvt_f32_f16_e32 v3, v14
	s_delay_alu instid0(VALU_DEP_3) | instskip(SKIP_1) | instid1(VALU_DEP_1)
	v_add_f32_e32 v4, v11, v4
	v_cvt_f32_f16_e32 v11, v12
	v_dual_fmac_f32 v6, v5, v5 :: v_dual_add_f32 v5, v3, v11
	s_delay_alu instid0(VALU_DEP_1) | instskip(NEXT) | instid1(VALU_DEP_1)
	v_dual_fmac_f32 v6, v4, v4 :: v_dual_add_nc_u32 v3, v1, v7
	v_fmac_f32_e32 v6, v5, v5
	s_delay_alu instid0(VALU_DEP_2)
	v_cmpx_gt_u32_e64 s8, v3
	s_cbranch_execz .LBB44_4
; %bb.6:                                ;   in Loop: Header=BB44_5 Depth=1
	v_mov_b32_e32 v4, v2
	s_mov_b32 s24, -1
	s_mov_b32 s23, exec_lo
	s_delay_alu instid0(VALU_DEP_1) | instskip(NEXT) | instid1(VALU_DEP_1)
	v_lshlrev_b64 v[4:5], 3, v[3:4]
	v_add_co_u32 v11, vcc_lo, s28, v4
	s_delay_alu instid0(VALU_DEP_2)
	v_add_co_ci_u32_e32 v12, vcc_lo, s29, v5, vcc_lo
	v_add_co_u32 v4, vcc_lo, s30, v4
	v_add_co_ci_u32_e32 v5, vcc_lo, s31, v5, vcc_lo
	global_load_b64 v[11:12], v[11:12], off
	global_load_b64 v[4:5], v[4:5], off
	s_waitcnt vmcnt(1)
	v_lshrrev_b32_e32 v13, 16, v11
	v_cvt_f32_f16_e32 v11, v11
	s_waitcnt vmcnt(0)
	v_lshrrev_b32_e32 v14, 16, v4
	v_cvt_f32_f16_e32 v4, v4
	v_lshrrev_b32_e32 v15, 16, v12
	v_cvt_f32_f16_e32 v13, v13
	s_delay_alu instid0(VALU_DEP_4) | instskip(NEXT) | instid1(VALU_DEP_4)
	v_cvt_f32_f16_e32 v14, v14
	v_add_f32_e32 v4, v11, v4
	v_cvt_f32_f16_e32 v11, v12
	v_lshrrev_b32_e32 v12, 16, v5
	v_cvt_f32_f16_e32 v5, v5
	s_delay_alu instid0(VALU_DEP_4) | instskip(SKIP_1) | instid1(VALU_DEP_3)
	v_dual_add_f32 v13, v13, v14 :: v_dual_fmac_f32 v6, v4, v4
	v_cvt_f32_f16_e32 v4, v15
	v_add_f32_e32 v5, v11, v5
	v_cvt_f32_f16_e32 v11, v12
	s_delay_alu instid0(VALU_DEP_1) | instskip(NEXT) | instid1(VALU_DEP_1)
	v_dual_fmac_f32 v6, v13, v13 :: v_dual_add_f32 v11, v4, v11
	v_fmac_f32_e32 v6, v5, v5
	v_add_nc_u32_e32 v4, v9, v1
	s_delay_alu instid0(VALU_DEP_2) | instskip(NEXT) | instid1(VALU_DEP_2)
	v_fmac_f32_e32 v6, v11, v11
	v_cmpx_gt_u32_e64 s8, v4
	s_cbranch_execz .LBB44_3
; %bb.7:                                ;   in Loop: Header=BB44_5 Depth=1
	v_mov_b32_e32 v5, v2
	v_add_nc_u32_e32 v1, v8, v1
	s_mov_b32 s25, -1
	s_mov_b32 s24, exec_lo
	s_delay_alu instid0(VALU_DEP_2) | instskip(NEXT) | instid1(VALU_DEP_1)
	v_lshlrev_b64 v[4:5], 3, v[4:5]
	v_add_co_u32 v11, vcc_lo, s28, v4
	s_delay_alu instid0(VALU_DEP_2)
	v_add_co_ci_u32_e32 v12, vcc_lo, s29, v5, vcc_lo
	v_add_co_u32 v4, vcc_lo, s30, v4
	v_add_co_ci_u32_e32 v5, vcc_lo, s31, v5, vcc_lo
	global_load_b64 v[11:12], v[11:12], off
	global_load_b64 v[4:5], v[4:5], off
	s_waitcnt vmcnt(1)
	v_lshrrev_b32_e32 v13, 16, v11
	v_cvt_f32_f16_e32 v11, v11
	s_waitcnt vmcnt(0)
	v_lshrrev_b32_e32 v14, 16, v4
	v_cvt_f32_f16_e32 v4, v4
	v_lshrrev_b32_e32 v15, 16, v12
	v_cvt_f32_f16_e32 v13, v13
	s_delay_alu instid0(VALU_DEP_4) | instskip(NEXT) | instid1(VALU_DEP_4)
	v_cvt_f32_f16_e32 v14, v14
	v_add_f32_e32 v4, v11, v4
	v_cvt_f32_f16_e32 v11, v12
	v_lshrrev_b32_e32 v12, 16, v5
	v_cvt_f32_f16_e32 v5, v5
	s_delay_alu instid0(VALU_DEP_4) | instskip(SKIP_1) | instid1(VALU_DEP_3)
	v_dual_add_f32 v13, v13, v14 :: v_dual_fmac_f32 v6, v4, v4
	v_cvt_f32_f16_e32 v4, v15
	v_add_f32_e32 v5, v11, v5
	v_cvt_f32_f16_e32 v11, v12
	s_delay_alu instid0(VALU_DEP_4) | instskip(NEXT) | instid1(VALU_DEP_2)
	v_fmac_f32_e32 v6, v13, v13
	v_add_f32_e32 v4, v4, v11
	s_delay_alu instid0(VALU_DEP_2) | instskip(NEXT) | instid1(VALU_DEP_1)
	v_fmac_f32_e32 v6, v5, v5
	v_fmac_f32_e32 v6, v4, v4
	v_cmpx_gt_u32_e64 s8, v1
	s_xor_b32 s24, exec_lo, s24
	s_cbranch_execz .LBB44_2
; %bb.8:                                ;   in Loop: Header=BB44_5 Depth=1
	v_lshlrev_b64 v[4:5], 3, v[1:2]
	s_delay_alu instid0(VALU_DEP_1) | instskip(NEXT) | instid1(VALU_DEP_2)
	v_add_co_u32 v11, vcc_lo, s28, v4
	v_add_co_ci_u32_e32 v12, vcc_lo, s29, v5, vcc_lo
	v_add_co_u32 v4, vcc_lo, s30, v4
	v_add_co_ci_u32_e32 v5, vcc_lo, s31, v5, vcc_lo
	global_load_b64 v[11:12], v[11:12], off
	global_load_b64 v[4:5], v[4:5], off
	s_waitcnt vmcnt(1)
	v_lshrrev_b32_e32 v1, 16, v11
	v_cvt_f32_f16_e32 v11, v11
	s_waitcnt vmcnt(0)
	v_lshrrev_b32_e32 v13, 16, v4
	v_cvt_f32_f16_e32 v4, v4
	v_lshrrev_b32_e32 v14, 16, v12
	v_cvt_f32_f16_e32 v1, v1
	s_delay_alu instid0(VALU_DEP_4) | instskip(NEXT) | instid1(VALU_DEP_4)
	v_cvt_f32_f16_e32 v13, v13
	v_add_f32_e32 v4, v11, v4
	v_cvt_f32_f16_e32 v11, v12
	v_lshrrev_b32_e32 v12, 16, v5
	v_cvt_f32_f16_e32 v5, v5
	s_delay_alu instid0(VALU_DEP_4) | instskip(SKIP_1) | instid1(VALU_DEP_3)
	v_dual_add_f32 v1, v1, v13 :: v_dual_fmac_f32 v6, v4, v4
	v_cvt_f32_f16_e32 v4, v14
	v_add_f32_e32 v5, v11, v5
	v_cvt_f32_f16_e32 v11, v12
	s_delay_alu instid0(VALU_DEP_4) | instskip(SKIP_1) | instid1(VALU_DEP_2)
	v_fmac_f32_e32 v6, v1, v1
	v_add3_u32 v1, v10, v7, v3
	v_dual_add_f32 v3, v4, v11 :: v_dual_fmac_f32 v6, v5, v5
	s_delay_alu instid0(VALU_DEP_2) | instskip(NEXT) | instid1(VALU_DEP_2)
	v_cmp_le_u32_e32 vcc_lo, s8, v1
	v_fmac_f32_e32 v6, v3, v3
	s_or_not1_b32 s25, vcc_lo, exec_lo
	s_branch .LBB44_2
.LBB44_9:
	s_or_b32 exec_lo, exec_lo, s9
.LBB44_10:
	s_delay_alu instid0(SALU_CYCLE_1) | instskip(SKIP_4) | instid1(VALU_DEP_2)
	s_or_b32 exec_lo, exec_lo, s3
	v_mbcnt_lo_u32_b32 v1, -1, 0
	s_load_b32 s3, s[20:21], 0xc
	v_and_b32_e32 v7, 0x3e0, v0
	s_mov_b32 s9, exec_lo
	v_cmp_ne_u32_e32 vcc_lo, 31, v1
	v_add_nc_u32_e32 v3, 1, v1
	v_add_co_ci_u32_e32 v2, vcc_lo, 0, v1, vcc_lo
	v_cmp_gt_u32_e32 vcc_lo, 30, v1
	s_delay_alu instid0(VALU_DEP_2)
	v_lshlrev_b32_e32 v2, 2, v2
	v_cndmask_b32_e64 v5, 0, 1, vcc_lo
	ds_bpermute_b32 v4, v2, v6
	s_waitcnt lgkmcnt(0)
	s_and_b32 s3, s3, 0xffff
	v_lshlrev_b32_e32 v5, 1, v5
	v_sub_nc_u32_e64 v12, s3, v7 clamp
	s_delay_alu instid0(VALU_DEP_1) | instskip(SKIP_1) | instid1(VALU_DEP_4)
	v_cmp_lt_u32_e32 vcc_lo, v3, v12
	v_add_f32_e32 v7, v6, v4
	v_add_lshl_u32 v4, v5, v1, 2
	s_delay_alu instid0(VALU_DEP_2) | instskip(SKIP_2) | instid1(VALU_DEP_1)
	v_cndmask_b32_e32 v7, v6, v7, vcc_lo
	v_cmp_gt_u32_e32 vcc_lo, 28, v1
	v_cndmask_b32_e64 v5, 0, 1, vcc_lo
	v_lshlrev_b32_e32 v8, 2, v5
	ds_bpermute_b32 v6, v4, v7
	v_add_nc_u32_e32 v5, 2, v1
	s_delay_alu instid0(VALU_DEP_1) | instskip(SKIP_3) | instid1(VALU_DEP_2)
	v_cmp_lt_u32_e32 vcc_lo, v5, v12
	s_waitcnt lgkmcnt(0)
	v_add_f32_e32 v9, v7, v6
	v_add_lshl_u32 v6, v8, v1, 2
	v_cndmask_b32_e32 v9, v7, v9, vcc_lo
	v_cmp_gt_u32_e32 vcc_lo, 24, v1
	ds_bpermute_b32 v8, v6, v9
	v_cndmask_b32_e64 v7, 0, 1, vcc_lo
	s_delay_alu instid0(VALU_DEP_1) | instskip(SKIP_1) | instid1(VALU_DEP_1)
	v_lshlrev_b32_e32 v10, 3, v7
	v_add_nc_u32_e32 v7, 4, v1
	v_cmp_lt_u32_e32 vcc_lo, v7, v12
	s_waitcnt lgkmcnt(0)
	v_add_f32_e32 v11, v9, v8
	v_add_lshl_u32 v8, v10, v1, 2
	s_delay_alu instid0(VALU_DEP_2) | instskip(SKIP_3) | instid1(VALU_DEP_1)
	v_cndmask_b32_e32 v11, v9, v11, vcc_lo
	v_cmp_gt_u32_e32 vcc_lo, 16, v1
	ds_bpermute_b32 v10, v8, v11
	v_cndmask_b32_e64 v9, 0, 1, vcc_lo
	v_lshlrev_b32_e32 v13, 4, v9
	v_add_nc_u32_e32 v9, 8, v1
	s_delay_alu instid0(VALU_DEP_1) | instskip(SKIP_3) | instid1(VALU_DEP_2)
	v_cmp_lt_u32_e32 vcc_lo, v9, v12
	s_waitcnt lgkmcnt(0)
	v_add_f32_e32 v14, v11, v10
	v_add_lshl_u32 v10, v13, v1, 2
	v_cndmask_b32_e32 v13, v11, v14, vcc_lo
	v_add_nc_u32_e32 v11, 16, v1
	ds_bpermute_b32 v14, v10, v13
	v_cmp_lt_u32_e32 vcc_lo, v11, v12
	s_waitcnt lgkmcnt(0)
	v_add_f32_e32 v14, v13, v14
	s_delay_alu instid0(VALU_DEP_1)
	v_cndmask_b32_e32 v12, v13, v14, vcc_lo
	v_cmpx_eq_u32_e32 0, v1
	s_cbranch_execz .LBB44_12
; %bb.11:
	v_lshrrev_b32_e32 v13, 3, v0
	s_delay_alu instid0(VALU_DEP_1)
	v_and_b32_e32 v13, 0x7c, v13
	ds_store_b32 v13, v12 offset:4096
.LBB44_12:
	s_or_b32 exec_lo, exec_lo, s9
	s_delay_alu instid0(SALU_CYCLE_1)
	s_mov_b32 s9, exec_lo
	s_waitcnt lgkmcnt(0)
	s_barrier
	buffer_gl0_inv
	v_cmpx_gt_u32_e32 32, v0
	s_cbranch_execz .LBB44_14
; %bb.13:
	v_lshlrev_b32_e32 v1, 2, v1
	s_add_i32 s3, s3, 31
	s_delay_alu instid0(SALU_CYCLE_1) | instskip(NEXT) | instid1(SALU_CYCLE_1)
	s_lshr_b32 s3, s3, 5
	v_cmp_gt_u32_e32 vcc_lo, s3, v3
	ds_load_b32 v1, v1 offset:4096
	s_waitcnt lgkmcnt(0)
	ds_bpermute_b32 v2, v2, v1
	s_waitcnt lgkmcnt(0)
	v_add_f32_e32 v2, v1, v2
	s_delay_alu instid0(VALU_DEP_1) | instskip(SKIP_4) | instid1(VALU_DEP_1)
	v_cndmask_b32_e32 v1, v1, v2, vcc_lo
	v_cmp_gt_u32_e32 vcc_lo, s3, v5
	ds_bpermute_b32 v2, v4, v1
	s_waitcnt lgkmcnt(0)
	v_add_f32_e32 v2, v1, v2
	v_cndmask_b32_e32 v1, v1, v2, vcc_lo
	v_cmp_gt_u32_e32 vcc_lo, s3, v7
	ds_bpermute_b32 v2, v6, v1
	s_waitcnt lgkmcnt(0)
	v_add_f32_e32 v2, v1, v2
	s_delay_alu instid0(VALU_DEP_1) | instskip(SKIP_4) | instid1(VALU_DEP_1)
	v_cndmask_b32_e32 v1, v1, v2, vcc_lo
	v_cmp_gt_u32_e32 vcc_lo, s3, v9
	ds_bpermute_b32 v2, v8, v1
	s_waitcnt lgkmcnt(0)
	v_add_f32_e32 v2, v1, v2
	v_cndmask_b32_e32 v1, v1, v2, vcc_lo
	v_cmp_gt_u32_e32 vcc_lo, s3, v11
	ds_bpermute_b32 v2, v10, v1
	s_waitcnt lgkmcnt(0)
	v_add_f32_e32 v2, v1, v2
	s_delay_alu instid0(VALU_DEP_1)
	v_cndmask_b32_e32 v12, v1, v2, vcc_lo
.LBB44_14:
	s_or_b32 exec_lo, exec_lo, s9
	s_delay_alu instid0(SALU_CYCLE_1)
	s_mov_b32 s3, exec_lo
	v_cmpx_eq_u32_e32 0, v0
	s_cbranch_execz .LBB44_16
; %bb.15:
	v_cvt_f32_i32_e32 v1, s18
	s_delay_alu instid0(VALU_DEP_1) | instskip(SKIP_1) | instid1(VALU_DEP_2)
	v_div_scale_f32 v2, null, v1, v1, v12
	v_div_scale_f32 v5, vcc_lo, v12, v1, v12
	v_rcp_f32_e32 v3, v2
	s_waitcnt_depctr 0xfff
	v_fma_f32 v4, -v2, v3, 1.0
	s_delay_alu instid0(VALU_DEP_1) | instskip(NEXT) | instid1(VALU_DEP_1)
	v_fmac_f32_e32 v3, v4, v3
	v_mul_f32_e32 v4, v5, v3
	s_delay_alu instid0(VALU_DEP_1) | instskip(NEXT) | instid1(VALU_DEP_1)
	v_fma_f32 v6, -v2, v4, v5
	v_fmac_f32_e32 v4, v6, v3
	s_delay_alu instid0(VALU_DEP_1) | instskip(NEXT) | instid1(VALU_DEP_1)
	v_fma_f32 v2, -v2, v4, v5
	v_div_fmas_f32 v2, v2, v3, v4
	s_delay_alu instid0(VALU_DEP_1) | instskip(NEXT) | instid1(VALU_DEP_1)
	v_div_fixup_f32 v1, v2, v1, v12
	v_add_f32_e32 v1, s12, v1
	s_delay_alu instid0(VALU_DEP_1) | instskip(SKIP_1) | instid1(VALU_DEP_2)
	v_mul_f32_e32 v2, 0x4b800000, v1
	v_cmp_gt_f32_e32 vcc_lo, 0x800000, v1
	v_cndmask_b32_e32 v1, v1, v2, vcc_lo
	s_delay_alu instid0(VALU_DEP_1) | instskip(SKIP_2) | instid1(VALU_DEP_1)
	v_rsq_f32_e32 v1, v1
	s_waitcnt_depctr 0xfff
	v_mul_f32_e32 v2, 0x45800000, v1
	v_dual_cndmask_b32 v1, v1, v2 :: v_dual_mov_b32 v2, 0
	ds_store_b32 v2, v1 offset:4224
.LBB44_16:
	s_or_b32 exec_lo, exec_lo, s3
	s_ashr_i32 s3, s18, 31
	v_mov_b32_e32 v4, 0
	s_lshr_b32 s3, s3, 25
	s_waitcnt lgkmcnt(0)
	s_add_i32 s3, s18, s3
	s_barrier
	s_ashr_i32 s12, s3, 7
	s_cmp_lt_u32 s16, s34
	buffer_gl0_inv
	s_cselect_b32 s9, 12, 18
	ds_load_b32 v28, v4 offset:4224
	s_add_u32 s20, s20, s9
	s_addc_u32 s21, s21, 0
	s_abs_i32 s9, s12
	global_load_u16 v1, v4, s[20:21]
	v_cvt_f32_u32_e32 v2, s9
	s_sub_i32 s20, 0, s9
	s_ashr_i32 s3, s3, 31
	s_delay_alu instid0(VALU_DEP_1) | instskip(SKIP_2) | instid1(VALU_DEP_1)
	v_rcp_iflag_f32_e32 v2, v2
	s_waitcnt_depctr 0xfff
	v_mul_f32_e32 v2, 0x4f7ffffe, v2
	v_cvt_u32_f32_e32 v2, v2
	s_delay_alu instid0(VALU_DEP_1) | instskip(NEXT) | instid1(VALU_DEP_1)
	v_readfirstlane_b32 s13, v2
	s_mul_i32 s20, s20, s13
	s_delay_alu instid0(SALU_CYCLE_1) | instskip(NEXT) | instid1(SALU_CYCLE_1)
	s_mul_hi_u32 s20, s13, s20
	s_add_i32 s13, s13, s20
	s_waitcnt vmcnt(0)
	v_readfirstlane_b32 s33, v1
	s_delay_alu instid0(VALU_DEP_1) | instskip(NEXT) | instid1(SALU_CYCLE_1)
	s_mul_hi_u32 s13, s33, s13
	s_mul_i32 s20, s13, s9
	s_add_i32 s21, s13, 1
	s_sub_i32 s20, s33, s20
	s_delay_alu instid0(SALU_CYCLE_1)
	s_sub_i32 s22, s20, s9
	s_cmp_ge_u32 s20, s9
	s_cselect_b32 s13, s21, s13
	s_cselect_b32 s20, s22, s20
	s_add_i32 s21, s13, 1
	s_cmp_ge_u32 s20, s9
	s_cselect_b32 s9, s21, s13
	s_delay_alu instid0(SALU_CYCLE_1) | instskip(NEXT) | instid1(SALU_CYCLE_1)
	s_xor_b32 s9, s9, s3
	s_sub_i32 s20, s9, s3
	s_delay_alu instid0(SALU_CYCLE_1) | instskip(SKIP_3) | instid1(VALU_DEP_1)
	s_abs_i32 s3, s20
	s_ashr_i32 s21, s20, 31
	v_cvt_f32_u32_e32 v1, s3
	s_sub_i32 s9, 0, s3
	v_rcp_iflag_f32_e32 v1, v1
	s_waitcnt_depctr 0xfff
	v_mul_f32_e32 v1, 0x4f7ffffe, v1
	s_delay_alu instid0(VALU_DEP_1) | instskip(NEXT) | instid1(VALU_DEP_1)
	v_cvt_u32_f32_e32 v1, v1
	v_mul_lo_u32 v2, s9, v1
	s_ashr_i32 s9, s8, 31
	s_delay_alu instid0(VALU_DEP_1) | instskip(NEXT) | instid1(VALU_DEP_1)
	v_mul_hi_u32 v2, v1, v2
	v_add_nc_u32_e32 v1, v1, v2
	s_delay_alu instid0(VALU_DEP_1) | instskip(NEXT) | instid1(VALU_DEP_1)
	v_mul_hi_u32 v1, v0, v1
	v_mul_lo_u32 v2, v1, s3
	v_add_nc_u32_e32 v3, 1, v1
	s_delay_alu instid0(VALU_DEP_2) | instskip(NEXT) | instid1(VALU_DEP_1)
	v_sub_nc_u32_e32 v2, v0, v2
	v_subrev_nc_u32_e32 v5, s3, v2
	v_cmp_le_u32_e32 vcc_lo, s3, v2
	s_delay_alu instid0(VALU_DEP_2) | instskip(NEXT) | instid1(VALU_DEP_1)
	v_dual_cndmask_b32 v2, v2, v5 :: v_dual_cndmask_b32 v1, v1, v3
	v_cmp_le_u32_e32 vcc_lo, s3, v2
	s_delay_alu instid0(VALU_DEP_2) | instskip(NEXT) | instid1(VALU_DEP_1)
	v_add_nc_u32_e32 v3, 1, v1
	v_cndmask_b32_e32 v1, v1, v3, vcc_lo
	s_delay_alu instid0(VALU_DEP_1) | instskip(NEXT) | instid1(VALU_DEP_1)
	v_xor_b32_e32 v1, s21, v1
	v_subrev_nc_u32_e32 v1, s21, v1
	s_delay_alu instid0(VALU_DEP_1) | instskip(SKIP_1) | instid1(VALU_DEP_2)
	v_ashrrev_i32_e32 v2, 31, v1
	v_mul_lo_u32 v3, v1, s20
	v_lshlrev_b64 v[7:8], 5, v[1:2]
	s_delay_alu instid0(VALU_DEP_2) | instskip(NEXT) | instid1(VALU_DEP_2)
	v_sub_nc_u32_e32 v3, v0, v3
	v_add_co_u32 v5, vcc_lo, v7, 32
	s_delay_alu instid0(VALU_DEP_3) | instskip(NEXT) | instid1(VALU_DEP_1)
	v_add_co_ci_u32_e32 v6, vcc_lo, 0, v8, vcc_lo
	v_cmp_gt_i64_e32 vcc_lo, s[8:9], v[5:6]
	v_cndmask_b32_e32 v6, s9, v6, vcc_lo
	v_cndmask_b32_e32 v5, s8, v5, vcc_lo
	v_add_co_u32 v7, vcc_lo, v7, v3
	v_add_co_ci_u32_e32 v8, vcc_lo, 0, v8, vcc_lo
	s_delay_alu instid0(VALU_DEP_3) | instskip(SKIP_2) | instid1(VALU_DEP_1)
	v_ashrrev_i32_e32 v10, 31, v5
	v_mov_b32_e32 v9, v5
	s_mov_b32 s9, exec_lo
	v_cmpx_lt_i64_e64 v[7:8], v[9:10]
	s_cbranch_execz .LBB44_26
; %bb.17:
	v_lshlrev_b64 v[11:12], 8, v[1:2]
	v_lshlrev_b64 v[13:14], 3, v[3:4]
	v_mov_b32_e32 v4, 0
	s_lshl_b64 s[22:23], s[20:21], 5
	s_mul_hi_i32 s13, s20, 3
	s_mul_i32 s35, s20, 3
	s_lshl_b64 s[24:25], s[20:21], 1
	v_add_co_u32 v21, vcc_lo, v11, v13
	v_add_co_ci_u32_e32 v22, vcc_lo, v12, v14, vcc_lo
	v_dual_mov_b32 v12, v8 :: v_dual_mov_b32 v11, v7
	s_lshl_b64 s[26:27], s[20:21], 3
	s_mov_b32 s36, 0
                                        ; implicit-def: $sgpr37
	s_branch .LBB44_21
.LBB44_18:                              ;   in Loop: Header=BB44_21 Depth=1
	s_or_b32 exec_lo, exec_lo, s40
	s_delay_alu instid0(SALU_CYCLE_1)
	s_or_not1_b32 s3, s3, exec_lo
.LBB44_19:                              ;   in Loop: Header=BB44_21 Depth=1
	s_or_b32 exec_lo, exec_lo, s39
	s_delay_alu instid0(SALU_CYCLE_1) | instskip(SKIP_1) | instid1(SALU_CYCLE_1)
	s_and_not1_b32 s37, s37, exec_lo
	s_and_b32 s3, s3, exec_lo
	s_or_b32 s37, s37, s3
.LBB44_20:                              ;   in Loop: Header=BB44_21 Depth=1
	s_or_b32 exec_lo, exec_lo, s38
	s_delay_alu instid0(SALU_CYCLE_1) | instskip(NEXT) | instid1(SALU_CYCLE_1)
	s_and_b32 s3, exec_lo, s37
	s_or_b32 s36, s3, s36
	s_delay_alu instid0(SALU_CYCLE_1)
	s_and_not1_b32 exec_lo, exec_lo, s36
	s_cbranch_execz .LBB44_25
.LBB44_21:                              ; =>This Inner Loop Header: Depth=1
	v_add_co_u32 v15, vcc_lo, s28, v21
	v_add_co_ci_u32_e32 v16, vcc_lo, s29, v22, vcc_lo
	v_add_co_u32 v19, vcc_lo, s30, v21
	v_add_co_ci_u32_e32 v20, vcc_lo, s31, v22, vcc_lo
	v_add_co_u32 v17, vcc_lo, s10, v21
	global_load_b64 v[13:14], v[15:16], off
	global_load_b64 v[23:24], v[19:20], off
	v_add_co_ci_u32_e32 v18, vcc_lo, s11, v22, vcc_lo
	s_or_b32 s37, s37, exec_lo
	s_mov_b32 s38, exec_lo
	global_load_b64 v[25:26], v[17:18], off
	s_waitcnt vmcnt(2)
	v_lshrrev_b32_e32 v27, 16, v13
	s_waitcnt vmcnt(1)
	v_lshrrev_b32_e32 v30, 16, v23
	v_lshrrev_b32_e32 v29, 16, v14
	v_cvt_f32_f16_e32 v13, v13
	v_lshrrev_b32_e32 v31, 16, v24
	v_cvt_f32_f16_e32 v23, v23
	v_cvt_f32_f16_e32 v27, v27
	;; [unrolled: 1-line block ×6, first 2 shown]
	v_add_f32_e32 v13, v13, v23
	v_cvt_f32_f16_e32 v23, v31
	s_delay_alu instid0(VALU_DEP_4)
	v_dual_add_f32 v27, v27, v30 :: v_dual_add_f32 v14, v14, v24
	s_waitcnt vmcnt(0)
	v_lshrrev_b32_e32 v30, 16, v25
	s_waitcnt lgkmcnt(0)
	v_fma_mixlo_f16 v13, v28, v13, 0
	v_add_f32_e32 v23, v29, v23
	v_fma_mixlo_f16 v24, v28, v27, 0
	v_lshrrev_b32_e32 v27, 16, v26
	v_fma_mixlo_f16 v14, v28, v14, 0
	v_mul_f16_e32 v13, v25, v13
	v_fma_mixlo_f16 v23, v28, v23, 0
	v_mul_f16_e32 v24, v30, v24
	s_delay_alu instid0(VALU_DEP_4) | instskip(NEXT) | instid1(VALU_DEP_4)
	v_mul_f16_e32 v25, v26, v14
	v_cvt_f32_f16_e64 v26, |v13|
	s_delay_alu instid0(VALU_DEP_4) | instskip(NEXT) | instid1(VALU_DEP_4)
	v_mul_f16_e32 v23, v27, v23
	v_cvt_f32_f16_e64 v24, |v24|
	v_add_co_u32 v13, vcc_lo, v11, s20
	v_cvt_f32_f16_e64 v25, |v25|
	s_delay_alu instid0(VALU_DEP_4) | instskip(NEXT) | instid1(VALU_DEP_4)
	v_cvt_f32_f16_e64 v23, |v23|
	v_max3_f32 v4, v4, v26, v24
	v_add_co_ci_u32_e32 v14, vcc_lo, s21, v12, vcc_lo
	s_delay_alu instid0(VALU_DEP_2) | instskip(NEXT) | instid1(VALU_DEP_2)
	v_max3_f32 v4, v4, v25, v23
	v_cmpx_lt_i64_e64 v[13:14], v[9:10]
	s_cbranch_execz .LBB44_20
; %bb.22:                               ;   in Loop: Header=BB44_21 Depth=1
	v_add_co_u32 v15, vcc_lo, v15, s26
	v_add_co_ci_u32_e32 v16, vcc_lo, s27, v16, vcc_lo
	v_add_co_u32 v19, vcc_lo, v19, s26
	v_add_co_ci_u32_e32 v20, vcc_lo, s27, v20, vcc_lo
	v_add_co_u32 v17, vcc_lo, v17, s26
	global_load_b64 v[23:24], v[15:16], off
	global_load_b64 v[25:26], v[19:20], off
	v_add_co_ci_u32_e32 v18, vcc_lo, s27, v18, vcc_lo
	s_mov_b32 s3, -1
	s_mov_b32 s39, exec_lo
	global_load_b64 v[29:30], v[17:18], off
	s_waitcnt vmcnt(2)
	v_lshrrev_b32_e32 v27, 16, v23
	s_waitcnt vmcnt(1)
	v_lshrrev_b32_e32 v32, 16, v25
	v_lshrrev_b32_e32 v31, 16, v24
	v_cvt_f32_f16_e32 v23, v23
	v_lshrrev_b32_e32 v33, 16, v26
	v_cvt_f32_f16_e32 v25, v25
	v_cvt_f32_f16_e32 v27, v27
	;; [unrolled: 1-line block ×6, first 2 shown]
	v_add_f32_e32 v23, v23, v25
	v_cvt_f32_f16_e32 v25, v33
	s_delay_alu instid0(VALU_DEP_4)
	v_dual_add_f32 v27, v27, v32 :: v_dual_add_f32 v24, v24, v26
	s_waitcnt vmcnt(0)
	v_lshrrev_b32_e32 v32, 16, v29
	v_fma_mixlo_f16 v23, v28, v23, 0
	v_add_f32_e32 v25, v31, v25
	v_fma_mixlo_f16 v26, v28, v27, 0
	v_lshrrev_b32_e32 v27, 16, v30
	v_fma_mixlo_f16 v24, v28, v24, 0
	v_mul_f16_e32 v23, v29, v23
	v_fma_mixlo_f16 v25, v28, v25, 0
	v_mul_f16_e32 v26, v32, v26
	s_delay_alu instid0(VALU_DEP_4) | instskip(NEXT) | instid1(VALU_DEP_4)
	v_mul_f16_e32 v29, v30, v24
	v_cvt_f32_f16_e64 v30, |v23|
	s_delay_alu instid0(VALU_DEP_4) | instskip(NEXT) | instid1(VALU_DEP_4)
	v_mul_f16_e32 v25, v27, v25
	v_cvt_f32_f16_e64 v26, |v26|
	v_add_co_u32 v23, vcc_lo, s24, v11
	v_cvt_f32_f16_e64 v27, |v29|
	s_delay_alu instid0(VALU_DEP_4) | instskip(NEXT) | instid1(VALU_DEP_4)
	v_cvt_f32_f16_e64 v25, |v25|
	v_max3_f32 v4, v4, v30, v26
	v_add_co_ci_u32_e32 v24, vcc_lo, s25, v12, vcc_lo
	s_delay_alu instid0(VALU_DEP_2) | instskip(NEXT) | instid1(VALU_DEP_2)
	v_max3_f32 v4, v4, v27, v25
	v_cmpx_lt_i64_e64 v[23:24], v[9:10]
	s_cbranch_execz .LBB44_19
; %bb.23:                               ;   in Loop: Header=BB44_21 Depth=1
	v_add_co_u32 v15, vcc_lo, v15, s26
	v_add_co_ci_u32_e32 v16, vcc_lo, s27, v16, vcc_lo
	v_add_co_u32 v19, vcc_lo, v19, s26
	v_add_co_ci_u32_e32 v20, vcc_lo, s27, v20, vcc_lo
	v_add_co_u32 v17, vcc_lo, v17, s26
	global_load_b64 v[23:24], v[15:16], off
	global_load_b64 v[25:26], v[19:20], off
	v_add_co_ci_u32_e32 v18, vcc_lo, s27, v18, vcc_lo
	v_add_co_u32 v11, vcc_lo, s35, v11
	v_add_co_ci_u32_e32 v12, vcc_lo, s13, v12, vcc_lo
	global_load_b64 v[29:30], v[17:18], off
	v_cmp_lt_i64_e32 vcc_lo, v[11:12], v[9:10]
                                        ; implicit-def: $vgpr11_vgpr12
	s_waitcnt vmcnt(2)
	v_lshrrev_b32_e32 v27, 16, v23
	s_waitcnt vmcnt(1)
	v_lshrrev_b32_e32 v32, 16, v25
	v_lshrrev_b32_e32 v31, 16, v24
	v_cvt_f32_f16_e32 v23, v23
	v_lshrrev_b32_e32 v33, 16, v26
	v_cvt_f32_f16_e32 v25, v25
	v_cvt_f32_f16_e32 v27, v27
	;; [unrolled: 1-line block ×6, first 2 shown]
	v_add_f32_e32 v23, v23, v25
	v_cvt_f32_f16_e32 v25, v33
	s_delay_alu instid0(VALU_DEP_4)
	v_dual_add_f32 v27, v27, v32 :: v_dual_add_f32 v24, v24, v26
	s_waitcnt vmcnt(0)
	v_lshrrev_b32_e32 v32, 16, v29
	v_fma_mixlo_f16 v23, v28, v23, 0
	v_add_f32_e32 v25, v31, v25
	v_fma_mixlo_f16 v26, v28, v27, 0
	v_lshrrev_b32_e32 v27, 16, v30
	v_fma_mixlo_f16 v24, v28, v24, 0
	v_mul_f16_e32 v23, v29, v23
	v_fma_mixlo_f16 v25, v28, v25, 0
	v_mul_f16_e32 v26, v32, v26
	s_delay_alu instid0(VALU_DEP_4) | instskip(NEXT) | instid1(VALU_DEP_4)
	v_mul_f16_e32 v24, v30, v24
	v_cvt_f32_f16_e64 v23, |v23|
	s_delay_alu instid0(VALU_DEP_4) | instskip(NEXT) | instid1(VALU_DEP_4)
	v_mul_f16_e32 v25, v27, v25
	v_cvt_f32_f16_e64 v26, |v26|
	s_delay_alu instid0(VALU_DEP_4) | instskip(NEXT) | instid1(VALU_DEP_2)
	v_cvt_f32_f16_e64 v24, |v24|
	v_max3_f32 v4, v4, v23, v26
	s_delay_alu instid0(VALU_DEP_4) | instskip(NEXT) | instid1(VALU_DEP_1)
	v_cvt_f32_f16_e64 v23, |v25|
	v_max3_f32 v4, v4, v24, v23
	s_and_saveexec_b32 s40, vcc_lo
	s_delay_alu instid0(SALU_CYCLE_1)
	s_xor_b32 s40, exec_lo, s40
	s_cbranch_execz .LBB44_18
; %bb.24:                               ;   in Loop: Header=BB44_21 Depth=1
	v_add_co_u32 v11, vcc_lo, v15, s26
	v_add_co_ci_u32_e32 v12, vcc_lo, s27, v16, vcc_lo
	v_add_co_u32 v15, vcc_lo, v19, s26
	v_add_co_ci_u32_e32 v16, vcc_lo, s27, v20, vcc_lo
	v_add_co_u32 v17, vcc_lo, v17, s26
	global_load_b64 v[11:12], v[11:12], off
	global_load_b64 v[15:16], v[15:16], off
	v_add_co_ci_u32_e32 v18, vcc_lo, s27, v18, vcc_lo
	s_add_u32 s3, s20, s20
	s_addc_u32 s41, s21, s21
	s_add_u32 s3, s3, s20
	global_load_b64 v[17:18], v[17:18], off
	s_addc_u32 s41, s41, s21
	s_waitcnt vmcnt(2)
	v_lshrrev_b32_e32 v19, 16, v11
	s_waitcnt vmcnt(1)
	v_lshrrev_b32_e32 v23, 16, v15
	v_lshrrev_b32_e32 v20, 16, v12
	v_cvt_f32_f16_e32 v11, v11
	v_lshrrev_b32_e32 v24, 16, v16
	v_cvt_f32_f16_e32 v15, v15
	v_cvt_f32_f16_e32 v19, v19
	;; [unrolled: 1-line block ×6, first 2 shown]
	v_add_f32_e32 v11, v11, v15
	v_cvt_f32_f16_e32 v15, v24
	s_delay_alu instid0(VALU_DEP_4)
	v_dual_add_f32 v19, v19, v23 :: v_dual_add_f32 v12, v12, v16
	s_waitcnt vmcnt(0)
	v_lshrrev_b32_e32 v23, 16, v17
	v_fma_mixlo_f16 v11, v28, v11, 0
	v_add_f32_e32 v15, v20, v15
	v_fma_mixlo_f16 v16, v28, v19, 0
	v_lshrrev_b32_e32 v19, 16, v18
	v_fma_mixlo_f16 v12, v28, v12, 0
	v_mul_f16_e32 v11, v17, v11
	v_fma_mixlo_f16 v15, v28, v15, 0
	v_mul_f16_e32 v16, v23, v16
	s_delay_alu instid0(VALU_DEP_4) | instskip(NEXT) | instid1(VALU_DEP_4)
	v_mul_f16_e32 v17, v18, v12
	v_cvt_f32_f16_e64 v18, |v11|
	s_delay_alu instid0(VALU_DEP_4) | instskip(NEXT) | instid1(VALU_DEP_4)
	v_mul_f16_e32 v15, v19, v15
	v_cvt_f32_f16_e64 v16, |v16|
	v_add_co_u32 v11, vcc_lo, s3, v13
	v_add_co_ci_u32_e32 v12, vcc_lo, s41, v14, vcc_lo
	v_cvt_f32_f16_e64 v13, |v17|
	v_cvt_f32_f16_e64 v14, |v15|
	v_max3_f32 v4, v4, v18, v16
	s_delay_alu instid0(VALU_DEP_4) | instskip(SKIP_1) | instid1(VALU_DEP_1)
	v_cmp_ge_i64_e32 vcc_lo, v[11:12], v[9:10]
	v_add_co_u32 v21, s3, v21, s22
	v_add_co_ci_u32_e64 v22, s3, s23, v22, s3
	s_delay_alu instid0(VALU_DEP_4)
	v_max3_f32 v4, v4, v13, v14
	s_or_not1_b32 s3, vcc_lo, exec_lo
	s_branch .LBB44_18
.LBB44_25:
	s_or_b32 exec_lo, exec_lo, s36
.LBB44_26:
	s_delay_alu instid0(SALU_CYCLE_1)
	s_or_b32 exec_lo, exec_lo, s9
	s_lshr_b32 s9, s33, 5
	v_lshlrev_b32_e32 v29, 2, v0
	v_cvt_f32_u32_e32 v9, s9
	s_sub_i32 s13, 0, s9
	s_add_i32 s22, s12, s9
	s_delay_alu instid0(SALU_CYCLE_1) | instskip(NEXT) | instid1(VALU_DEP_1)
	s_add_i32 s22, s22, -1
	v_rcp_iflag_f32_e32 v9, v9
	s_abs_i32 s23, s22
	s_ashr_i32 s22, s22, 31
	ds_store_b32 v29, v4
	s_waitcnt lgkmcnt(0)
	s_barrier
	buffer_gl0_inv
	v_mul_f32_e32 v9, 0x4f7ffffe, v9
	s_delay_alu instid0(VALU_DEP_1) | instskip(NEXT) | instid1(VALU_DEP_1)
	v_cvt_u32_f32_e32 v9, v9
	v_readfirstlane_b32 s3, v9
	s_delay_alu instid0(VALU_DEP_1) | instskip(NEXT) | instid1(SALU_CYCLE_1)
	s_mul_i32 s13, s13, s3
	s_mul_hi_u32 s13, s3, s13
	s_delay_alu instid0(SALU_CYCLE_1) | instskip(NEXT) | instid1(SALU_CYCLE_1)
	s_add_i32 s3, s3, s13
	s_mul_hi_u32 s3, s23, s3
	s_delay_alu instid0(SALU_CYCLE_1) | instskip(NEXT) | instid1(SALU_CYCLE_1)
	s_mul_i32 s13, s3, s9
	s_sub_i32 s13, s23, s13
	s_add_i32 s23, s3, 1
	s_sub_i32 s24, s13, s9
	s_cmp_ge_u32 s13, s9
	s_cselect_b32 s3, s23, s3
	s_cselect_b32 s13, s24, s13
	s_add_i32 s23, s3, 1
	s_cmp_ge_u32 s13, s9
	s_cselect_b32 s3, s23, s3
	s_delay_alu instid0(SALU_CYCLE_1) | instskip(NEXT) | instid1(SALU_CYCLE_1)
	s_xor_b32 s3, s3, s22
	s_sub_i32 s22, s3, s22
	s_delay_alu instid0(SALU_CYCLE_1) | instskip(NEXT) | instid1(SALU_CYCLE_1)
	s_ashr_i32 s23, s22, 31
	v_cmp_lt_i64_e64 s3, s[22:23], 1
	s_delay_alu instid0(VALU_DEP_1)
	s_and_b32 vcc_lo, exec_lo, s3
	s_cbranch_vccnz .LBB44_46
; %bb.27:
	v_lshrrev_b32_e32 v9, 5, v0
	v_and_b32_e32 v4, 31, v0
	s_ashr_i32 s13, s12, 31
	s_mov_b64 s[24:25], 0
	s_mov_b64 s[26:27], src_shared_base
	v_mul_lo_u32 v19, s20, v9
	v_add_co_u32 v11, s3, v4, 16
	s_delay_alu instid0(VALU_DEP_1) | instskip(SKIP_1) | instid1(VALU_DEP_1)
	v_add_co_ci_u32_e64 v12, null, 0, 0, s3
	v_add_co_u32 v13, s3, v4, 8
	v_add_co_ci_u32_e64 v14, null, 0, 0, s3
	v_add_co_u32 v15, s3, v4, 4
	v_dual_mov_b32 v10, 0 :: v_dual_lshlrev_b32 v21, 2, v19
	v_lshlrev_b32_e32 v22, 2, v4
	v_add_co_ci_u32_e64 v16, null, 0, 0, s3
	v_add_co_u32 v17, s3, v4, 2
	s_delay_alu instid0(VALU_DEP_1) | instskip(SKIP_1) | instid1(VALU_DEP_1)
	v_add_co_ci_u32_e64 v18, null, 0, 0, s3
	v_add_co_u32 v19, s3, v4, 1
	v_add_co_ci_u32_e64 v20, null, 0, 0, s3
	v_add3_u32 v30, v21, v22, 0x80
	s_mul_i32 s3, s20, s9
	s_delay_alu instid0(SALU_CYCLE_1)
	s_lshl_b32 s35, s3, 2
	s_branch .LBB44_30
.LBB44_28:                              ;   in Loop: Header=BB44_30 Depth=1
	s_or_b32 exec_lo, exec_lo, s3
	v_mov_b32_e32 v22, s27
	flat_load_b32 v21, v[21:22] glc dlc
	s_waitcnt vmcnt(0)
.LBB44_29:                              ;   in Loop: Header=BB44_30 Depth=1
	s_or_b32 exec_lo, exec_lo, s26
	s_add_u32 s24, s24, 1
	v_add_nc_u32_e32 v30, s35, v30
	s_addc_u32 s25, s25, 0
	s_delay_alu instid0(SALU_CYCLE_1)
	s_cmp_eq_u64 s[24:25], s[22:23]
	s_cbranch_scc1 .LBB44_46
.LBB44_30:                              ; =>This Loop Header: Depth=1
                                        ;     Child Loop BB44_33 Depth 2
	s_waitcnt lgkmcnt(0)
	v_mad_u64_u32 v[21:22], null, s24, s9, v[9:10]
	s_mov_b32 s26, exec_lo
	s_delay_alu instid0(VALU_DEP_1) | instskip(NEXT) | instid1(VALU_DEP_1)
	v_mad_u64_u32 v[23:24], null, s25, s9, v[22:23]
	v_mov_b32_e32 v22, v23
	s_delay_alu instid0(VALU_DEP_1)
	v_cmpx_gt_i64_e64 s[12:13], v[21:22]
	s_cbranch_execz .LBB44_29
; %bb.31:                               ;   in Loop: Header=BB44_30 Depth=1
	v_mul_lo_u32 v24, v22, s20
	v_mul_lo_u32 v25, v21, s21
	v_mad_u64_u32 v[22:23], null, v21, s20, 0
	s_delay_alu instid0(VALU_DEP_1) | instskip(NEXT) | instid1(VALU_DEP_2)
	v_add3_u32 v23, v23, v25, v24
	v_add_co_u32 v24, vcc_lo, v22, s20
	v_add_co_u32 v31, s3, v22, v4
	s_delay_alu instid0(VALU_DEP_3) | instskip(SKIP_2) | instid1(VALU_DEP_2)
	v_add_co_ci_u32_e32 v25, vcc_lo, s21, v23, vcc_lo
	v_add_co_ci_u32_e64 v21, s3, 0, v23, s3
	s_mov_b32 s3, exec_lo
	v_cmp_gt_i64_e32 vcc_lo, s[18:19], v[24:25]
	v_cndmask_b32_e32 v25, s19, v25, vcc_lo
	v_cndmask_b32_e32 v24, s18, v24, vcc_lo
	v_add_co_u32 v26, vcc_lo, v31, 32
	v_add_co_ci_u32_e32 v27, vcc_lo, 0, v21, vcc_lo
	v_lshlrev_b32_e32 v21, 2, v31
	s_delay_alu instid0(VALU_DEP_2)
	v_cmpx_lt_i64_e64 v[26:27], v[24:25]
	s_cbranch_execz .LBB44_34
; %bb.32:                               ;   in Loop: Header=BB44_30 Depth=1
	ds_load_b32 v33, v21
	v_mov_b32_e32 v32, v30
	s_mov_b32 s36, 0
.LBB44_33:                              ;   Parent Loop BB44_30 Depth=1
                                        ; =>  This Inner Loop Header: Depth=2
	ds_load_b32 v34, v32
	v_add_co_u32 v26, vcc_lo, v26, 32
	v_add_co_ci_u32_e32 v27, vcc_lo, 0, v27, vcc_lo
	s_waitcnt lgkmcnt(1)
	v_dual_max_f32 v33, v33, v33 :: v_dual_add_nc_u32 v32, 0x80, v32
	s_delay_alu instid0(VALU_DEP_2) | instskip(SKIP_3) | instid1(VALU_DEP_1)
	v_cmp_ge_i64_e32 vcc_lo, v[26:27], v[24:25]
	s_or_b32 s36, vcc_lo, s36
	s_waitcnt lgkmcnt(0)
	v_max_f32_e32 v34, v34, v34
	v_max_f32_e32 v33, v33, v34
	ds_store_b32 v21, v33
	s_and_not1_b32 exec_lo, exec_lo, s36
	s_cbranch_execnz .LBB44_33
.LBB44_34:                              ;   in Loop: Header=BB44_30 Depth=1
	s_or_b32 exec_lo, exec_lo, s3
	v_sub_co_u32 v22, vcc_lo, v24, v22
	v_sub_co_ci_u32_e32 v23, vcc_lo, v25, v23, vcc_lo
	s_mov_b32 s3, exec_lo
	s_delay_alu instid0(VALU_DEP_1) | instskip(SKIP_1) | instid1(VALU_DEP_1)
	v_cmp_gt_i64_e32 vcc_lo, 32, v[22:23]
	v_dual_cndmask_b32 v24, 0, v23 :: v_dual_cndmask_b32 v23, 32, v22
	v_cmpx_lt_i64_e64 v[11:12], v[23:24]
	s_cbranch_execz .LBB44_36
; %bb.35:                               ;   in Loop: Header=BB44_30 Depth=1
	v_dual_mov_b32 v22, s27 :: v_dual_add_nc_u32 v25, 64, v21
	v_mov_b32_e32 v26, s27
	flat_load_b32 v27, v[21:22] glc dlc
	s_waitcnt vmcnt(0)
	flat_load_b32 v25, v[25:26] glc dlc
	s_waitcnt vmcnt(0) lgkmcnt(0)
	v_dual_max_f32 v26, v27, v27 :: v_dual_max_f32 v25, v25, v25
	s_delay_alu instid0(VALU_DEP_1)
	v_max_f32_e32 v25, v26, v25
	flat_store_b32 v[21:22], v25 dlc
	s_waitcnt_vscnt null, 0x0
.LBB44_36:                              ;   in Loop: Header=BB44_30 Depth=1
	s_or_b32 exec_lo, exec_lo, s3
	s_delay_alu instid0(SALU_CYCLE_1)
	s_mov_b32 s3, exec_lo
	v_cmpx_lt_i64_e64 v[13:14], v[23:24]
	s_cbranch_execz .LBB44_38
; %bb.37:                               ;   in Loop: Header=BB44_30 Depth=1
	v_dual_mov_b32 v22, s27 :: v_dual_add_nc_u32 v25, 32, v21
	v_mov_b32_e32 v26, s27
	flat_load_b32 v27, v[21:22] glc dlc
	s_waitcnt vmcnt(0)
	flat_load_b32 v25, v[25:26] glc dlc
	s_waitcnt vmcnt(0) lgkmcnt(0)
	v_dual_max_f32 v26, v27, v27 :: v_dual_max_f32 v25, v25, v25
	s_delay_alu instid0(VALU_DEP_1)
	v_max_f32_e32 v25, v26, v25
	flat_store_b32 v[21:22], v25 dlc
	s_waitcnt_vscnt null, 0x0
.LBB44_38:                              ;   in Loop: Header=BB44_30 Depth=1
	s_or_b32 exec_lo, exec_lo, s3
	s_delay_alu instid0(SALU_CYCLE_1)
	s_mov_b32 s3, exec_lo
	v_cmpx_ge_i64_e64 v[15:16], v[23:24]
	s_xor_b32 s3, exec_lo, s3
; %bb.39:                               ;   in Loop: Header=BB44_30 Depth=1
                                        ; implicit-def: $vgpr21
; %bb.40:                               ;   in Loop: Header=BB44_30 Depth=1
	s_delay_alu instid0(SALU_CYCLE_1)
	s_and_not1_saveexec_b32 s3, s3
	s_cbranch_execz .LBB44_42
; %bb.41:                               ;   in Loop: Header=BB44_30 Depth=1
	v_dual_mov_b32 v22, s27 :: v_dual_add_nc_u32 v25, 16, v21
	v_mov_b32_e32 v26, s27
	flat_load_b32 v27, v[21:22] glc dlc
	s_waitcnt vmcnt(0)
	flat_load_b32 v25, v[25:26] glc dlc
	s_waitcnt vmcnt(0) lgkmcnt(0)
	v_dual_max_f32 v26, v27, v27 :: v_dual_max_f32 v25, v25, v25
	s_delay_alu instid0(VALU_DEP_1)
	v_max_f32_e32 v25, v26, v25
	flat_store_b32 v[21:22], v25 dlc
	s_waitcnt_vscnt null, 0x0
.LBB44_42:                              ;   in Loop: Header=BB44_30 Depth=1
	s_or_b32 exec_lo, exec_lo, s3
	v_lshlrev_b32_e32 v21, 2, v31
	s_mov_b32 s3, exec_lo
	v_cmpx_lt_i64_e64 v[17:18], v[23:24]
	s_cbranch_execz .LBB44_44
; %bb.43:                               ;   in Loop: Header=BB44_30 Depth=1
	s_delay_alu instid0(VALU_DEP_2)
	v_dual_mov_b32 v22, s27 :: v_dual_add_nc_u32 v25, 8, v21
	v_mov_b32_e32 v26, s27
	flat_load_b32 v27, v[21:22] glc dlc
	s_waitcnt vmcnt(0)
	flat_load_b32 v25, v[25:26] glc dlc
	s_waitcnt vmcnt(0) lgkmcnt(0)
	v_dual_max_f32 v26, v27, v27 :: v_dual_max_f32 v25, v25, v25
	s_delay_alu instid0(VALU_DEP_1)
	v_max_f32_e32 v25, v26, v25
	flat_store_b32 v[21:22], v25 dlc
	s_waitcnt_vscnt null, 0x0
.LBB44_44:                              ;   in Loop: Header=BB44_30 Depth=1
	s_or_b32 exec_lo, exec_lo, s3
	s_delay_alu instid0(SALU_CYCLE_1)
	s_mov_b32 s3, exec_lo
	v_cmpx_lt_i64_e64 v[19:20], v[23:24]
	s_cbranch_execz .LBB44_28
; %bb.45:                               ;   in Loop: Header=BB44_30 Depth=1
	v_dual_mov_b32 v22, s27 :: v_dual_add_nc_u32 v23, 4, v21
	v_mov_b32_e32 v24, s27
	flat_load_b32 v25, v[21:22] glc dlc
	s_waitcnt vmcnt(0)
	flat_load_b32 v23, v[23:24] glc dlc
	s_waitcnt vmcnt(0) lgkmcnt(0)
	v_dual_max_f32 v24, v25, v25 :: v_dual_max_f32 v23, v23, v23
	s_delay_alu instid0(VALU_DEP_1)
	v_max_f32_e32 v23, v24, v23
	flat_store_b32 v[21:22], v23 dlc
	s_waitcnt_vscnt null, 0x0
	s_branch .LBB44_28
.LBB44_46:
	s_load_b64 s[12:13], s[0:1], 0x40
	v_cmp_lt_i64_e32 vcc_lo, v[7:8], v[5:6]
	v_cmp_eq_u32_e64 s3, 0, v3
	s_waitcnt lgkmcnt(0)
	s_barrier
	buffer_gl0_inv
	s_and_b32 s9, s3, vcc_lo
	s_delay_alu instid0(SALU_CYCLE_1)
	s_and_saveexec_b32 s3, s9
	s_cbranch_execz .LBB44_53
; %bb.47:
	s_load_b64 s[0:1], s[0:1], 0x20
	ds_load_b32 v5, v29
	s_waitcnt lgkmcnt(0)
	s_cmp_eq_u64 s[0:1], 0
	s_cbranch_scc1 .LBB44_49
; %bb.48:
	s_load_b32 s0, s[0:1], 0x0
	v_max_f32_e32 v3, v5, v5
	s_waitcnt lgkmcnt(0)
	v_max_f32_e64 v4, s0, s0
	s_delay_alu instid0(VALU_DEP_1)
	v_min_f32_e32 v5, v3, v4
.LBB44_49:
	s_add_u32 s0, s12, s34
	s_addc_u32 s1, s13, 0
	s_add_u32 s18, s0, -1
	s_addc_u32 s19, s1, -1
	s_delay_alu instid0(SALU_CYCLE_1) | instskip(SKIP_1) | instid1(SALU_CYCLE_1)
	s_or_b64 s[20:21], s[18:19], s[12:13]
	s_mov_b32 s20, 0
	s_cmp_lg_u64 s[20:21], 0
	s_cbranch_scc0 .LBB44_66
; %bb.50:
	s_ashr_i32 s0, s13, 31
	s_delay_alu instid0(SALU_CYCLE_1) | instskip(SKIP_2) | instid1(SALU_CYCLE_1)
	s_add_u32 s22, s12, s0
	s_mov_b32 s1, s0
	s_addc_u32 s23, s13, s0
	s_xor_b64 s[0:1], s[22:23], s[0:1]
	s_delay_alu instid0(SALU_CYCLE_1) | instskip(SKIP_3) | instid1(VALU_DEP_1)
	v_cvt_f32_u32_e32 v3, s0
	v_cvt_f32_u32_e32 v4, s1
	s_sub_u32 s22, 0, s0
	s_subb_u32 s23, 0, s1
	v_fmamk_f32 v3, v4, 0x4f800000, v3
	s_delay_alu instid0(VALU_DEP_1) | instskip(SKIP_2) | instid1(VALU_DEP_1)
	v_rcp_f32_e32 v3, v3
	s_waitcnt_depctr 0xfff
	v_mul_f32_e32 v3, 0x5f7ffffc, v3
	v_mul_f32_e32 v4, 0x2f800000, v3
	s_delay_alu instid0(VALU_DEP_1) | instskip(NEXT) | instid1(VALU_DEP_1)
	v_trunc_f32_e32 v4, v4
	v_fmamk_f32 v3, v4, 0xcf800000, v3
	v_cvt_u32_f32_e32 v4, v4
	s_delay_alu instid0(VALU_DEP_2) | instskip(NEXT) | instid1(VALU_DEP_2)
	v_cvt_u32_f32_e32 v3, v3
	v_readfirstlane_b32 s9, v4
	s_delay_alu instid0(VALU_DEP_2) | instskip(NEXT) | instid1(VALU_DEP_2)
	v_readfirstlane_b32 s21, v3
	s_mul_i32 s24, s22, s9
	s_delay_alu instid0(VALU_DEP_1)
	s_mul_hi_u32 s26, s22, s21
	s_mul_i32 s25, s23, s21
	s_add_i32 s24, s26, s24
	s_mul_i32 s27, s22, s21
	s_add_i32 s24, s24, s25
	s_mul_hi_u32 s26, s21, s27
	s_mul_hi_u32 s35, s9, s27
	s_mul_i32 s25, s9, s27
	s_mul_hi_u32 s27, s21, s24
	s_mul_i32 s21, s21, s24
	s_mul_hi_u32 s36, s9, s24
	s_add_u32 s21, s26, s21
	s_addc_u32 s26, 0, s27
	s_add_u32 s21, s21, s25
	s_mul_i32 s24, s9, s24
	s_addc_u32 s21, s26, s35
	s_addc_u32 s25, s36, 0
	s_add_u32 s21, s21, s24
	s_addc_u32 s24, 0, s25
	v_add_co_u32 v3, s21, v3, s21
	s_delay_alu instid0(VALU_DEP_1) | instskip(SKIP_1) | instid1(VALU_DEP_1)
	s_cmp_lg_u32 s21, 0
	s_addc_u32 s9, s9, s24
	v_readfirstlane_b32 s21, v3
	s_mul_i32 s24, s22, s9
	s_delay_alu instid0(VALU_DEP_1)
	s_mul_hi_u32 s25, s22, s21
	s_mul_i32 s23, s23, s21
	s_add_i32 s24, s25, s24
	s_mul_i32 s22, s22, s21
	s_add_i32 s24, s24, s23
	s_mul_hi_u32 s25, s9, s22
	s_mul_i32 s26, s9, s22
	s_mul_hi_u32 s22, s21, s22
	s_mul_hi_u32 s27, s21, s24
	s_mul_i32 s21, s21, s24
	s_mul_hi_u32 s23, s9, s24
	s_add_u32 s21, s22, s21
	s_addc_u32 s22, 0, s27
	s_add_u32 s21, s21, s26
	s_mul_i32 s24, s9, s24
	s_addc_u32 s21, s22, s25
	s_addc_u32 s22, s23, 0
	s_add_u32 s21, s21, s24
	s_addc_u32 s22, 0, s22
	v_add_co_u32 v3, s21, v3, s21
	s_delay_alu instid0(VALU_DEP_1) | instskip(SKIP_2) | instid1(VALU_DEP_1)
	s_cmp_lg_u32 s21, 0
	s_addc_u32 s9, s9, s22
	s_ashr_i32 s22, s19, 31
	v_readfirstlane_b32 s21, v3
	s_add_u32 s24, s18, s22
	s_mov_b32 s23, s22
	s_addc_u32 s25, s19, s22
	s_delay_alu instid0(SALU_CYCLE_1) | instskip(NEXT) | instid1(SALU_CYCLE_1)
	s_xor_b64 s[24:25], s[24:25], s[22:23]
	s_mul_i32 s26, s24, s9
	s_mul_hi_u32 s27, s24, s21
	s_mul_hi_u32 s23, s24, s9
	;; [unrolled: 1-line block ×3, first 2 shown]
	s_mul_i32 s21, s25, s21
	s_add_u32 s26, s27, s26
	s_addc_u32 s23, 0, s23
	s_mul_hi_u32 s35, s25, s9
	s_add_u32 s21, s26, s21
	s_mul_i32 s9, s25, s9
	s_addc_u32 s21, s23, s36
	s_addc_u32 s23, s35, 0
	s_add_u32 s9, s21, s9
	s_addc_u32 s21, 0, s23
	s_mul_hi_u32 s23, s0, s9
	s_mul_i32 s21, s0, s21
	s_mul_i32 s26, s1, s9
	s_mul_i32 s9, s0, s9
	s_add_i32 s21, s23, s21
	v_sub_co_u32 v3, s9, s24, s9
	s_add_i32 s21, s21, s26
	s_delay_alu instid0(SALU_CYCLE_1) | instskip(SKIP_1) | instid1(VALU_DEP_1)
	s_sub_i32 s23, s25, s21
	s_cmp_lg_u32 s9, 0
	v_sub_co_u32 v4, s24, v3, s0
	s_subb_u32 s23, s23, s1
	s_cmp_lg_u32 s24, 0
	s_subb_u32 s26, s23, 0
	s_delay_alu instid0(VALU_DEP_1)
	v_cmp_le_u32_e32 vcc_lo, s0, v4
	s_cmp_ge_u32 s26, s1
	s_cselect_b32 s27, -1, 0
	s_cmp_eq_u32 s26, s1
	v_cndmask_b32_e64 v6, 0, -1, vcc_lo
	s_cselect_b32 vcc_lo, -1, 0
	s_cmp_lg_u32 s24, 0
	v_sub_co_u32 v7, s24, v4, s0
	s_subb_u32 s23, s23, s1
	s_cmp_lg_u32 s24, 0
	v_cndmask_b32_e32 v6, s27, v6, vcc_lo
	s_subb_u32 s23, s23, 0
	s_cmp_lg_u32 s9, 0
	v_cmp_le_u32_e32 vcc_lo, s0, v3
	s_subb_u32 s9, s25, s21
	s_delay_alu instid0(SALU_CYCLE_1)
	s_cmp_ge_u32 s9, s1
	v_cndmask_b32_e64 v8, 0, -1, vcc_lo
	s_cselect_b32 s21, -1, 0
	s_cmp_eq_u32 s9, s1
	v_cmp_ne_u32_e32 vcc_lo, 0, v6
	v_mov_b32_e32 v6, s23
	s_cselect_b32 s0, -1, 0
	s_delay_alu instid0(SALU_CYCLE_1) | instskip(SKIP_1) | instid1(VALU_DEP_3)
	v_cndmask_b32_e64 v8, s21, v8, s0
	v_cndmask_b32_e32 v4, v4, v7, vcc_lo
	v_cndmask_b32_e32 v6, s26, v6, vcc_lo
	s_delay_alu instid0(VALU_DEP_3) | instskip(NEXT) | instid1(VALU_DEP_3)
	v_cmp_ne_u32_e32 vcc_lo, 0, v8
	v_cndmask_b32_e32 v3, v3, v4, vcc_lo
	s_delay_alu instid0(VALU_DEP_3) | instskip(NEXT) | instid1(VALU_DEP_2)
	v_cndmask_b32_e32 v6, s9, v6, vcc_lo
	v_xor_b32_e32 v3, s22, v3
	s_delay_alu instid0(VALU_DEP_2) | instskip(NEXT) | instid1(VALU_DEP_2)
	v_xor_b32_e32 v4, s22, v6
	v_sub_co_u32 v3, vcc_lo, v3, s22
	s_delay_alu instid0(VALU_DEP_2)
	v_subrev_co_ci_u32_e32 v4, vcc_lo, s22, v4, vcc_lo
	s_and_not1_b32 vcc_lo, exec_lo, s20
	s_cbranch_vccnz .LBB44_52
.LBB44_51:
	v_cvt_f32_u32_e32 v3, s12
	s_sub_i32 s0, 0, s12
	s_delay_alu instid0(VALU_DEP_1) | instskip(SKIP_2) | instid1(VALU_DEP_1)
	v_rcp_iflag_f32_e32 v3, v3
	s_waitcnt_depctr 0xfff
	v_mul_f32_e32 v3, 0x4f7ffffe, v3
	v_cvt_u32_f32_e32 v3, v3
	s_delay_alu instid0(VALU_DEP_1) | instskip(NEXT) | instid1(VALU_DEP_1)
	v_mul_lo_u32 v4, s0, v3
	v_mul_hi_u32 v4, v3, v4
	s_delay_alu instid0(VALU_DEP_1) | instskip(NEXT) | instid1(VALU_DEP_1)
	v_add_nc_u32_e32 v3, v3, v4
	v_mul_hi_u32 v3, s18, v3
	s_delay_alu instid0(VALU_DEP_1) | instskip(NEXT) | instid1(VALU_DEP_1)
	v_mul_lo_u32 v3, v3, s12
	v_sub_nc_u32_e32 v3, s18, v3
	s_delay_alu instid0(VALU_DEP_1) | instskip(SKIP_1) | instid1(VALU_DEP_2)
	v_subrev_nc_u32_e32 v4, s12, v3
	v_cmp_le_u32_e32 vcc_lo, s12, v3
	v_cndmask_b32_e32 v3, v3, v4, vcc_lo
	s_delay_alu instid0(VALU_DEP_1) | instskip(SKIP_1) | instid1(VALU_DEP_2)
	v_subrev_nc_u32_e32 v4, s12, v3
	v_cmp_le_u32_e32 vcc_lo, s12, v3
	v_dual_cndmask_b32 v3, v3, v4 :: v_dual_mov_b32 v4, 0
.LBB44_52:
	v_div_scale_f32 v6, null, 0x42fe0000, 0x42fe0000, v5
	v_div_scale_f32 v9, vcc_lo, v5, 0x42fe0000, v5
	s_delay_alu instid0(VALU_DEP_3) | instskip(NEXT) | instid1(VALU_DEP_3)
	v_sub_co_u32 v10, s0, s18, v3
	v_rcp_f32_e32 v7, v6
	v_sub_co_ci_u32_e64 v3, s0, s19, v4, s0
	s_lshl_b64 s[0:1], s[16:17], 2
	s_delay_alu instid0(SALU_CYCLE_1) | instskip(NEXT) | instid1(VALU_DEP_1)
	s_add_u32 s0, s0, s6
	v_mul_lo_u32 v11, v3, v1
	s_addc_u32 s1, s1, s7
	s_waitcnt_depctr 0xfff
	v_fma_f32 v8, -v6, v7, 1.0
	s_delay_alu instid0(VALU_DEP_1) | instskip(NEXT) | instid1(VALU_DEP_1)
	v_fmac_f32_e32 v7, v8, v7
	v_mul_f32_e32 v8, v9, v7
	s_delay_alu instid0(VALU_DEP_1) | instskip(NEXT) | instid1(VALU_DEP_1)
	v_fma_f32 v4, -v6, v8, v9
	v_fmac_f32_e32 v8, v4, v7
	v_mul_lo_u32 v4, v10, v2
	v_mad_u64_u32 v[2:3], null, v10, v1, 0
	s_delay_alu instid0(VALU_DEP_3) | instskip(NEXT) | instid1(VALU_DEP_2)
	v_fma_f32 v1, -v6, v8, v9
	v_add3_u32 v3, v3, v4, v11
	s_delay_alu instid0(VALU_DEP_2) | instskip(NEXT) | instid1(VALU_DEP_1)
	v_div_fmas_f32 v1, v1, v7, v8
	v_div_fixup_f32 v4, v1, 0x42fe0000, v5
	s_delay_alu instid0(VALU_DEP_3) | instskip(NEXT) | instid1(VALU_DEP_2)
	v_lshlrev_b64 v[1:2], 2, v[2:3]
	v_max_f32_e32 v3, 0x34000000, v4
	s_delay_alu instid0(VALU_DEP_2) | instskip(NEXT) | instid1(VALU_DEP_3)
	v_add_co_u32 v1, vcc_lo, s0, v1
	v_add_co_ci_u32_e32 v2, vcc_lo, s1, v2, vcc_lo
	global_store_b32 v[1:2], v3, off
.LBB44_53:
	s_or_b32 exec_lo, exec_lo, s3
	s_waitcnt_vscnt null, 0x0
	s_barrier
	buffer_gl0_inv
	s_and_saveexec_b32 s0, s2
	s_cbranch_execz .LBB44_65
; %bb.54:
	s_add_u32 s0, s12, s34
	s_addc_u32 s1, s13, 0
	s_add_u32 s2, s0, -1
	s_addc_u32 s3, s1, -1
	s_delay_alu instid0(SALU_CYCLE_1) | instskip(SKIP_1) | instid1(SALU_CYCLE_1)
	s_or_b64 s[18:19], s[2:3], s[12:13]
	s_mov_b32 s18, 0
	s_cmp_lg_u64 s[18:19], 0
	s_cbranch_scc0 .LBB44_67
; %bb.55:
	s_ashr_i32 s0, s13, 31
	s_delay_alu instid0(SALU_CYCLE_1) | instskip(SKIP_2) | instid1(SALU_CYCLE_1)
	s_add_u32 s20, s12, s0
	s_mov_b32 s1, s0
	s_addc_u32 s21, s13, s0
	s_xor_b64 s[0:1], s[20:21], s[0:1]
	s_delay_alu instid0(SALU_CYCLE_1) | instskip(SKIP_3) | instid1(VALU_DEP_1)
	v_cvt_f32_u32_e32 v1, s0
	v_cvt_f32_u32_e32 v2, s1
	s_sub_u32 s19, 0, s0
	s_subb_u32 s20, 0, s1
	v_fmamk_f32 v1, v2, 0x4f800000, v1
	s_delay_alu instid0(VALU_DEP_1) | instskip(SKIP_2) | instid1(VALU_DEP_1)
	v_rcp_f32_e32 v1, v1
	s_waitcnt_depctr 0xfff
	v_mul_f32_e32 v1, 0x5f7ffffc, v1
	v_mul_f32_e32 v2, 0x2f800000, v1
	s_delay_alu instid0(VALU_DEP_1) | instskip(NEXT) | instid1(VALU_DEP_1)
	v_trunc_f32_e32 v2, v2
	v_fmamk_f32 v1, v2, 0xcf800000, v1
	v_cvt_u32_f32_e32 v2, v2
	s_delay_alu instid0(VALU_DEP_2) | instskip(NEXT) | instid1(VALU_DEP_2)
	v_cvt_u32_f32_e32 v1, v1
	v_readfirstlane_b32 s9, v2
	s_delay_alu instid0(VALU_DEP_2) | instskip(NEXT) | instid1(VALU_DEP_2)
	v_readfirstlane_b32 s13, v1
	s_mul_i32 s21, s19, s9
	s_delay_alu instid0(VALU_DEP_1)
	s_mul_hi_u32 s23, s19, s13
	s_mul_i32 s22, s20, s13
	s_add_i32 s21, s23, s21
	s_mul_i32 s24, s19, s13
	s_add_i32 s21, s21, s22
	s_mul_hi_u32 s23, s13, s24
	s_mul_hi_u32 s25, s9, s24
	s_mul_i32 s22, s9, s24
	s_mul_hi_u32 s24, s13, s21
	s_mul_i32 s13, s13, s21
	s_mul_hi_u32 s26, s9, s21
	s_add_u32 s13, s23, s13
	s_addc_u32 s23, 0, s24
	s_add_u32 s13, s13, s22
	s_mul_i32 s21, s9, s21
	s_addc_u32 s13, s23, s25
	s_addc_u32 s22, s26, 0
	s_add_u32 s13, s13, s21
	s_addc_u32 s21, 0, s22
	v_add_co_u32 v1, s13, v1, s13
	s_delay_alu instid0(VALU_DEP_1) | instskip(SKIP_1) | instid1(VALU_DEP_1)
	s_cmp_lg_u32 s13, 0
	s_addc_u32 s9, s9, s21
	v_readfirstlane_b32 s13, v1
	s_mul_i32 s21, s19, s9
	s_delay_alu instid0(VALU_DEP_1)
	s_mul_hi_u32 s22, s19, s13
	s_mul_i32 s20, s20, s13
	s_add_i32 s21, s22, s21
	s_mul_i32 s19, s19, s13
	s_add_i32 s21, s21, s20
	s_mul_hi_u32 s22, s9, s19
	s_mul_i32 s23, s9, s19
	s_mul_hi_u32 s19, s13, s19
	s_mul_hi_u32 s24, s13, s21
	s_mul_i32 s13, s13, s21
	s_mul_hi_u32 s20, s9, s21
	s_add_u32 s13, s19, s13
	s_addc_u32 s19, 0, s24
	s_add_u32 s13, s13, s23
	s_mul_i32 s21, s9, s21
	s_addc_u32 s13, s19, s22
	s_addc_u32 s19, s20, 0
	s_add_u32 s13, s13, s21
	s_addc_u32 s19, 0, s19
	v_add_co_u32 v1, s13, v1, s13
	s_delay_alu instid0(VALU_DEP_1) | instskip(SKIP_2) | instid1(VALU_DEP_1)
	s_cmp_lg_u32 s13, 0
	s_addc_u32 s9, s9, s19
	s_ashr_i32 s20, s3, 31
	v_readfirstlane_b32 s13, v1
	s_add_u32 s22, s2, s20
	s_mov_b32 s21, s20
	s_addc_u32 s23, s3, s20
	s_delay_alu instid0(SALU_CYCLE_1) | instskip(NEXT) | instid1(SALU_CYCLE_1)
	s_xor_b64 s[22:23], s[22:23], s[20:21]
	s_mul_i32 s21, s22, s9
	s_mul_hi_u32 s24, s22, s13
	s_mul_hi_u32 s19, s22, s9
	;; [unrolled: 1-line block ×3, first 2 shown]
	s_mul_i32 s13, s23, s13
	s_add_u32 s21, s24, s21
	s_addc_u32 s19, 0, s19
	s_mul_hi_u32 s25, s23, s9
	s_add_u32 s13, s21, s13
	s_mul_i32 s9, s23, s9
	s_addc_u32 s13, s19, s26
	s_addc_u32 s19, s25, 0
	s_add_u32 s9, s13, s9
	s_addc_u32 s13, 0, s19
	s_mul_hi_u32 s19, s0, s9
	s_mul_i32 s13, s0, s13
	s_mul_i32 s21, s1, s9
	;; [unrolled: 1-line block ×3, first 2 shown]
	s_add_i32 s13, s19, s13
	v_sub_co_u32 v1, s9, s22, s9
	s_add_i32 s13, s13, s21
	s_delay_alu instid0(SALU_CYCLE_1) | instskip(SKIP_1) | instid1(VALU_DEP_1)
	s_sub_i32 s19, s23, s13
	s_cmp_lg_u32 s9, 0
	v_sub_co_u32 v2, s21, v1, s0
	s_subb_u32 s19, s19, s1
	s_cmp_lg_u32 s21, 0
	s_subb_u32 s22, s19, 0
	s_delay_alu instid0(VALU_DEP_1)
	v_cmp_le_u32_e32 vcc_lo, s0, v2
	s_cmp_ge_u32 s22, s1
	s_cselect_b32 s24, -1, 0
	s_cmp_eq_u32 s22, s1
	v_cndmask_b32_e64 v3, 0, -1, vcc_lo
	s_cselect_b32 vcc_lo, -1, 0
	s_cmp_lg_u32 s21, 0
	v_sub_co_u32 v4, s21, v2, s0
	s_subb_u32 s19, s19, s1
	s_cmp_lg_u32 s21, 0
	v_cndmask_b32_e32 v3, s24, v3, vcc_lo
	s_subb_u32 s19, s19, 0
	s_cmp_lg_u32 s9, 0
	v_cmp_le_u32_e32 vcc_lo, s0, v1
	s_subb_u32 s9, s23, s13
	s_delay_alu instid0(SALU_CYCLE_1)
	s_cmp_ge_u32 s9, s1
	v_cndmask_b32_e64 v5, 0, -1, vcc_lo
	s_cselect_b32 s13, -1, 0
	s_cmp_eq_u32 s9, s1
	v_cmp_ne_u32_e32 vcc_lo, 0, v3
	v_mov_b32_e32 v3, s19
	s_cselect_b32 s0, -1, 0
	s_delay_alu instid0(SALU_CYCLE_1) | instskip(SKIP_1) | instid1(VALU_DEP_3)
	v_cndmask_b32_e64 v5, s13, v5, s0
	v_cndmask_b32_e32 v2, v2, v4, vcc_lo
	v_cndmask_b32_e32 v3, s22, v3, vcc_lo
	s_delay_alu instid0(VALU_DEP_3) | instskip(NEXT) | instid1(VALU_DEP_3)
	v_cmp_ne_u32_e32 vcc_lo, 0, v5
	v_cndmask_b32_e32 v1, v1, v2, vcc_lo
	s_delay_alu instid0(VALU_DEP_3) | instskip(NEXT) | instid1(VALU_DEP_2)
	v_cndmask_b32_e32 v3, s9, v3, vcc_lo
	v_xor_b32_e32 v1, s20, v1
	s_delay_alu instid0(VALU_DEP_2) | instskip(NEXT) | instid1(VALU_DEP_2)
	v_xor_b32_e32 v2, s20, v3
	v_sub_co_u32 v1, vcc_lo, v1, s20
	s_delay_alu instid0(VALU_DEP_2)
	v_subrev_co_ci_u32_e32 v2, vcc_lo, s20, v2, vcc_lo
	s_and_not1_b32 vcc_lo, exec_lo, s18
	s_cbranch_vccnz .LBB44_57
.LBB44_56:
	v_cvt_f32_u32_e32 v1, s12
	s_sub_i32 s0, 0, s12
	s_delay_alu instid0(VALU_DEP_1) | instskip(SKIP_2) | instid1(VALU_DEP_1)
	v_rcp_iflag_f32_e32 v1, v1
	s_waitcnt_depctr 0xfff
	v_mul_f32_e32 v1, 0x4f7ffffe, v1
	v_cvt_u32_f32_e32 v1, v1
	s_delay_alu instid0(VALU_DEP_1) | instskip(NEXT) | instid1(VALU_DEP_1)
	v_mul_lo_u32 v2, s0, v1
	v_mul_hi_u32 v2, v1, v2
	s_delay_alu instid0(VALU_DEP_1) | instskip(NEXT) | instid1(VALU_DEP_1)
	v_add_nc_u32_e32 v1, v1, v2
	v_mul_hi_u32 v1, s2, v1
	s_delay_alu instid0(VALU_DEP_1) | instskip(NEXT) | instid1(VALU_DEP_1)
	v_mul_lo_u32 v1, v1, s12
	v_sub_nc_u32_e32 v1, s2, v1
	s_delay_alu instid0(VALU_DEP_1) | instskip(SKIP_1) | instid1(VALU_DEP_2)
	v_subrev_nc_u32_e32 v2, s12, v1
	v_cmp_le_u32_e32 vcc_lo, s12, v1
	v_cndmask_b32_e32 v1, v1, v2, vcc_lo
	s_delay_alu instid0(VALU_DEP_1) | instskip(SKIP_1) | instid1(VALU_DEP_2)
	v_subrev_nc_u32_e32 v2, s12, v1
	v_cmp_le_u32_e32 vcc_lo, s12, v1
	v_dual_cndmask_b32 v1, v1, v2 :: v_dual_mov_b32 v2, 0
.LBB44_57:
	s_delay_alu instid0(VALU_DEP_1)
	v_sub_co_u32 v5, vcc_lo, s2, v1
	s_add_u32 s0, s4, s14
	s_addc_u32 s1, s5, s15
	s_lshl_b64 s[4:5], s[16:17], 2
	v_sub_co_ci_u32_e32 v6, vcc_lo, s3, v2, vcc_lo
	v_mov_b32_e32 v1, 0
	s_add_u32 s4, s6, s4
	s_addc_u32 s5, s7, s5
	s_mul_i32 s2, s33, 3
	s_lshl_b32 s3, s33, 1
	s_mov_b32 s6, 0
	s_add_i32 s7, s33, s33
                                        ; implicit-def: $sgpr9
	s_branch .LBB44_61
.LBB44_58:                              ;   in Loop: Header=BB44_61 Depth=1
	s_or_b32 exec_lo, exec_lo, s14
	s_delay_alu instid0(SALU_CYCLE_1)
	s_or_not1_b32 s14, s15, exec_lo
.LBB44_59:                              ;   in Loop: Header=BB44_61 Depth=1
	s_or_b32 exec_lo, exec_lo, s13
	s_delay_alu instid0(SALU_CYCLE_1) | instskip(SKIP_1) | instid1(SALU_CYCLE_1)
	s_and_not1_b32 s9, s9, exec_lo
	s_and_b32 s13, s14, exec_lo
	s_or_b32 s9, s9, s13
.LBB44_60:                              ;   in Loop: Header=BB44_61 Depth=1
	s_or_b32 exec_lo, exec_lo, s12
	s_delay_alu instid0(SALU_CYCLE_1) | instskip(NEXT) | instid1(SALU_CYCLE_1)
	s_and_b32 s12, exec_lo, s9
	s_or_b32 s6, s12, s6
	s_delay_alu instid0(SALU_CYCLE_1)
	s_and_not1_b32 exec_lo, exec_lo, s6
	s_cbranch_execz .LBB44_65
.LBB44_61:                              ; =>This Inner Loop Header: Depth=1
	v_bfe_u32 v4, v0, 5, 25
	v_lshlrev_b64 v[13:14], 2, v[0:1]
	s_or_b32 s9, s9, exec_lo
	s_mov_b32 s12, exec_lo
	s_delay_alu instid0(VALU_DEP_2) | instskip(NEXT) | instid1(VALU_DEP_1)
	v_mad_u64_u32 v[2:3], null, v5, v4, 0
	v_mad_u64_u32 v[7:8], null, v6, v4, v[3:4]
	s_delay_alu instid0(VALU_DEP_1) | instskip(SKIP_1) | instid1(VALU_DEP_2)
	v_mov_b32_e32 v3, v7
	v_lshlrev_b64 v[7:8], 3, v[0:1]
	v_lshlrev_b64 v[2:3], 2, v[2:3]
	s_delay_alu instid0(VALU_DEP_1) | instskip(NEXT) | instid1(VALU_DEP_2)
	v_add_co_u32 v2, vcc_lo, s4, v2
	v_add_co_ci_u32_e32 v3, vcc_lo, s5, v3, vcc_lo
	global_load_b32 v4, v[2:3], off
	v_add_co_u32 v2, vcc_lo, s28, v7
	v_add_co_ci_u32_e32 v3, vcc_lo, s29, v8, vcc_lo
	v_add_co_u32 v9, vcc_lo, s10, v7
	v_add_co_ci_u32_e32 v10, vcc_lo, s11, v8, vcc_lo
	;; [unrolled: 2-line block ×3, first 2 shown]
	global_load_b64 v[9:10], v[9:10], off
	global_load_b64 v[2:3], v[2:3], off
	;; [unrolled: 1-line block ×3, first 2 shown]
	s_waitcnt vmcnt(3)
	v_div_scale_f32 v15, null, v4, v4, 1.0
	v_div_scale_f32 v22, vcc_lo, 1.0, v4, 1.0
	s_delay_alu instid0(VALU_DEP_2)
	v_rcp_f32_e32 v16, v15
	s_waitcnt vmcnt(2)
	v_lshrrev_b32_e32 v17, 16, v9
	s_waitcnt vmcnt(1)
	v_cvt_f32_f16_e32 v19, v2
	s_waitcnt vmcnt(0)
	v_cvt_f32_f16_e32 v21, v11
	s_waitcnt_depctr 0xfff
	v_fma_f32 v20, -v15, v16, 1.0
	v_cvt_f32_f16_e32 v23, v12
	v_lshrrev_b32_e32 v12, 16, v12
	v_lshrrev_b32_e32 v2, 16, v2
	;; [unrolled: 1-line block ×3, first 2 shown]
	v_fmac_f32_e32 v16, v20, v16
	v_cvt_f32_f16_e32 v20, v3
	v_lshrrev_b32_e32 v3, 16, v3
	v_cvt_f32_f16_e32 v12, v12
	v_cvt_f32_f16_e32 v2, v2
	v_dual_mul_f32 v24, v22, v16 :: v_dual_add_f32 v19, v19, v21
	s_delay_alu instid0(VALU_DEP_4) | instskip(SKIP_2) | instid1(VALU_DEP_4)
	v_cvt_f32_f16_e32 v3, v3
	v_add_f32_e32 v20, v20, v23
	v_cvt_f32_f16_e32 v11, v11
	v_fma_f32 v25, -v15, v24, v22
	v_lshrrev_b32_e32 v18, 16, v10
	v_add_f32_e32 v3, v3, v12
	v_fma_mixlo_f16 v12, v28, v19, 0
	s_delay_alu instid0(VALU_DEP_4) | instskip(NEXT) | instid1(VALU_DEP_2)
	v_fmac_f32_e32 v24, v25, v16
	v_mul_f16_e32 v9, v9, v12
	s_delay_alu instid0(VALU_DEP_2) | instskip(NEXT) | instid1(VALU_DEP_2)
	v_fma_f32 v15, -v15, v24, v22
	v_cvt_f32_f16_e32 v9, v9
	s_delay_alu instid0(VALU_DEP_2) | instskip(SKIP_1) | instid1(VALU_DEP_2)
	v_div_fmas_f32 v15, v15, v16, v24
	v_cvt_f16_f32_e32 v16, v20
	v_div_fixup_f32 v4, v15, v4, 1.0
	v_add_f32_e32 v2, v2, v11
	v_fma_mixlo_f16 v11, v28, v20, 0
	v_cvt_f16_f32_e32 v15, v19
	s_delay_alu instid0(VALU_DEP_4) | instskip(NEXT) | instid1(VALU_DEP_4)
	v_mul_f32_e32 v9, v4, v9
	v_fma_mixlo_f16 v21, v28, v2, 0
	s_delay_alu instid0(VALU_DEP_4)
	v_mul_f16_e32 v10, v10, v11
	v_fma_mixlo_f16 v11, v28, v3, 0
	v_cvt_f16_f32_e32 v2, v2
	v_rndne_f32_e32 v9, v9
	v_mul_f16_e32 v12, v17, v21
	v_cvt_f32_f16_e32 v10, v10
	v_mul_f16_e32 v11, v18, v11
	v_cvt_f16_f32_e32 v3, v3
	s_delay_alu instid0(VALU_DEP_4) | instskip(NEXT) | instid1(VALU_DEP_4)
	v_cvt_f32_f16_e32 v12, v12
	v_mul_f32_e32 v10, v4, v10
	s_delay_alu instid0(VALU_DEP_4) | instskip(NEXT) | instid1(VALU_DEP_3)
	v_cvt_f32_f16_e32 v11, v11
	v_mul_f32_e32 v12, v4, v12
	s_delay_alu instid0(VALU_DEP_3) | instskip(NEXT) | instid1(VALU_DEP_3)
	v_rndne_f32_e32 v10, v10
	v_mul_f32_e32 v4, v4, v11
	s_delay_alu instid0(VALU_DEP_3) | instskip(NEXT) | instid1(VALU_DEP_3)
	v_rndne_f32_e32 v11, v12
	v_cmp_nlt_f32_e32 vcc_lo, 0x42fe0000, v10
	s_delay_alu instid0(VALU_DEP_3)
	v_rndne_f32_e32 v4, v4
	v_cndmask_b32_e32 v12, 0x42fe0000, v10, vcc_lo
	v_cmp_nlt_f32_e32 vcc_lo, 0x42fe0000, v9
	v_cndmask_b32_e32 v17, 0x42fe0000, v9, vcc_lo
	v_cmp_nlt_f32_e32 vcc_lo, 0x42fe0000, v11
	v_cndmask_b32_e32 v18, 0x42fe0000, v11, vcc_lo
	v_cmp_ngt_f32_e32 vcc_lo, 0xc3000000, v10
	v_cndmask_b32_e32 v10, 0xc3000000, v12, vcc_lo
	v_cmp_nlt_f32_e32 vcc_lo, 0x42fe0000, v4
	s_delay_alu instid0(VALU_DEP_2) | instskip(SKIP_2) | instid1(VALU_DEP_3)
	v_cvt_i32_f32_e32 v10, v10
	v_cndmask_b32_e32 v12, 0x42fe0000, v4, vcc_lo
	v_cmp_ngt_f32_e32 vcc_lo, 0xc3000000, v11
	v_and_b32_e32 v10, 0xff, v10
	v_cndmask_b32_e32 v11, 0xc3000000, v18, vcc_lo
	v_cmp_ngt_f32_e32 vcc_lo, 0xc3000000, v9
	s_delay_alu instid0(VALU_DEP_3) | instskip(NEXT) | instid1(VALU_DEP_3)
	v_lshlrev_b32_e32 v10, 16, v10
	v_cvt_i32_f32_e32 v11, v11
	v_cndmask_b32_e32 v9, 0xc3000000, v17, vcc_lo
	v_cmp_ngt_f32_e32 vcc_lo, 0xc3000000, v4
	s_delay_alu instid0(VALU_DEP_3) | instskip(NEXT) | instid1(VALU_DEP_3)
	v_and_b32_e32 v11, 0xff, v11
	v_cvt_i32_f32_e32 v9, v9
	s_delay_alu instid0(VALU_DEP_2) | instskip(NEXT) | instid1(VALU_DEP_1)
	v_dual_cndmask_b32 v4, 0xc3000000, v12 :: v_dual_lshlrev_b32 v11, 8, v11
	v_cvt_i32_f32_e32 v12, v4
	v_pack_b32_f16 v4, v16, v3
	v_pack_b32_f16 v3, v15, v2
	v_and_b32_e32 v15, 0xff, v9
	v_add_co_u32 v9, vcc_lo, s0, v13
	v_lshl_or_b32 v12, v12, 24, v10
	v_add_nc_u32_e32 v2, s33, v0
	v_add_co_ci_u32_e32 v10, vcc_lo, s1, v14, vcc_lo
	global_store_b64 v[7:8], v[3:4], off
	v_or3_b32 v11, v12, v11, v15
	global_store_b32 v[9:10], v11, off
	v_cmpx_gt_u32_e64 s8, v2
	s_cbranch_execz .LBB44_60
; %bb.62:                               ;   in Loop: Header=BB44_61 Depth=1
	v_bfe_u32 v9, v2, 5, 25
	s_mov_b32 s14, -1
	s_mov_b32 s13, exec_lo
	s_delay_alu instid0(VALU_DEP_1) | instskip(NEXT) | instid1(VALU_DEP_1)
	v_mad_u64_u32 v[3:4], null, v5, v9, 0
	v_mad_u64_u32 v[7:8], null, v6, v9, v[4:5]
	s_delay_alu instid0(VALU_DEP_1) | instskip(NEXT) | instid1(VALU_DEP_1)
	v_mov_b32_e32 v4, v7
	v_lshlrev_b64 v[7:8], 2, v[3:4]
	v_mov_b32_e32 v3, v1
	s_delay_alu instid0(VALU_DEP_1) | instskip(NEXT) | instid1(VALU_DEP_3)
	v_lshlrev_b64 v[9:10], 3, v[2:3]
	v_add_co_u32 v7, vcc_lo, s4, v7
	s_delay_alu instid0(VALU_DEP_4)
	v_add_co_ci_u32_e32 v8, vcc_lo, s5, v8, vcc_lo
	v_lshlrev_b64 v[15:16], 2, v[2:3]
	global_load_b32 v4, v[7:8], off
	v_add_co_u32 v7, vcc_lo, s28, v9
	v_add_co_ci_u32_e32 v8, vcc_lo, s29, v10, vcc_lo
	v_add_co_u32 v11, vcc_lo, s10, v9
	v_add_co_ci_u32_e32 v12, vcc_lo, s11, v10, vcc_lo
	;; [unrolled: 2-line block ×3, first 2 shown]
	global_load_b64 v[11:12], v[11:12], off
	global_load_b64 v[7:8], v[7:8], off
	global_load_b64 v[13:14], v[9:10], off
	s_waitcnt vmcnt(3)
	v_div_scale_f32 v17, null, v4, v4, 1.0
	v_div_scale_f32 v23, vcc_lo, 1.0, v4, 1.0
	s_delay_alu instid0(VALU_DEP_2)
	v_rcp_f32_e32 v18, v17
	s_waitcnt vmcnt(2)
	v_lshrrev_b32_e32 v19, 16, v12
	s_waitcnt vmcnt(1)
	v_cvt_f32_f16_e32 v20, v7
	v_lshrrev_b32_e32 v7, 16, v7
	s_waitcnt_depctr 0xfff
	v_fma_f32 v21, -v17, v18, 1.0
	s_waitcnt vmcnt(0)
	v_cvt_f32_f16_e32 v22, v13
	v_lshrrev_b32_e32 v13, 16, v13
	v_cvt_f32_f16_e32 v24, v14
	v_cvt_f32_f16_e32 v7, v7
	v_lshrrev_b32_e32 v14, 16, v14
	v_lshrrev_b32_e32 v3, 16, v11
	v_cvt_f32_f16_e32 v13, v13
	v_fmac_f32_e32 v18, v21, v18
	v_cvt_f32_f16_e32 v21, v8
	v_lshrrev_b32_e32 v8, 16, v8
	v_cvt_f32_f16_e32 v14, v14
	v_dual_add_f32 v7, v7, v13 :: v_dual_add_f32 v20, v20, v22
	s_delay_alu instid0(VALU_DEP_4) | instskip(NEXT) | instid1(VALU_DEP_4)
	v_add_f32_e32 v21, v21, v24
	v_cvt_f32_f16_e32 v8, v8
	s_delay_alu instid0(VALU_DEP_3) | instskip(SKIP_1) | instid1(VALU_DEP_4)
	v_fma_mixlo_f16 v22, v28, v7, 0
	v_cvt_f16_f32_e32 v7, v7
	v_fma_mixlo_f16 v13, v28, v21, 0
	s_delay_alu instid0(VALU_DEP_4) | instskip(SKIP_2) | instid1(VALU_DEP_4)
	v_add_f32_e32 v8, v8, v14
	v_fma_mixlo_f16 v14, v28, v20, 0
	v_mul_f16_e32 v3, v3, v22
	v_mul_f16_e32 v12, v12, v13
	s_delay_alu instid0(VALU_DEP_4) | instskip(NEXT) | instid1(VALU_DEP_4)
	v_fma_mixlo_f16 v13, v28, v8, 0
	v_mul_f16_e32 v11, v11, v14
	s_delay_alu instid0(VALU_DEP_4)
	v_cvt_f32_f16_e32 v3, v3
	v_cvt_f16_f32_e32 v14, v20
	v_cvt_f32_f16_e32 v12, v12
	v_mul_f32_e32 v25, v23, v18
	v_mul_f16_e32 v13, v19, v13
	v_cvt_f32_f16_e32 v11, v11
	v_pack_b32_f16 v7, v14, v7
	s_delay_alu instid0(VALU_DEP_4) | instskip(NEXT) | instid1(VALU_DEP_4)
	v_fma_f32 v26, -v17, v25, v23
	v_cvt_f32_f16_e32 v13, v13
	s_delay_alu instid0(VALU_DEP_2) | instskip(NEXT) | instid1(VALU_DEP_1)
	v_fmac_f32_e32 v25, v26, v18
	v_fma_f32 v17, -v17, v25, v23
	s_delay_alu instid0(VALU_DEP_1) | instskip(NEXT) | instid1(VALU_DEP_1)
	v_div_fmas_f32 v17, v17, v18, v25
	v_div_fixup_f32 v4, v17, v4, 1.0
	v_cvt_f16_f32_e32 v17, v21
	s_delay_alu instid0(VALU_DEP_2) | instskip(SKIP_3) | instid1(VALU_DEP_4)
	v_mul_f32_e32 v12, v4, v12
	v_mul_f32_e32 v11, v4, v11
	;; [unrolled: 1-line block ×4, first 2 shown]
	v_rndne_f32_e32 v12, v12
	s_delay_alu instid0(VALU_DEP_4) | instskip(NEXT) | instid1(VALU_DEP_4)
	v_rndne_f32_e32 v11, v11
	v_rndne_f32_e32 v3, v3
	s_delay_alu instid0(VALU_DEP_4) | instskip(NEXT) | instid1(VALU_DEP_4)
	v_rndne_f32_e32 v4, v4
	v_cmp_nlt_f32_e32 vcc_lo, 0x42fe0000, v12
	v_cndmask_b32_e32 v13, 0x42fe0000, v12, vcc_lo
	v_cmp_nlt_f32_e32 vcc_lo, 0x42fe0000, v11
	v_cvt_f16_f32_e32 v8, v8
	v_cndmask_b32_e32 v18, 0x42fe0000, v11, vcc_lo
	v_cmp_nlt_f32_e32 vcc_lo, 0x42fe0000, v3
	s_delay_alu instid0(VALU_DEP_3)
	v_pack_b32_f16 v8, v17, v8
	v_cndmask_b32_e32 v19, 0x42fe0000, v3, vcc_lo
	v_cmp_ngt_f32_e32 vcc_lo, 0xc3000000, v12
	global_store_b64 v[9:10], v[7:8], off
	v_cndmask_b32_e32 v12, 0xc3000000, v13, vcc_lo
	v_cmp_nlt_f32_e32 vcc_lo, 0x42fe0000, v4
	s_delay_alu instid0(VALU_DEP_2) | instskip(SKIP_2) | instid1(VALU_DEP_3)
	v_cvt_i32_f32_e32 v12, v12
	v_cndmask_b32_e32 v13, 0x42fe0000, v4, vcc_lo
	v_cmp_ngt_f32_e32 vcc_lo, 0xc3000000, v3
	v_and_b32_e32 v12, 0xff, v12
	s_delay_alu instid0(VALU_DEP_1) | instskip(SKIP_1) | instid1(VALU_DEP_2)
	v_dual_cndmask_b32 v3, 0xc3000000, v19 :: v_dual_lshlrev_b32 v12, 16, v12
	v_cmp_ngt_f32_e32 vcc_lo, 0xc3000000, v11
	v_cvt_i32_f32_e32 v3, v3
	v_cndmask_b32_e32 v11, 0xc3000000, v18, vcc_lo
	v_cmp_ngt_f32_e32 vcc_lo, 0xc3000000, v4
	s_delay_alu instid0(VALU_DEP_3) | instskip(NEXT) | instid1(VALU_DEP_3)
	v_and_b32_e32 v3, 0xff, v3
	v_cvt_i32_f32_e32 v11, v11
	s_delay_alu instid0(VALU_DEP_2) | instskip(SKIP_1) | instid1(VALU_DEP_3)
	v_lshlrev_b32_e32 v14, 8, v3
	v_cndmask_b32_e32 v4, 0xc3000000, v13, vcc_lo
	v_and_b32_e32 v13, 0xff, v11
	v_add_co_u32 v11, vcc_lo, s0, v15
	v_add_nc_u32_e32 v3, s3, v0
	s_delay_alu instid0(VALU_DEP_4) | instskip(NEXT) | instid1(VALU_DEP_1)
	v_cvt_i32_f32_e32 v4, v4
	v_lshl_or_b32 v4, v4, 24, v12
	v_add_co_ci_u32_e32 v12, vcc_lo, s1, v16, vcc_lo
	s_delay_alu instid0(VALU_DEP_2)
	v_or3_b32 v4, v4, v14, v13
	global_store_b32 v[11:12], v4, off
	v_cmpx_gt_u32_e64 s8, v3
	s_cbranch_execz .LBB44_59
; %bb.63:                               ;   in Loop: Header=BB44_61 Depth=1
	v_bfe_u32 v10, v3, 5, 25
	v_add_nc_u32_e32 v0, s2, v0
	s_mov_b32 s15, -1
	s_mov_b32 s14, exec_lo
	s_delay_alu instid0(VALU_DEP_2) | instskip(NEXT) | instid1(VALU_DEP_1)
	v_mad_u64_u32 v[7:8], null, v5, v10, 0
	v_mov_b32_e32 v4, v8
	s_delay_alu instid0(VALU_DEP_1) | instskip(NEXT) | instid1(VALU_DEP_1)
	v_mad_u64_u32 v[8:9], null, v6, v10, v[4:5]
	v_lshlrev_b64 v[7:8], 2, v[7:8]
	s_delay_alu instid0(VALU_DEP_1) | instskip(NEXT) | instid1(VALU_DEP_2)
	v_add_co_u32 v7, vcc_lo, s4, v7
	v_add_co_ci_u32_e32 v8, vcc_lo, s5, v8, vcc_lo
	global_load_b32 v15, v[7:8], off
	s_waitcnt vmcnt(0)
	v_div_scale_f32 v16, null, v15, v15, 1.0
	s_delay_alu instid0(VALU_DEP_1) | instskip(SKIP_2) | instid1(VALU_DEP_1)
	v_rcp_f32_e32 v17, v16
	s_waitcnt_depctr 0xfff
	v_fma_f32 v21, -v16, v17, 1.0
	v_fmac_f32_e32 v17, v21, v17
	v_mov_b32_e32 v4, v1
	s_delay_alu instid0(VALU_DEP_1) | instskip(NEXT) | instid1(VALU_DEP_1)
	v_lshlrev_b64 v[9:10], 3, v[3:4]
	v_add_co_u32 v7, vcc_lo, s28, v9
	s_delay_alu instid0(VALU_DEP_2)
	v_add_co_ci_u32_e32 v8, vcc_lo, s29, v10, vcc_lo
	v_add_co_u32 v11, vcc_lo, s10, v9
	v_add_co_ci_u32_e32 v12, vcc_lo, s11, v10, vcc_lo
	v_add_co_u32 v9, vcc_lo, s30, v9
	v_add_co_ci_u32_e32 v10, vcc_lo, s31, v10, vcc_lo
	global_load_b64 v[11:12], v[11:12], off
	global_load_b64 v[7:8], v[7:8], off
	global_load_b64 v[13:14], v[9:10], off
	v_div_scale_f32 v23, vcc_lo, 1.0, v15, 1.0
	s_delay_alu instid0(VALU_DEP_1) | instskip(SKIP_1) | instid1(VALU_DEP_2)
	v_mul_f32_e32 v25, v23, v17
	v_lshlrev_b64 v[3:4], 2, v[3:4]
	v_fma_f32 v26, -v16, v25, v23
	s_waitcnt vmcnt(2)
	v_lshrrev_b32_e32 v19, 16, v12
	s_waitcnt vmcnt(1)
	v_cvt_f32_f16_e32 v20, v7
	v_lshrrev_b32_e32 v7, 16, v7
	s_waitcnt vmcnt(0)
	v_cvt_f32_f16_e32 v22, v13
	v_lshrrev_b32_e32 v13, 16, v13
	v_cvt_f32_f16_e32 v21, v8
	v_cvt_f32_f16_e32 v24, v14
	v_lshrrev_b32_e32 v8, 16, v8
	v_lshrrev_b32_e32 v14, 16, v14
	v_cvt_f32_f16_e32 v7, v7
	v_cvt_f32_f16_e32 v13, v13
	v_dual_add_f32 v21, v21, v24 :: v_dual_add_f32 v20, v20, v22
	v_cvt_f32_f16_e32 v8, v8
	v_cvt_f32_f16_e32 v14, v14
	s_delay_alu instid0(VALU_DEP_4) | instskip(NEXT) | instid1(VALU_DEP_4)
	v_add_f32_e32 v7, v7, v13
	v_fma_mixlo_f16 v13, v28, v21, 0
	v_lshrrev_b32_e32 v18, 16, v11
	s_delay_alu instid0(VALU_DEP_4) | instskip(SKIP_1) | instid1(VALU_DEP_4)
	v_add_f32_e32 v8, v8, v14
	v_fma_mixlo_f16 v14, v28, v20, 0
	v_mul_f16_e32 v12, v12, v13
	v_fma_mixlo_f16 v22, v28, v7, 0
	v_cvt_f16_f32_e32 v7, v7
	v_fma_mixlo_f16 v13, v28, v8, 0
	v_mul_f16_e32 v11, v11, v14
	v_cvt_f32_f16_e32 v12, v12
	v_fmac_f32_e32 v25, v26, v17
	v_mul_f16_e32 v14, v18, v22
	v_mul_f16_e32 v13, v19, v13
	v_cvt_f32_f16_e32 v11, v11
	v_cvt_f16_f32_e32 v8, v8
	v_fma_f32 v16, -v16, v25, v23
	v_cvt_f32_f16_e32 v14, v14
	v_cvt_f32_f16_e32 v13, v13
	s_delay_alu instid0(VALU_DEP_3) | instskip(SKIP_1) | instid1(VALU_DEP_2)
	v_div_fmas_f32 v16, v16, v17, v25
	v_cvt_f16_f32_e32 v17, v21
	v_div_fixup_f32 v15, v16, v15, 1.0
	v_cvt_f16_f32_e32 v16, v20
	s_delay_alu instid0(VALU_DEP_3) | instskip(NEXT) | instid1(VALU_DEP_3)
	v_pack_b32_f16 v8, v17, v8
	v_mul_f32_e32 v12, v15, v12
	v_mul_f32_e32 v11, v15, v11
	s_delay_alu instid0(VALU_DEP_4) | instskip(NEXT) | instid1(VALU_DEP_3)
	v_pack_b32_f16 v7, v16, v7
	v_rndne_f32_e32 v12, v12
	s_delay_alu instid0(VALU_DEP_3) | instskip(SKIP_4) | instid1(VALU_DEP_1)
	v_rndne_f32_e32 v11, v11
	v_mul_f32_e32 v13, v15, v13
	global_store_b64 v[9:10], v[7:8], off
	v_cmp_nlt_f32_e32 vcc_lo, 0x42fe0000, v12
	v_dual_mul_f32 v14, v15, v14 :: v_dual_cndmask_b32 v15, 0x42fe0000, v12
	v_rndne_f32_e32 v14, v14
	v_cmp_nlt_f32_e32 vcc_lo, 0x42fe0000, v11
	v_cndmask_b32_e32 v18, 0x42fe0000, v11, vcc_lo
	s_delay_alu instid0(VALU_DEP_3) | instskip(SKIP_4) | instid1(VALU_DEP_4)
	v_cmp_nlt_f32_e32 vcc_lo, 0x42fe0000, v14
	v_rndne_f32_e32 v13, v13
	v_cndmask_b32_e32 v19, 0x42fe0000, v14, vcc_lo
	v_cmp_ngt_f32_e32 vcc_lo, 0xc3000000, v12
	v_cndmask_b32_e32 v12, 0xc3000000, v15, vcc_lo
	v_cmp_nlt_f32_e32 vcc_lo, 0x42fe0000, v13
	s_delay_alu instid0(VALU_DEP_2) | instskip(SKIP_2) | instid1(VALU_DEP_3)
	v_cvt_i32_f32_e32 v12, v12
	v_cndmask_b32_e32 v15, 0x42fe0000, v13, vcc_lo
	v_cmp_ngt_f32_e32 vcc_lo, 0xc3000000, v14
	v_and_b32_e32 v12, 0xff, v12
	s_delay_alu instid0(VALU_DEP_1) | instskip(SKIP_2) | instid1(VALU_DEP_2)
	v_lshlrev_b32_e32 v12, 16, v12
	v_cndmask_b32_e32 v14, 0xc3000000, v19, vcc_lo
	v_cmp_ngt_f32_e32 vcc_lo, 0xc3000000, v11
	v_cvt_i32_f32_e32 v14, v14
	v_cndmask_b32_e32 v11, 0xc3000000, v18, vcc_lo
	v_cmp_ngt_f32_e32 vcc_lo, 0xc3000000, v13
	s_delay_alu instid0(VALU_DEP_3) | instskip(NEXT) | instid1(VALU_DEP_3)
	v_and_b32_e32 v14, 0xff, v14
	v_cvt_i32_f32_e32 v11, v11
	s_delay_alu instid0(VALU_DEP_2) | instskip(NEXT) | instid1(VALU_DEP_2)
	v_dual_cndmask_b32 v13, 0xc3000000, v15 :: v_dual_lshlrev_b32 v14, 8, v14
	v_and_b32_e32 v11, 0xff, v11
	v_add_co_u32 v3, vcc_lo, s0, v3
	v_add_co_ci_u32_e32 v4, vcc_lo, s1, v4, vcc_lo
	s_delay_alu instid0(VALU_DEP_4) | instskip(NEXT) | instid1(VALU_DEP_1)
	v_cvt_i32_f32_e32 v13, v13
	v_lshl_or_b32 v12, v13, 24, v12
	s_delay_alu instid0(VALU_DEP_1)
	v_or3_b32 v11, v12, v14, v11
	global_store_b32 v[3:4], v11, off
	v_cmpx_gt_u32_e64 s8, v0
	s_cbranch_execz .LBB44_58
; %bb.64:                               ;   in Loop: Header=BB44_61 Depth=1
	v_bfe_u32 v9, v0, 5, 25
	v_lshlrev_b64 v[13:14], 2, v[0:1]
	s_delay_alu instid0(VALU_DEP_2) | instskip(NEXT) | instid1(VALU_DEP_1)
	v_mad_u64_u32 v[3:4], null, v5, v9, 0
	v_mad_u64_u32 v[7:8], null, v6, v9, v[4:5]
	s_delay_alu instid0(VALU_DEP_1) | instskip(SKIP_2) | instid1(VALU_DEP_3)
	v_mov_b32_e32 v4, v7
	v_lshlrev_b64 v[7:8], 3, v[0:1]
	v_add3_u32 v0, s7, s33, v2
	v_lshlrev_b64 v[3:4], 2, v[3:4]
	s_delay_alu instid0(VALU_DEP_1) | instskip(NEXT) | instid1(VALU_DEP_2)
	v_add_co_u32 v3, vcc_lo, s4, v3
	v_add_co_ci_u32_e32 v4, vcc_lo, s5, v4, vcc_lo
	global_load_b32 v15, v[3:4], off
	v_add_co_u32 v3, vcc_lo, s28, v7
	v_add_co_ci_u32_e32 v4, vcc_lo, s29, v8, vcc_lo
	v_add_co_u32 v9, vcc_lo, s10, v7
	v_add_co_ci_u32_e32 v10, vcc_lo, s11, v8, vcc_lo
	;; [unrolled: 2-line block ×3, first 2 shown]
	global_load_b64 v[9:10], v[9:10], off
	global_load_b64 v[3:4], v[3:4], off
	;; [unrolled: 1-line block ×3, first 2 shown]
	s_waitcnt vmcnt(3)
	v_div_scale_f32 v16, null, v15, v15, 1.0
	v_div_scale_f32 v22, vcc_lo, 1.0, v15, 1.0
	s_delay_alu instid0(VALU_DEP_2)
	v_rcp_f32_e32 v17, v16
	s_waitcnt vmcnt(2)
	v_lshrrev_b32_e32 v18, 16, v10
	s_waitcnt vmcnt(1)
	v_cvt_f32_f16_e32 v19, v3
	v_lshrrev_b32_e32 v3, 16, v3
	s_waitcnt_depctr 0xfff
	v_fma_f32 v20, -v16, v17, 1.0
	s_waitcnt vmcnt(0)
	v_cvt_f32_f16_e32 v21, v11
	v_lshrrev_b32_e32 v11, 16, v11
	v_cvt_f32_f16_e32 v23, v12
	v_lshrrev_b32_e32 v12, 16, v12
	v_fmac_f32_e32 v17, v20, v17
	v_cvt_f32_f16_e32 v20, v4
	v_lshrrev_b32_e32 v4, 16, v4
	v_cvt_f32_f16_e32 v3, v3
	v_cvt_f32_f16_e32 v11, v11
	;; [unrolled: 1-line block ×3, first 2 shown]
	v_dual_add_f32 v20, v20, v23 :: v_dual_add_f32 v19, v19, v21
	v_cvt_f32_f16_e32 v4, v4
	s_delay_alu instid0(VALU_DEP_4) | instskip(NEXT) | instid1(VALU_DEP_3)
	v_dual_mul_f32 v24, v22, v17 :: v_dual_add_f32 v3, v3, v11
	v_fma_mixlo_f16 v11, v28, v20, 0
	v_lshrrev_b32_e32 v2, 16, v9
	s_delay_alu instid0(VALU_DEP_4) | instskip(NEXT) | instid1(VALU_DEP_4)
	v_add_f32_e32 v4, v4, v12
	v_fma_f32 v25, -v16, v24, v22
	v_fma_mixlo_f16 v21, v28, v3, 0
	v_mul_f16_e32 v10, v10, v11
	v_fma_mixlo_f16 v12, v28, v19, 0
	v_fma_mixlo_f16 v11, v28, v4, 0
	s_delay_alu instid0(VALU_DEP_4) | instskip(NEXT) | instid1(VALU_DEP_4)
	v_mul_f16_e32 v2, v2, v21
	v_cvt_f32_f16_e32 v10, v10
	s_delay_alu instid0(VALU_DEP_4) | instskip(NEXT) | instid1(VALU_DEP_4)
	v_mul_f16_e32 v9, v9, v12
	v_mul_f16_e32 v11, v18, v11
	s_delay_alu instid0(VALU_DEP_4) | instskip(NEXT) | instid1(VALU_DEP_3)
	v_cvt_f32_f16_e32 v2, v2
	v_cvt_f32_f16_e32 v9, v9
	s_delay_alu instid0(VALU_DEP_3) | instskip(SKIP_1) | instid1(VALU_DEP_1)
	v_cvt_f32_f16_e32 v11, v11
	v_fmac_f32_e32 v24, v25, v17
	v_fma_f32 v16, -v16, v24, v22
	s_delay_alu instid0(VALU_DEP_1) | instskip(NEXT) | instid1(VALU_DEP_1)
	v_div_fmas_f32 v16, v16, v17, v24
	v_div_fixup_f32 v12, v16, v15, 1.0
	v_cvt_f16_f32_e32 v16, v20
	v_cvt_f16_f32_e32 v15, v19
	s_delay_alu instid0(VALU_DEP_3) | instskip(SKIP_2) | instid1(VALU_DEP_2)
	v_mul_f32_e32 v11, v12, v11
	v_mul_f32_e32 v10, v12, v10
	;; [unrolled: 1-line block ×3, first 2 shown]
	v_rndne_f32_e32 v10, v10
	s_delay_alu instid0(VALU_DEP_2) | instskip(SKIP_2) | instid1(VALU_DEP_4)
	v_rndne_f32_e32 v2, v2
	v_mul_f32_e32 v9, v12, v9
	v_cvt_f16_f32_e32 v12, v3
	v_cmp_nlt_f32_e32 vcc_lo, 0x42fe0000, v10
	s_delay_alu instid0(VALU_DEP_3) | instskip(SKIP_3) | instid1(VALU_DEP_4)
	v_rndne_f32_e32 v3, v9
	v_rndne_f32_e32 v9, v11
	v_cndmask_b32_e32 v11, 0x42fe0000, v10, vcc_lo
	v_cvt_f16_f32_e32 v4, v4
	v_cmp_nlt_f32_e32 vcc_lo, 0x42fe0000, v3
	v_cndmask_b32_e32 v17, 0x42fe0000, v3, vcc_lo
	v_cmp_nlt_f32_e32 vcc_lo, 0x42fe0000, v2
	v_cndmask_b32_e32 v18, 0x42fe0000, v2, vcc_lo
	v_cmp_ngt_f32_e32 vcc_lo, 0xc3000000, v10
	v_cndmask_b32_e32 v10, 0xc3000000, v11, vcc_lo
	v_cmp_nlt_f32_e32 vcc_lo, 0x42fe0000, v9
	v_cndmask_b32_e32 v11, 0x42fe0000, v9, vcc_lo
	v_cmp_ngt_f32_e32 vcc_lo, 0xc3000000, v2
	v_cndmask_b32_e32 v2, 0xc3000000, v18, vcc_lo
	v_cmp_ngt_f32_e32 vcc_lo, 0xc3000000, v3
	s_delay_alu instid0(VALU_DEP_2) | instskip(SKIP_2) | instid1(VALU_DEP_3)
	v_cvt_i32_f32_e32 v2, v2
	v_cndmask_b32_e32 v3, 0xc3000000, v17, vcc_lo
	v_cmp_ngt_f32_e32 vcc_lo, 0xc3000000, v9
	v_and_b32_e32 v17, 0xff, v2
	v_pack_b32_f16 v2, v15, v12
	v_cndmask_b32_e32 v9, 0xc3000000, v11, vcc_lo
	v_cvt_i32_f32_e32 v11, v3
	v_pack_b32_f16 v3, v16, v4
	s_delay_alu instid0(VALU_DEP_3) | instskip(NEXT) | instid1(VALU_DEP_3)
	v_cvt_i32_f32_e32 v9, v9
	v_and_b32_e32 v4, 0xff, v11
	v_lshlrev_b32_e32 v11, 8, v17
	v_cvt_i32_f32_e32 v10, v10
	global_store_b64 v[7:8], v[2:3], off
	v_and_b32_e32 v10, 0xff, v10
	s_delay_alu instid0(VALU_DEP_1) | instskip(NEXT) | instid1(VALU_DEP_1)
	v_lshlrev_b32_e32 v10, 16, v10
	v_lshl_or_b32 v12, v9, 24, v10
	v_add_co_u32 v9, vcc_lo, s0, v13
	v_add_co_ci_u32_e32 v10, vcc_lo, s1, v14, vcc_lo
	v_cmp_le_u32_e32 vcc_lo, s8, v0
	s_delay_alu instid0(VALU_DEP_4)
	v_or3_b32 v4, v12, v11, v4
	s_or_not1_b32 s15, vcc_lo, exec_lo
	global_store_b32 v[9:10], v4, off
	s_branch .LBB44_58
.LBB44_65:
	s_nop 0
	s_sendmsg sendmsg(MSG_DEALLOC_VGPRS)
	s_endpgm
.LBB44_66:
                                        ; implicit-def: $vgpr3_vgpr4
	s_branch .LBB44_51
.LBB44_67:
                                        ; implicit-def: $vgpr1_vgpr2
	s_branch .LBB44_56
	.section	.rodata,"a",@progbits
	.p2align	6, 0x0
	.amdhsa_kernel _ZN4vllm31rms_norm_per_block_quant_kernelIN3c104HalfEaLb1ELb1ELi128EEEvPT0_PfPKT_S8_PKffiiPS6_l
		.amdhsa_group_segment_fixed_size 4228
		.amdhsa_private_segment_fixed_size 0
		.amdhsa_kernarg_size 328
		.amdhsa_user_sgpr_count 15
		.amdhsa_user_sgpr_dispatch_ptr 0
		.amdhsa_user_sgpr_queue_ptr 0
		.amdhsa_user_sgpr_kernarg_segment_ptr 1
		.amdhsa_user_sgpr_dispatch_id 0
		.amdhsa_user_sgpr_private_segment_size 0
		.amdhsa_wavefront_size32 1
		.amdhsa_uses_dynamic_stack 0
		.amdhsa_enable_private_segment 0
		.amdhsa_system_sgpr_workgroup_id_x 1
		.amdhsa_system_sgpr_workgroup_id_y 0
		.amdhsa_system_sgpr_workgroup_id_z 0
		.amdhsa_system_sgpr_workgroup_info 0
		.amdhsa_system_vgpr_workitem_id 0
		.amdhsa_next_free_vgpr 35
		.amdhsa_next_free_sgpr 42
		.amdhsa_reserve_vcc 1
		.amdhsa_float_round_mode_32 0
		.amdhsa_float_round_mode_16_64 0
		.amdhsa_float_denorm_mode_32 3
		.amdhsa_float_denorm_mode_16_64 3
		.amdhsa_dx10_clamp 1
		.amdhsa_ieee_mode 1
		.amdhsa_fp16_overflow 0
		.amdhsa_workgroup_processor_mode 1
		.amdhsa_memory_ordered 1
		.amdhsa_forward_progress 0
		.amdhsa_shared_vgpr_count 0
		.amdhsa_exception_fp_ieee_invalid_op 0
		.amdhsa_exception_fp_denorm_src 0
		.amdhsa_exception_fp_ieee_div_zero 0
		.amdhsa_exception_fp_ieee_overflow 0
		.amdhsa_exception_fp_ieee_underflow 0
		.amdhsa_exception_fp_ieee_inexact 0
		.amdhsa_exception_int_div_zero 0
	.end_amdhsa_kernel
	.section	.text._ZN4vllm31rms_norm_per_block_quant_kernelIN3c104HalfEaLb1ELb1ELi128EEEvPT0_PfPKT_S8_PKffiiPS6_l,"axG",@progbits,_ZN4vllm31rms_norm_per_block_quant_kernelIN3c104HalfEaLb1ELb1ELi128EEEvPT0_PfPKT_S8_PKffiiPS6_l,comdat
.Lfunc_end44:
	.size	_ZN4vllm31rms_norm_per_block_quant_kernelIN3c104HalfEaLb1ELb1ELi128EEEvPT0_PfPKT_S8_PKffiiPS6_l, .Lfunc_end44-_ZN4vllm31rms_norm_per_block_quant_kernelIN3c104HalfEaLb1ELb1ELi128EEEvPT0_PfPKT_S8_PKffiiPS6_l
                                        ; -- End function
	.section	.AMDGPU.csdata,"",@progbits
; Kernel info:
; codeLenInByte = 9828
; NumSgprs: 44
; NumVgprs: 35
; ScratchSize: 0
; MemoryBound: 0
; FloatMode: 240
; IeeeMode: 1
; LDSByteSize: 4228 bytes/workgroup (compile time only)
; SGPRBlocks: 5
; VGPRBlocks: 4
; NumSGPRsForWavesPerEU: 44
; NumVGPRsForWavesPerEU: 35
; Occupancy: 16
; WaveLimiterHint : 0
; COMPUTE_PGM_RSRC2:SCRATCH_EN: 0
; COMPUTE_PGM_RSRC2:USER_SGPR: 15
; COMPUTE_PGM_RSRC2:TRAP_HANDLER: 0
; COMPUTE_PGM_RSRC2:TGID_X_EN: 1
; COMPUTE_PGM_RSRC2:TGID_Y_EN: 0
; COMPUTE_PGM_RSRC2:TGID_Z_EN: 0
; COMPUTE_PGM_RSRC2:TIDIG_COMP_CNT: 0
	.section	.text._ZN4vllm31rms_norm_per_block_quant_kernelIN3c104HalfENS1_13Float8_e4m3fnELb1ELb0ELi128EEEvPT0_PfPKT_S9_PKffiiPS7_l,"axG",@progbits,_ZN4vllm31rms_norm_per_block_quant_kernelIN3c104HalfENS1_13Float8_e4m3fnELb1ELb0ELi128EEEvPT0_PfPKT_S9_PKffiiPS7_l,comdat
	.protected	_ZN4vllm31rms_norm_per_block_quant_kernelIN3c104HalfENS1_13Float8_e4m3fnELb1ELb0ELi128EEEvPT0_PfPKT_S9_PKffiiPS7_l ; -- Begin function _ZN4vllm31rms_norm_per_block_quant_kernelIN3c104HalfENS1_13Float8_e4m3fnELb1ELb0ELi128EEEvPT0_PfPKT_S9_PKffiiPS7_l
	.globl	_ZN4vllm31rms_norm_per_block_quant_kernelIN3c104HalfENS1_13Float8_e4m3fnELb1ELb0ELi128EEEvPT0_PfPKT_S9_PKffiiPS7_l
	.p2align	8
	.type	_ZN4vllm31rms_norm_per_block_quant_kernelIN3c104HalfENS1_13Float8_e4m3fnELb1ELb0ELi128EEEvPT0_PfPKT_S9_PKffiiPS7_l,@function
_ZN4vllm31rms_norm_per_block_quant_kernelIN3c104HalfENS1_13Float8_e4m3fnELb1ELb0ELi128EEEvPT0_PfPKT_S9_PKffiiPS7_l: ; @_ZN4vllm31rms_norm_per_block_quant_kernelIN3c104HalfENS1_13Float8_e4m3fnELb1ELb0ELi128EEEvPT0_PfPKT_S9_PKffiiPS7_l
; %bb.0:
	s_clause 0x2
	s_load_b128 s[16:19], s[0:1], 0x28
	s_load_b256 s[4:11], s[0:1], 0x0
	s_load_b64 s[2:3], s[0:1], 0x38
	v_mov_b32_e32 v6, 0
	s_waitcnt lgkmcnt(0)
	s_ashr_i32 s12, s18, 31
	s_mul_hi_u32 s13, s18, s15
	s_mul_i32 s20, s18, s15
	s_mul_i32 s18, s12, s15
	s_ashr_i32 s19, s17, 31
	s_add_i32 s21, s13, s18
	s_mul_hi_u32 s14, s17, s15
	s_mul_i32 s13, s19, s15
	s_lshl_b64 s[20:21], s[20:21], 1
	s_mul_i32 s12, s17, s15
	s_add_i32 s13, s14, s13
	s_add_u32 s28, s8, s20
	s_addc_u32 s29, s9, s21
	s_lshl_b64 s[8:9], s[12:13], 1
	s_mov_b32 s18, s17
	s_add_u32 s30, s2, s8
	s_addc_u32 s31, s3, s9
	s_ashr_i32 s8, s17, 2
	s_add_u32 s20, s0, 0x48
	v_cmp_gt_u32_e64 s2, s8, v0
	s_mov_b32 s3, 0
	s_addc_u32 s21, s1, 0
	s_delay_alu instid0(VALU_DEP_1)
	s_and_saveexec_b32 s9, s2
	s_cbranch_execz .LBB45_10
; %bb.1:
	s_load_b32 s14, s[20:21], 0x0
	v_dual_mov_b32 v2, 0 :: v_dual_mov_b32 v1, v0
	s_waitcnt lgkmcnt(0)
	s_cmp_lt_u32 s15, s14
	s_cselect_b32 s14, 12, 18
	s_delay_alu instid0(SALU_CYCLE_1)
	s_add_u32 s22, s20, s14
	s_addc_u32 s23, s21, 0
                                        ; implicit-def: $sgpr14
	global_load_u16 v7, v2, s[22:23]
	s_waitcnt vmcnt(0)
	v_lshlrev_b32_e32 v9, 1, v7
	v_mul_lo_u32 v8, v7, 3
	v_add_nc_u32_e32 v10, v7, v7
	v_mov_b32_e32 v6, v2
	s_branch .LBB45_5
.LBB45_2:                               ;   in Loop: Header=BB45_5 Depth=1
	s_or_b32 exec_lo, exec_lo, s23
	s_delay_alu instid0(SALU_CYCLE_1)
	s_or_not1_b32 s23, s24, exec_lo
.LBB45_3:                               ;   in Loop: Header=BB45_5 Depth=1
	s_or_b32 exec_lo, exec_lo, s22
	s_delay_alu instid0(SALU_CYCLE_1) | instskip(SKIP_1) | instid1(SALU_CYCLE_1)
	s_and_not1_b32 s14, s14, exec_lo
	s_and_b32 s22, s23, exec_lo
	s_or_b32 s14, s14, s22
.LBB45_4:                               ;   in Loop: Header=BB45_5 Depth=1
	s_or_b32 exec_lo, exec_lo, s17
	s_delay_alu instid0(SALU_CYCLE_1) | instskip(NEXT) | instid1(SALU_CYCLE_1)
	s_and_b32 s17, exec_lo, s14
	s_or_b32 s3, s17, s3
	s_delay_alu instid0(SALU_CYCLE_1)
	s_and_not1_b32 exec_lo, exec_lo, s3
	s_cbranch_execz .LBB45_9
.LBB45_5:                               ; =>This Inner Loop Header: Depth=1
	v_lshlrev_b64 v[3:4], 3, v[1:2]
	s_or_b32 s14, s14, exec_lo
	s_mov_b32 s17, exec_lo
	s_delay_alu instid0(VALU_DEP_1) | instskip(NEXT) | instid1(VALU_DEP_2)
	v_add_co_u32 v11, vcc_lo, s28, v3
	v_add_co_ci_u32_e32 v12, vcc_lo, s29, v4, vcc_lo
	v_add_co_u32 v3, vcc_lo, s30, v3
	v_add_co_ci_u32_e32 v4, vcc_lo, s31, v4, vcc_lo
	global_load_b64 v[11:12], v[11:12], off
	global_load_b64 v[3:4], v[3:4], off
	s_waitcnt vmcnt(1)
	v_lshrrev_b32_e32 v5, 16, v11
	s_waitcnt vmcnt(0)
	v_lshrrev_b32_e32 v13, 16, v3
	v_cvt_f32_f16_e32 v11, v11
	v_cvt_f32_f16_e32 v3, v3
	v_lshrrev_b32_e32 v14, 16, v12
	v_cvt_f32_f16_e32 v5, v5
	v_cvt_f32_f16_e32 v13, v13
	s_delay_alu instid0(VALU_DEP_1) | instskip(SKIP_4) | instid1(VALU_DEP_4)
	v_add_f32_e32 v5, v5, v13
	v_add_f32_e32 v3, v11, v3
	v_cvt_f32_f16_e32 v11, v12
	v_lshrrev_b32_e32 v12, 16, v4
	v_cvt_f32_f16_e32 v4, v4
	v_fmac_f32_e32 v6, v3, v3
	v_cvt_f32_f16_e32 v3, v14
	s_delay_alu instid0(VALU_DEP_3) | instskip(SKIP_1) | instid1(VALU_DEP_1)
	v_add_f32_e32 v4, v11, v4
	v_cvt_f32_f16_e32 v11, v12
	v_dual_fmac_f32 v6, v5, v5 :: v_dual_add_f32 v5, v3, v11
	s_delay_alu instid0(VALU_DEP_1) | instskip(NEXT) | instid1(VALU_DEP_1)
	v_dual_fmac_f32 v6, v4, v4 :: v_dual_add_nc_u32 v3, v1, v7
	v_fmac_f32_e32 v6, v5, v5
	s_delay_alu instid0(VALU_DEP_2)
	v_cmpx_gt_u32_e64 s8, v3
	s_cbranch_execz .LBB45_4
; %bb.6:                                ;   in Loop: Header=BB45_5 Depth=1
	v_mov_b32_e32 v4, v2
	s_mov_b32 s23, -1
	s_mov_b32 s22, exec_lo
	s_delay_alu instid0(VALU_DEP_1) | instskip(NEXT) | instid1(VALU_DEP_1)
	v_lshlrev_b64 v[4:5], 3, v[3:4]
	v_add_co_u32 v11, vcc_lo, s28, v4
	s_delay_alu instid0(VALU_DEP_2)
	v_add_co_ci_u32_e32 v12, vcc_lo, s29, v5, vcc_lo
	v_add_co_u32 v4, vcc_lo, s30, v4
	v_add_co_ci_u32_e32 v5, vcc_lo, s31, v5, vcc_lo
	global_load_b64 v[11:12], v[11:12], off
	global_load_b64 v[4:5], v[4:5], off
	s_waitcnt vmcnt(1)
	v_lshrrev_b32_e32 v13, 16, v11
	v_cvt_f32_f16_e32 v11, v11
	s_waitcnt vmcnt(0)
	v_lshrrev_b32_e32 v14, 16, v4
	v_cvt_f32_f16_e32 v4, v4
	v_lshrrev_b32_e32 v15, 16, v12
	v_cvt_f32_f16_e32 v13, v13
	s_delay_alu instid0(VALU_DEP_4) | instskip(NEXT) | instid1(VALU_DEP_4)
	v_cvt_f32_f16_e32 v14, v14
	v_add_f32_e32 v4, v11, v4
	v_cvt_f32_f16_e32 v11, v12
	v_lshrrev_b32_e32 v12, 16, v5
	v_cvt_f32_f16_e32 v5, v5
	s_delay_alu instid0(VALU_DEP_4) | instskip(SKIP_1) | instid1(VALU_DEP_3)
	v_dual_add_f32 v13, v13, v14 :: v_dual_fmac_f32 v6, v4, v4
	v_cvt_f32_f16_e32 v4, v15
	v_add_f32_e32 v5, v11, v5
	v_cvt_f32_f16_e32 v11, v12
	s_delay_alu instid0(VALU_DEP_1) | instskip(NEXT) | instid1(VALU_DEP_1)
	v_dual_fmac_f32 v6, v13, v13 :: v_dual_add_f32 v11, v4, v11
	v_fmac_f32_e32 v6, v5, v5
	v_add_nc_u32_e32 v4, v9, v1
	s_delay_alu instid0(VALU_DEP_2) | instskip(NEXT) | instid1(VALU_DEP_2)
	v_fmac_f32_e32 v6, v11, v11
	v_cmpx_gt_u32_e64 s8, v4
	s_cbranch_execz .LBB45_3
; %bb.7:                                ;   in Loop: Header=BB45_5 Depth=1
	v_mov_b32_e32 v5, v2
	v_add_nc_u32_e32 v1, v8, v1
	s_mov_b32 s24, -1
	s_mov_b32 s23, exec_lo
	s_delay_alu instid0(VALU_DEP_2) | instskip(NEXT) | instid1(VALU_DEP_1)
	v_lshlrev_b64 v[4:5], 3, v[4:5]
	v_add_co_u32 v11, vcc_lo, s28, v4
	s_delay_alu instid0(VALU_DEP_2)
	v_add_co_ci_u32_e32 v12, vcc_lo, s29, v5, vcc_lo
	v_add_co_u32 v4, vcc_lo, s30, v4
	v_add_co_ci_u32_e32 v5, vcc_lo, s31, v5, vcc_lo
	global_load_b64 v[11:12], v[11:12], off
	global_load_b64 v[4:5], v[4:5], off
	s_waitcnt vmcnt(1)
	v_lshrrev_b32_e32 v13, 16, v11
	v_cvt_f32_f16_e32 v11, v11
	s_waitcnt vmcnt(0)
	v_lshrrev_b32_e32 v14, 16, v4
	v_cvt_f32_f16_e32 v4, v4
	v_lshrrev_b32_e32 v15, 16, v12
	v_cvt_f32_f16_e32 v13, v13
	s_delay_alu instid0(VALU_DEP_4) | instskip(NEXT) | instid1(VALU_DEP_4)
	v_cvt_f32_f16_e32 v14, v14
	v_add_f32_e32 v4, v11, v4
	v_cvt_f32_f16_e32 v11, v12
	v_lshrrev_b32_e32 v12, 16, v5
	v_cvt_f32_f16_e32 v5, v5
	s_delay_alu instid0(VALU_DEP_4) | instskip(SKIP_1) | instid1(VALU_DEP_3)
	v_dual_add_f32 v13, v13, v14 :: v_dual_fmac_f32 v6, v4, v4
	v_cvt_f32_f16_e32 v4, v15
	v_add_f32_e32 v5, v11, v5
	v_cvt_f32_f16_e32 v11, v12
	s_delay_alu instid0(VALU_DEP_4) | instskip(NEXT) | instid1(VALU_DEP_2)
	v_fmac_f32_e32 v6, v13, v13
	v_add_f32_e32 v4, v4, v11
	s_delay_alu instid0(VALU_DEP_2) | instskip(NEXT) | instid1(VALU_DEP_1)
	v_fmac_f32_e32 v6, v5, v5
	v_fmac_f32_e32 v6, v4, v4
	v_cmpx_gt_u32_e64 s8, v1
	s_xor_b32 s23, exec_lo, s23
	s_cbranch_execz .LBB45_2
; %bb.8:                                ;   in Loop: Header=BB45_5 Depth=1
	v_lshlrev_b64 v[4:5], 3, v[1:2]
	s_delay_alu instid0(VALU_DEP_1) | instskip(NEXT) | instid1(VALU_DEP_2)
	v_add_co_u32 v11, vcc_lo, s28, v4
	v_add_co_ci_u32_e32 v12, vcc_lo, s29, v5, vcc_lo
	v_add_co_u32 v4, vcc_lo, s30, v4
	v_add_co_ci_u32_e32 v5, vcc_lo, s31, v5, vcc_lo
	global_load_b64 v[11:12], v[11:12], off
	global_load_b64 v[4:5], v[4:5], off
	s_waitcnt vmcnt(1)
	v_lshrrev_b32_e32 v1, 16, v11
	v_cvt_f32_f16_e32 v11, v11
	s_waitcnt vmcnt(0)
	v_lshrrev_b32_e32 v13, 16, v4
	v_cvt_f32_f16_e32 v4, v4
	v_lshrrev_b32_e32 v14, 16, v12
	v_cvt_f32_f16_e32 v1, v1
	s_delay_alu instid0(VALU_DEP_4) | instskip(NEXT) | instid1(VALU_DEP_4)
	v_cvt_f32_f16_e32 v13, v13
	v_add_f32_e32 v4, v11, v4
	v_cvt_f32_f16_e32 v11, v12
	v_lshrrev_b32_e32 v12, 16, v5
	v_cvt_f32_f16_e32 v5, v5
	s_delay_alu instid0(VALU_DEP_4) | instskip(SKIP_1) | instid1(VALU_DEP_3)
	v_dual_add_f32 v1, v1, v13 :: v_dual_fmac_f32 v6, v4, v4
	v_cvt_f32_f16_e32 v4, v14
	v_add_f32_e32 v5, v11, v5
	v_cvt_f32_f16_e32 v11, v12
	s_delay_alu instid0(VALU_DEP_4) | instskip(SKIP_1) | instid1(VALU_DEP_2)
	v_fmac_f32_e32 v6, v1, v1
	v_add3_u32 v1, v10, v7, v3
	v_dual_add_f32 v3, v4, v11 :: v_dual_fmac_f32 v6, v5, v5
	s_delay_alu instid0(VALU_DEP_2) | instskip(NEXT) | instid1(VALU_DEP_2)
	v_cmp_le_u32_e32 vcc_lo, s8, v1
	v_fmac_f32_e32 v6, v3, v3
	s_or_not1_b32 s24, vcc_lo, exec_lo
	s_branch .LBB45_2
.LBB45_9:
	s_or_b32 exec_lo, exec_lo, s3
.LBB45_10:
	s_delay_alu instid0(SALU_CYCLE_1) | instskip(SKIP_3) | instid1(VALU_DEP_2)
	s_or_b32 exec_lo, exec_lo, s9
	v_mbcnt_lo_u32_b32 v1, -1, 0
	s_load_b32 s3, s[20:21], 0xc
	v_and_b32_e32 v7, 0x3e0, v0
	v_cmp_ne_u32_e32 vcc_lo, 31, v1
	v_add_nc_u32_e32 v3, 1, v1
	v_add_co_ci_u32_e32 v2, vcc_lo, 0, v1, vcc_lo
	v_cmp_gt_u32_e32 vcc_lo, 30, v1
	s_delay_alu instid0(VALU_DEP_2)
	v_lshlrev_b32_e32 v2, 2, v2
	v_cndmask_b32_e64 v5, 0, 1, vcc_lo
	ds_bpermute_b32 v4, v2, v6
	s_waitcnt lgkmcnt(0)
	s_and_b32 s33, s3, 0xffff
	v_lshlrev_b32_e32 v5, 1, v5
	v_sub_nc_u32_e64 v12, s33, v7 clamp
	s_mov_b32 s3, exec_lo
	s_delay_alu instid0(VALU_DEP_1) | instskip(SKIP_2) | instid1(VALU_DEP_2)
	v_cmp_lt_u32_e32 vcc_lo, v3, v12
	v_add_f32_e32 v7, v6, v4
	v_add_lshl_u32 v4, v5, v1, 2
	v_cndmask_b32_e32 v7, v6, v7, vcc_lo
	v_cmp_gt_u32_e32 vcc_lo, 28, v1
	v_cndmask_b32_e64 v5, 0, 1, vcc_lo
	s_delay_alu instid0(VALU_DEP_1) | instskip(SKIP_2) | instid1(VALU_DEP_1)
	v_lshlrev_b32_e32 v8, 2, v5
	ds_bpermute_b32 v6, v4, v7
	v_add_nc_u32_e32 v5, 2, v1
	v_cmp_lt_u32_e32 vcc_lo, v5, v12
	s_waitcnt lgkmcnt(0)
	v_add_f32_e32 v9, v7, v6
	v_add_lshl_u32 v6, v8, v1, 2
	s_delay_alu instid0(VALU_DEP_2) | instskip(SKIP_3) | instid1(VALU_DEP_1)
	v_cndmask_b32_e32 v9, v7, v9, vcc_lo
	v_cmp_gt_u32_e32 vcc_lo, 24, v1
	ds_bpermute_b32 v8, v6, v9
	v_cndmask_b32_e64 v7, 0, 1, vcc_lo
	v_lshlrev_b32_e32 v10, 3, v7
	v_add_nc_u32_e32 v7, 4, v1
	s_delay_alu instid0(VALU_DEP_1) | instskip(SKIP_3) | instid1(VALU_DEP_2)
	v_cmp_lt_u32_e32 vcc_lo, v7, v12
	s_waitcnt lgkmcnt(0)
	v_add_f32_e32 v11, v9, v8
	v_add_lshl_u32 v8, v10, v1, 2
	v_cndmask_b32_e32 v11, v9, v11, vcc_lo
	v_cmp_gt_u32_e32 vcc_lo, 16, v1
	ds_bpermute_b32 v10, v8, v11
	v_cndmask_b32_e64 v9, 0, 1, vcc_lo
	s_delay_alu instid0(VALU_DEP_1) | instskip(SKIP_1) | instid1(VALU_DEP_1)
	v_lshlrev_b32_e32 v13, 4, v9
	v_add_nc_u32_e32 v9, 8, v1
	v_cmp_lt_u32_e32 vcc_lo, v9, v12
	s_waitcnt lgkmcnt(0)
	v_add_f32_e32 v14, v11, v10
	v_add_lshl_u32 v10, v13, v1, 2
	s_delay_alu instid0(VALU_DEP_2)
	v_cndmask_b32_e32 v13, v11, v14, vcc_lo
	v_add_nc_u32_e32 v11, 16, v1
	ds_bpermute_b32 v14, v10, v13
	v_cmp_lt_u32_e32 vcc_lo, v11, v12
	s_waitcnt lgkmcnt(0)
	v_add_f32_e32 v14, v13, v14
	s_delay_alu instid0(VALU_DEP_1)
	v_cndmask_b32_e32 v12, v13, v14, vcc_lo
	v_cmpx_eq_u32_e32 0, v1
	s_cbranch_execz .LBB45_12
; %bb.11:
	v_lshrrev_b32_e32 v13, 3, v0
	s_delay_alu instid0(VALU_DEP_1)
	v_and_b32_e32 v13, 0x7c, v13
	ds_store_b32 v13, v12 offset:4096
.LBB45_12:
	s_or_b32 exec_lo, exec_lo, s3
	s_delay_alu instid0(SALU_CYCLE_1)
	s_mov_b32 s3, exec_lo
	s_waitcnt lgkmcnt(0)
	s_barrier
	buffer_gl0_inv
	v_cmpx_gt_u32_e32 32, v0
	s_cbranch_execz .LBB45_14
; %bb.13:
	v_lshlrev_b32_e32 v1, 2, v1
	s_add_i32 s9, s33, 31
	s_delay_alu instid0(SALU_CYCLE_1) | instskip(NEXT) | instid1(SALU_CYCLE_1)
	s_lshr_b32 s9, s9, 5
	v_cmp_gt_u32_e32 vcc_lo, s9, v3
	ds_load_b32 v1, v1 offset:4096
	s_waitcnt lgkmcnt(0)
	ds_bpermute_b32 v2, v2, v1
	s_waitcnt lgkmcnt(0)
	v_add_f32_e32 v2, v1, v2
	s_delay_alu instid0(VALU_DEP_1) | instskip(SKIP_4) | instid1(VALU_DEP_1)
	v_cndmask_b32_e32 v1, v1, v2, vcc_lo
	v_cmp_gt_u32_e32 vcc_lo, s9, v5
	ds_bpermute_b32 v2, v4, v1
	s_waitcnt lgkmcnt(0)
	v_add_f32_e32 v2, v1, v2
	v_cndmask_b32_e32 v1, v1, v2, vcc_lo
	v_cmp_gt_u32_e32 vcc_lo, s9, v7
	ds_bpermute_b32 v2, v6, v1
	s_waitcnt lgkmcnt(0)
	v_add_f32_e32 v2, v1, v2
	s_delay_alu instid0(VALU_DEP_1) | instskip(SKIP_4) | instid1(VALU_DEP_1)
	v_cndmask_b32_e32 v1, v1, v2, vcc_lo
	v_cmp_gt_u32_e32 vcc_lo, s9, v9
	ds_bpermute_b32 v2, v8, v1
	s_waitcnt lgkmcnt(0)
	v_add_f32_e32 v2, v1, v2
	v_cndmask_b32_e32 v1, v1, v2, vcc_lo
	v_cmp_gt_u32_e32 vcc_lo, s9, v11
	ds_bpermute_b32 v2, v10, v1
	s_waitcnt lgkmcnt(0)
	v_add_f32_e32 v2, v1, v2
	s_delay_alu instid0(VALU_DEP_1)
	v_cndmask_b32_e32 v12, v1, v2, vcc_lo
.LBB45_14:
	s_or_b32 exec_lo, exec_lo, s3
	s_delay_alu instid0(SALU_CYCLE_1)
	s_mov_b32 s3, exec_lo
	v_cmpx_eq_u32_e32 0, v0
	s_cbranch_execz .LBB45_16
; %bb.15:
	v_cvt_f32_i32_e32 v1, s18
	s_delay_alu instid0(VALU_DEP_1) | instskip(SKIP_1) | instid1(VALU_DEP_2)
	v_div_scale_f32 v2, null, v1, v1, v12
	v_div_scale_f32 v5, vcc_lo, v12, v1, v12
	v_rcp_f32_e32 v3, v2
	s_waitcnt_depctr 0xfff
	v_fma_f32 v4, -v2, v3, 1.0
	s_delay_alu instid0(VALU_DEP_1) | instskip(NEXT) | instid1(VALU_DEP_1)
	v_fmac_f32_e32 v3, v4, v3
	v_mul_f32_e32 v4, v5, v3
	s_delay_alu instid0(VALU_DEP_1) | instskip(NEXT) | instid1(VALU_DEP_1)
	v_fma_f32 v6, -v2, v4, v5
	v_fmac_f32_e32 v4, v6, v3
	s_delay_alu instid0(VALU_DEP_1) | instskip(NEXT) | instid1(VALU_DEP_1)
	v_fma_f32 v2, -v2, v4, v5
	v_div_fmas_f32 v2, v2, v3, v4
	s_delay_alu instid0(VALU_DEP_1) | instskip(NEXT) | instid1(VALU_DEP_1)
	v_div_fixup_f32 v1, v2, v1, v12
	v_add_f32_e32 v1, s16, v1
	s_delay_alu instid0(VALU_DEP_1) | instskip(SKIP_1) | instid1(VALU_DEP_2)
	v_mul_f32_e32 v2, 0x4b800000, v1
	v_cmp_gt_f32_e32 vcc_lo, 0x800000, v1
	v_cndmask_b32_e32 v1, v1, v2, vcc_lo
	s_delay_alu instid0(VALU_DEP_1) | instskip(SKIP_2) | instid1(VALU_DEP_1)
	v_rsq_f32_e32 v1, v1
	s_waitcnt_depctr 0xfff
	v_mul_f32_e32 v2, 0x45800000, v1
	v_dual_cndmask_b32 v1, v1, v2 :: v_dual_mov_b32 v2, 0
	ds_store_b32 v2, v1 offset:4224
.LBB45_16:
	s_or_b32 exec_lo, exec_lo, s3
	s_ashr_i32 s3, s18, 31
	s_waitcnt lgkmcnt(0)
	s_lshr_b32 s3, s3, 25
	s_barrier
	s_add_i32 s3, s18, s3
	buffer_gl0_inv
	s_ashr_i32 s16, s3, 7
	s_ashr_i32 s3, s3, 31
	s_abs_i32 s9, s16
	s_delay_alu instid0(SALU_CYCLE_1) | instskip(SKIP_1) | instid1(VALU_DEP_1)
	v_cvt_f32_u32_e32 v1, s9
	s_sub_i32 s17, 0, s9
	v_rcp_iflag_f32_e32 v1, v1
	s_waitcnt_depctr 0xfff
	v_mul_f32_e32 v1, 0x4f7ffffe, v1
	s_delay_alu instid0(VALU_DEP_1) | instskip(NEXT) | instid1(VALU_DEP_1)
	v_cvt_u32_f32_e32 v1, v1
	v_readfirstlane_b32 s14, v1
	s_delay_alu instid0(VALU_DEP_1) | instskip(NEXT) | instid1(SALU_CYCLE_1)
	s_mul_i32 s17, s17, s14
	s_mul_hi_u32 s17, s14, s17
	s_delay_alu instid0(SALU_CYCLE_1) | instskip(NEXT) | instid1(SALU_CYCLE_1)
	s_add_i32 s14, s14, s17
	s_mul_hi_u32 s14, s33, s14
	s_delay_alu instid0(SALU_CYCLE_1) | instskip(SKIP_2) | instid1(SALU_CYCLE_1)
	s_mul_i32 s17, s14, s9
	s_add_i32 s20, s14, 1
	s_sub_i32 s17, s33, s17
	s_sub_i32 s21, s17, s9
	s_cmp_ge_u32 s17, s9
	s_cselect_b32 s14, s20, s14
	s_cselect_b32 s17, s21, s17
	s_add_i32 s20, s14, 1
	s_cmp_ge_u32 s17, s9
	s_cselect_b32 s9, s20, s14
	s_delay_alu instid0(SALU_CYCLE_1) | instskip(NEXT) | instid1(SALU_CYCLE_1)
	s_xor_b32 s9, s9, s3
	s_sub_i32 s20, s9, s3
	s_delay_alu instid0(SALU_CYCLE_1) | instskip(SKIP_3) | instid1(VALU_DEP_1)
	s_abs_i32 s3, s20
	s_ashr_i32 s21, s20, 31
	v_cvt_f32_u32_e32 v1, s3
	s_sub_i32 s9, 0, s3
	v_rcp_iflag_f32_e32 v1, v1
	s_waitcnt_depctr 0xfff
	v_mul_f32_e32 v1, 0x4f7ffffe, v1
	s_delay_alu instid0(VALU_DEP_1) | instskip(NEXT) | instid1(VALU_DEP_1)
	v_cvt_u32_f32_e32 v1, v1
	v_mul_lo_u32 v2, s9, v1
	s_ashr_i32 s9, s8, 31
	s_delay_alu instid0(VALU_DEP_1) | instskip(NEXT) | instid1(VALU_DEP_1)
	v_mul_hi_u32 v2, v1, v2
	v_add_nc_u32_e32 v1, v1, v2
	s_delay_alu instid0(VALU_DEP_1) | instskip(NEXT) | instid1(VALU_DEP_1)
	v_mul_hi_u32 v1, v0, v1
	v_mul_lo_u32 v2, v1, s3
	v_add_nc_u32_e32 v3, 1, v1
	s_delay_alu instid0(VALU_DEP_2) | instskip(NEXT) | instid1(VALU_DEP_1)
	v_sub_nc_u32_e32 v2, v0, v2
	v_subrev_nc_u32_e32 v4, s3, v2
	v_cmp_le_u32_e32 vcc_lo, s3, v2
	s_delay_alu instid0(VALU_DEP_2) | instskip(NEXT) | instid1(VALU_DEP_1)
	v_dual_cndmask_b32 v1, v1, v3 :: v_dual_cndmask_b32 v2, v2, v4
	v_dual_mov_b32 v4, 0 :: v_dual_add_nc_u32 v3, 1, v1
	s_delay_alu instid0(VALU_DEP_2) | instskip(SKIP_2) | instid1(VALU_DEP_1)
	v_cmp_le_u32_e32 vcc_lo, s3, v2
	ds_load_b32 v28, v4 offset:4224
	v_cndmask_b32_e32 v1, v1, v3, vcc_lo
	v_xor_b32_e32 v1, s21, v1
	s_delay_alu instid0(VALU_DEP_1) | instskip(NEXT) | instid1(VALU_DEP_1)
	v_subrev_nc_u32_e32 v1, s21, v1
	v_ashrrev_i32_e32 v2, 31, v1
	v_mul_lo_u32 v3, v1, s20
	s_delay_alu instid0(VALU_DEP_2) | instskip(NEXT) | instid1(VALU_DEP_2)
	v_lshlrev_b64 v[7:8], 5, v[1:2]
	v_sub_nc_u32_e32 v3, v0, v3
	s_delay_alu instid0(VALU_DEP_2) | instskip(NEXT) | instid1(VALU_DEP_3)
	v_add_co_u32 v5, vcc_lo, v7, 32
	v_add_co_ci_u32_e32 v6, vcc_lo, 0, v8, vcc_lo
	s_delay_alu instid0(VALU_DEP_1) | instskip(SKIP_4) | instid1(VALU_DEP_3)
	v_cmp_gt_i64_e32 vcc_lo, s[8:9], v[5:6]
	v_cndmask_b32_e32 v6, s9, v6, vcc_lo
	v_cndmask_b32_e32 v5, s8, v5, vcc_lo
	v_add_co_u32 v7, vcc_lo, v7, v3
	v_add_co_ci_u32_e32 v8, vcc_lo, 0, v8, vcc_lo
	v_ashrrev_i32_e32 v10, 31, v5
	v_mov_b32_e32 v9, v5
	s_mov_b32 s9, exec_lo
	s_delay_alu instid0(VALU_DEP_1)
	v_cmpx_lt_i64_e64 v[7:8], v[9:10]
	s_cbranch_execz .LBB45_26
; %bb.17:
	v_lshlrev_b64 v[11:12], 8, v[1:2]
	v_lshlrev_b64 v[13:14], 3, v[3:4]
	v_mov_b32_e32 v4, 0
	s_lshl_b64 s[22:23], s[20:21], 5
	s_mul_hi_i32 s14, s20, 3
	s_mul_i32 s17, s20, 3
	s_lshl_b64 s[24:25], s[20:21], 1
	v_add_co_u32 v21, vcc_lo, v11, v13
	v_add_co_ci_u32_e32 v22, vcc_lo, v12, v14, vcc_lo
	v_dual_mov_b32 v12, v8 :: v_dual_mov_b32 v11, v7
	s_lshl_b64 s[26:27], s[20:21], 3
	s_mov_b32 s34, 0
                                        ; implicit-def: $sgpr35
	s_branch .LBB45_21
.LBB45_18:                              ;   in Loop: Header=BB45_21 Depth=1
	s_or_b32 exec_lo, exec_lo, s38
	s_delay_alu instid0(SALU_CYCLE_1)
	s_or_not1_b32 s3, s3, exec_lo
.LBB45_19:                              ;   in Loop: Header=BB45_21 Depth=1
	s_or_b32 exec_lo, exec_lo, s37
	s_delay_alu instid0(SALU_CYCLE_1) | instskip(SKIP_1) | instid1(SALU_CYCLE_1)
	s_and_not1_b32 s35, s35, exec_lo
	s_and_b32 s3, s3, exec_lo
	s_or_b32 s35, s35, s3
.LBB45_20:                              ;   in Loop: Header=BB45_21 Depth=1
	s_or_b32 exec_lo, exec_lo, s36
	s_delay_alu instid0(SALU_CYCLE_1) | instskip(NEXT) | instid1(SALU_CYCLE_1)
	s_and_b32 s3, exec_lo, s35
	s_or_b32 s34, s3, s34
	s_delay_alu instid0(SALU_CYCLE_1)
	s_and_not1_b32 exec_lo, exec_lo, s34
	s_cbranch_execz .LBB45_25
.LBB45_21:                              ; =>This Inner Loop Header: Depth=1
	v_add_co_u32 v15, vcc_lo, s28, v21
	v_add_co_ci_u32_e32 v16, vcc_lo, s29, v22, vcc_lo
	v_add_co_u32 v19, vcc_lo, s30, v21
	v_add_co_ci_u32_e32 v20, vcc_lo, s31, v22, vcc_lo
	v_add_co_u32 v17, vcc_lo, s10, v21
	global_load_b64 v[13:14], v[15:16], off
	global_load_b64 v[23:24], v[19:20], off
	v_add_co_ci_u32_e32 v18, vcc_lo, s11, v22, vcc_lo
	s_or_b32 s35, s35, exec_lo
	s_mov_b32 s36, exec_lo
	global_load_b64 v[25:26], v[17:18], off
	s_waitcnt vmcnt(2)
	v_lshrrev_b32_e32 v27, 16, v13
	s_waitcnt vmcnt(1)
	v_lshrrev_b32_e32 v30, 16, v23
	v_lshrrev_b32_e32 v29, 16, v14
	v_cvt_f32_f16_e32 v13, v13
	v_lshrrev_b32_e32 v31, 16, v24
	v_cvt_f32_f16_e32 v23, v23
	v_cvt_f32_f16_e32 v27, v27
	v_cvt_f32_f16_e32 v30, v30
	v_cvt_f32_f16_e32 v14, v14
	v_cvt_f32_f16_e32 v24, v24
	v_cvt_f32_f16_e32 v29, v29
	v_add_f32_e32 v13, v13, v23
	v_cvt_f32_f16_e32 v23, v31
	s_delay_alu instid0(VALU_DEP_4)
	v_dual_add_f32 v27, v27, v30 :: v_dual_add_f32 v14, v14, v24
	s_waitcnt vmcnt(0)
	v_lshrrev_b32_e32 v30, 16, v25
	s_waitcnt lgkmcnt(0)
	v_fma_mixlo_f16 v13, v28, v13, 0
	v_add_f32_e32 v23, v29, v23
	v_fma_mixlo_f16 v24, v28, v27, 0
	v_lshrrev_b32_e32 v27, 16, v26
	v_fma_mixlo_f16 v14, v28, v14, 0
	v_mul_f16_e32 v13, v25, v13
	v_fma_mixlo_f16 v23, v28, v23, 0
	v_mul_f16_e32 v24, v30, v24
	s_delay_alu instid0(VALU_DEP_4) | instskip(NEXT) | instid1(VALU_DEP_4)
	v_mul_f16_e32 v25, v26, v14
	v_cvt_f32_f16_e64 v26, |v13|
	s_delay_alu instid0(VALU_DEP_4) | instskip(NEXT) | instid1(VALU_DEP_4)
	v_mul_f16_e32 v23, v27, v23
	v_cvt_f32_f16_e64 v24, |v24|
	v_add_co_u32 v13, vcc_lo, v11, s20
	v_cvt_f32_f16_e64 v25, |v25|
	s_delay_alu instid0(VALU_DEP_4) | instskip(NEXT) | instid1(VALU_DEP_4)
	v_cvt_f32_f16_e64 v23, |v23|
	v_max3_f32 v4, v4, v26, v24
	v_add_co_ci_u32_e32 v14, vcc_lo, s21, v12, vcc_lo
	s_delay_alu instid0(VALU_DEP_2) | instskip(NEXT) | instid1(VALU_DEP_2)
	v_max3_f32 v4, v4, v25, v23
	v_cmpx_lt_i64_e64 v[13:14], v[9:10]
	s_cbranch_execz .LBB45_20
; %bb.22:                               ;   in Loop: Header=BB45_21 Depth=1
	v_add_co_u32 v15, vcc_lo, v15, s26
	v_add_co_ci_u32_e32 v16, vcc_lo, s27, v16, vcc_lo
	v_add_co_u32 v19, vcc_lo, v19, s26
	v_add_co_ci_u32_e32 v20, vcc_lo, s27, v20, vcc_lo
	v_add_co_u32 v17, vcc_lo, v17, s26
	global_load_b64 v[23:24], v[15:16], off
	global_load_b64 v[25:26], v[19:20], off
	v_add_co_ci_u32_e32 v18, vcc_lo, s27, v18, vcc_lo
	s_mov_b32 s3, -1
	s_mov_b32 s37, exec_lo
	global_load_b64 v[29:30], v[17:18], off
	s_waitcnt vmcnt(2)
	v_lshrrev_b32_e32 v27, 16, v23
	s_waitcnt vmcnt(1)
	v_lshrrev_b32_e32 v32, 16, v25
	v_lshrrev_b32_e32 v31, 16, v24
	v_cvt_f32_f16_e32 v23, v23
	v_lshrrev_b32_e32 v33, 16, v26
	v_cvt_f32_f16_e32 v25, v25
	v_cvt_f32_f16_e32 v27, v27
	;; [unrolled: 1-line block ×6, first 2 shown]
	v_add_f32_e32 v23, v23, v25
	v_cvt_f32_f16_e32 v25, v33
	s_delay_alu instid0(VALU_DEP_4)
	v_dual_add_f32 v27, v27, v32 :: v_dual_add_f32 v24, v24, v26
	s_waitcnt vmcnt(0)
	v_lshrrev_b32_e32 v32, 16, v29
	v_fma_mixlo_f16 v23, v28, v23, 0
	v_add_f32_e32 v25, v31, v25
	v_fma_mixlo_f16 v26, v28, v27, 0
	v_lshrrev_b32_e32 v27, 16, v30
	v_fma_mixlo_f16 v24, v28, v24, 0
	v_mul_f16_e32 v23, v29, v23
	v_fma_mixlo_f16 v25, v28, v25, 0
	v_mul_f16_e32 v26, v32, v26
	s_delay_alu instid0(VALU_DEP_4) | instskip(NEXT) | instid1(VALU_DEP_4)
	v_mul_f16_e32 v29, v30, v24
	v_cvt_f32_f16_e64 v30, |v23|
	s_delay_alu instid0(VALU_DEP_4) | instskip(NEXT) | instid1(VALU_DEP_4)
	v_mul_f16_e32 v25, v27, v25
	v_cvt_f32_f16_e64 v26, |v26|
	v_add_co_u32 v23, vcc_lo, s24, v11
	v_cvt_f32_f16_e64 v27, |v29|
	s_delay_alu instid0(VALU_DEP_4) | instskip(NEXT) | instid1(VALU_DEP_4)
	v_cvt_f32_f16_e64 v25, |v25|
	v_max3_f32 v4, v4, v30, v26
	v_add_co_ci_u32_e32 v24, vcc_lo, s25, v12, vcc_lo
	s_delay_alu instid0(VALU_DEP_2) | instskip(NEXT) | instid1(VALU_DEP_2)
	v_max3_f32 v4, v4, v27, v25
	v_cmpx_lt_i64_e64 v[23:24], v[9:10]
	s_cbranch_execz .LBB45_19
; %bb.23:                               ;   in Loop: Header=BB45_21 Depth=1
	v_add_co_u32 v15, vcc_lo, v15, s26
	v_add_co_ci_u32_e32 v16, vcc_lo, s27, v16, vcc_lo
	v_add_co_u32 v19, vcc_lo, v19, s26
	v_add_co_ci_u32_e32 v20, vcc_lo, s27, v20, vcc_lo
	v_add_co_u32 v17, vcc_lo, v17, s26
	global_load_b64 v[23:24], v[15:16], off
	global_load_b64 v[25:26], v[19:20], off
	v_add_co_ci_u32_e32 v18, vcc_lo, s27, v18, vcc_lo
	v_add_co_u32 v11, vcc_lo, s17, v11
	v_add_co_ci_u32_e32 v12, vcc_lo, s14, v12, vcc_lo
	global_load_b64 v[29:30], v[17:18], off
	v_cmp_lt_i64_e32 vcc_lo, v[11:12], v[9:10]
                                        ; implicit-def: $vgpr11_vgpr12
	s_waitcnt vmcnt(2)
	v_lshrrev_b32_e32 v27, 16, v23
	s_waitcnt vmcnt(1)
	v_lshrrev_b32_e32 v32, 16, v25
	v_lshrrev_b32_e32 v31, 16, v24
	v_cvt_f32_f16_e32 v23, v23
	v_lshrrev_b32_e32 v33, 16, v26
	v_cvt_f32_f16_e32 v25, v25
	v_cvt_f32_f16_e32 v27, v27
	;; [unrolled: 1-line block ×6, first 2 shown]
	v_add_f32_e32 v23, v23, v25
	v_cvt_f32_f16_e32 v25, v33
	s_delay_alu instid0(VALU_DEP_4)
	v_dual_add_f32 v27, v27, v32 :: v_dual_add_f32 v24, v24, v26
	s_waitcnt vmcnt(0)
	v_lshrrev_b32_e32 v32, 16, v29
	v_fma_mixlo_f16 v23, v28, v23, 0
	v_add_f32_e32 v25, v31, v25
	v_fma_mixlo_f16 v26, v28, v27, 0
	v_lshrrev_b32_e32 v27, 16, v30
	v_fma_mixlo_f16 v24, v28, v24, 0
	v_mul_f16_e32 v23, v29, v23
	v_fma_mixlo_f16 v25, v28, v25, 0
	v_mul_f16_e32 v26, v32, v26
	s_delay_alu instid0(VALU_DEP_4) | instskip(NEXT) | instid1(VALU_DEP_4)
	v_mul_f16_e32 v24, v30, v24
	v_cvt_f32_f16_e64 v23, |v23|
	s_delay_alu instid0(VALU_DEP_4) | instskip(NEXT) | instid1(VALU_DEP_4)
	v_mul_f16_e32 v25, v27, v25
	v_cvt_f32_f16_e64 v26, |v26|
	s_delay_alu instid0(VALU_DEP_4) | instskip(NEXT) | instid1(VALU_DEP_2)
	v_cvt_f32_f16_e64 v24, |v24|
	v_max3_f32 v4, v4, v23, v26
	s_delay_alu instid0(VALU_DEP_4) | instskip(NEXT) | instid1(VALU_DEP_1)
	v_cvt_f32_f16_e64 v23, |v25|
	v_max3_f32 v4, v4, v24, v23
	s_and_saveexec_b32 s38, vcc_lo
	s_delay_alu instid0(SALU_CYCLE_1)
	s_xor_b32 s38, exec_lo, s38
	s_cbranch_execz .LBB45_18
; %bb.24:                               ;   in Loop: Header=BB45_21 Depth=1
	v_add_co_u32 v11, vcc_lo, v15, s26
	v_add_co_ci_u32_e32 v12, vcc_lo, s27, v16, vcc_lo
	v_add_co_u32 v15, vcc_lo, v19, s26
	v_add_co_ci_u32_e32 v16, vcc_lo, s27, v20, vcc_lo
	v_add_co_u32 v17, vcc_lo, v17, s26
	global_load_b64 v[11:12], v[11:12], off
	global_load_b64 v[15:16], v[15:16], off
	v_add_co_ci_u32_e32 v18, vcc_lo, s27, v18, vcc_lo
	s_add_u32 s3, s20, s20
	s_addc_u32 s39, s21, s21
	s_add_u32 s3, s3, s20
	global_load_b64 v[17:18], v[17:18], off
	s_addc_u32 s39, s39, s21
	s_waitcnt vmcnt(2)
	v_lshrrev_b32_e32 v19, 16, v11
	s_waitcnt vmcnt(1)
	v_lshrrev_b32_e32 v23, 16, v15
	v_lshrrev_b32_e32 v20, 16, v12
	v_cvt_f32_f16_e32 v11, v11
	v_lshrrev_b32_e32 v24, 16, v16
	v_cvt_f32_f16_e32 v15, v15
	v_cvt_f32_f16_e32 v19, v19
	;; [unrolled: 1-line block ×6, first 2 shown]
	v_add_f32_e32 v11, v11, v15
	v_cvt_f32_f16_e32 v15, v24
	s_delay_alu instid0(VALU_DEP_4)
	v_dual_add_f32 v19, v19, v23 :: v_dual_add_f32 v12, v12, v16
	s_waitcnt vmcnt(0)
	v_lshrrev_b32_e32 v23, 16, v17
	v_fma_mixlo_f16 v11, v28, v11, 0
	v_add_f32_e32 v15, v20, v15
	v_fma_mixlo_f16 v16, v28, v19, 0
	v_lshrrev_b32_e32 v19, 16, v18
	v_fma_mixlo_f16 v12, v28, v12, 0
	v_mul_f16_e32 v11, v17, v11
	v_fma_mixlo_f16 v15, v28, v15, 0
	v_mul_f16_e32 v16, v23, v16
	s_delay_alu instid0(VALU_DEP_4) | instskip(NEXT) | instid1(VALU_DEP_4)
	v_mul_f16_e32 v17, v18, v12
	v_cvt_f32_f16_e64 v18, |v11|
	s_delay_alu instid0(VALU_DEP_4) | instskip(NEXT) | instid1(VALU_DEP_4)
	v_mul_f16_e32 v15, v19, v15
	v_cvt_f32_f16_e64 v16, |v16|
	v_add_co_u32 v11, vcc_lo, s3, v13
	v_add_co_ci_u32_e32 v12, vcc_lo, s39, v14, vcc_lo
	v_cvt_f32_f16_e64 v13, |v17|
	v_cvt_f32_f16_e64 v14, |v15|
	v_max3_f32 v4, v4, v18, v16
	s_delay_alu instid0(VALU_DEP_4) | instskip(SKIP_1) | instid1(VALU_DEP_1)
	v_cmp_ge_i64_e32 vcc_lo, v[11:12], v[9:10]
	v_add_co_u32 v21, s3, v21, s22
	v_add_co_ci_u32_e64 v22, s3, s23, v22, s3
	s_delay_alu instid0(VALU_DEP_4)
	v_max3_f32 v4, v4, v13, v14
	s_or_not1_b32 s3, vcc_lo, exec_lo
	s_branch .LBB45_18
.LBB45_25:
	s_or_b32 exec_lo, exec_lo, s34
.LBB45_26:
	s_delay_alu instid0(SALU_CYCLE_1)
	s_or_b32 exec_lo, exec_lo, s9
	s_lshr_b32 s9, s33, 5
	v_lshlrev_b32_e32 v29, 2, v0
	v_cvt_f32_u32_e32 v9, s9
	s_sub_i32 s14, 0, s9
	s_add_i32 s17, s16, s9
	s_delay_alu instid0(SALU_CYCLE_1) | instskip(NEXT) | instid1(VALU_DEP_1)
	s_add_i32 s22, s17, -1
	v_rcp_iflag_f32_e32 v9, v9
	s_abs_i32 s23, s22
	s_ashr_i32 s17, s16, 31
	s_ashr_i32 s22, s22, 31
	ds_store_b32 v29, v4
	s_waitcnt lgkmcnt(0)
	s_barrier
	buffer_gl0_inv
	v_mul_f32_e32 v9, 0x4f7ffffe, v9
	s_delay_alu instid0(VALU_DEP_1) | instskip(NEXT) | instid1(VALU_DEP_1)
	v_cvt_u32_f32_e32 v9, v9
	v_readfirstlane_b32 s3, v9
	s_delay_alu instid0(VALU_DEP_1) | instskip(NEXT) | instid1(SALU_CYCLE_1)
	s_mul_i32 s14, s14, s3
	s_mul_hi_u32 s14, s3, s14
	s_delay_alu instid0(SALU_CYCLE_1) | instskip(NEXT) | instid1(SALU_CYCLE_1)
	s_add_i32 s3, s3, s14
	s_mul_hi_u32 s3, s23, s3
	s_delay_alu instid0(SALU_CYCLE_1) | instskip(NEXT) | instid1(SALU_CYCLE_1)
	s_mul_i32 s14, s3, s9
	s_sub_i32 s14, s23, s14
	s_add_i32 s23, s3, 1
	s_sub_i32 s24, s14, s9
	s_cmp_ge_u32 s14, s9
	s_cselect_b32 s3, s23, s3
	s_cselect_b32 s14, s24, s14
	s_add_i32 s23, s3, 1
	s_cmp_ge_u32 s14, s9
	s_cselect_b32 s3, s23, s3
	s_delay_alu instid0(SALU_CYCLE_1) | instskip(NEXT) | instid1(SALU_CYCLE_1)
	s_xor_b32 s3, s3, s22
	s_sub_i32 s22, s3, s22
	s_delay_alu instid0(SALU_CYCLE_1) | instskip(NEXT) | instid1(SALU_CYCLE_1)
	s_ashr_i32 s23, s22, 31
	v_cmp_lt_i64_e64 s3, s[22:23], 1
	s_delay_alu instid0(VALU_DEP_1)
	s_and_b32 vcc_lo, exec_lo, s3
	s_cbranch_vccnz .LBB45_46
; %bb.27:
	v_lshrrev_b32_e32 v9, 5, v0
	v_and_b32_e32 v4, 31, v0
	s_mov_b64 s[24:25], 0
	s_mov_b64 s[26:27], src_shared_base
	s_delay_alu instid0(VALU_DEP_2) | instskip(NEXT) | instid1(VALU_DEP_2)
	v_mul_lo_u32 v19, s20, v9
	v_add_co_u32 v11, s3, v4, 16
	s_delay_alu instid0(VALU_DEP_1) | instskip(SKIP_1) | instid1(VALU_DEP_1)
	v_add_co_ci_u32_e64 v12, null, 0, 0, s3
	v_add_co_u32 v13, s3, v4, 8
	v_add_co_ci_u32_e64 v14, null, 0, 0, s3
	v_add_co_u32 v15, s3, v4, 4
	v_dual_mov_b32 v10, 0 :: v_dual_lshlrev_b32 v21, 2, v19
	v_lshlrev_b32_e32 v22, 2, v4
	v_add_co_ci_u32_e64 v16, null, 0, 0, s3
	v_add_co_u32 v17, s3, v4, 2
	s_delay_alu instid0(VALU_DEP_1) | instskip(SKIP_1) | instid1(VALU_DEP_1)
	v_add_co_ci_u32_e64 v18, null, 0, 0, s3
	v_add_co_u32 v19, s3, v4, 1
	v_add_co_ci_u32_e64 v20, null, 0, 0, s3
	v_add3_u32 v30, v21, v22, 0x80
	s_mul_i32 s3, s20, s9
	s_delay_alu instid0(SALU_CYCLE_1)
	s_lshl_b32 s14, s3, 2
	s_branch .LBB45_30
.LBB45_28:                              ;   in Loop: Header=BB45_30 Depth=1
	s_or_b32 exec_lo, exec_lo, s3
	v_mov_b32_e32 v22, s27
	flat_load_b32 v21, v[21:22] glc dlc
	s_waitcnt vmcnt(0)
.LBB45_29:                              ;   in Loop: Header=BB45_30 Depth=1
	s_or_b32 exec_lo, exec_lo, s26
	s_add_u32 s24, s24, 1
	v_add_nc_u32_e32 v30, s14, v30
	s_addc_u32 s25, s25, 0
	s_delay_alu instid0(SALU_CYCLE_1)
	s_cmp_eq_u64 s[24:25], s[22:23]
	s_cbranch_scc1 .LBB45_46
.LBB45_30:                              ; =>This Loop Header: Depth=1
                                        ;     Child Loop BB45_33 Depth 2
	s_waitcnt lgkmcnt(0)
	v_mad_u64_u32 v[21:22], null, s24, s9, v[9:10]
	s_mov_b32 s26, exec_lo
	s_delay_alu instid0(VALU_DEP_1) | instskip(NEXT) | instid1(VALU_DEP_1)
	v_mad_u64_u32 v[23:24], null, s25, s9, v[22:23]
	v_mov_b32_e32 v22, v23
	s_delay_alu instid0(VALU_DEP_1)
	v_cmpx_gt_i64_e64 s[16:17], v[21:22]
	s_cbranch_execz .LBB45_29
; %bb.31:                               ;   in Loop: Header=BB45_30 Depth=1
	v_mul_lo_u32 v24, v22, s20
	v_mul_lo_u32 v25, v21, s21
	v_mad_u64_u32 v[22:23], null, v21, s20, 0
	s_delay_alu instid0(VALU_DEP_1) | instskip(NEXT) | instid1(VALU_DEP_2)
	v_add3_u32 v23, v23, v25, v24
	v_add_co_u32 v24, vcc_lo, v22, s20
	v_add_co_u32 v31, s3, v22, v4
	s_delay_alu instid0(VALU_DEP_3) | instskip(SKIP_2) | instid1(VALU_DEP_2)
	v_add_co_ci_u32_e32 v25, vcc_lo, s21, v23, vcc_lo
	v_add_co_ci_u32_e64 v21, s3, 0, v23, s3
	s_mov_b32 s3, exec_lo
	v_cmp_gt_i64_e32 vcc_lo, s[18:19], v[24:25]
	v_cndmask_b32_e32 v25, s19, v25, vcc_lo
	v_cndmask_b32_e32 v24, s18, v24, vcc_lo
	v_add_co_u32 v26, vcc_lo, v31, 32
	v_add_co_ci_u32_e32 v27, vcc_lo, 0, v21, vcc_lo
	v_lshlrev_b32_e32 v21, 2, v31
	s_delay_alu instid0(VALU_DEP_2)
	v_cmpx_lt_i64_e64 v[26:27], v[24:25]
	s_cbranch_execz .LBB45_34
; %bb.32:                               ;   in Loop: Header=BB45_30 Depth=1
	ds_load_b32 v33, v21
	v_mov_b32_e32 v32, v30
	s_mov_b32 s34, 0
.LBB45_33:                              ;   Parent Loop BB45_30 Depth=1
                                        ; =>  This Inner Loop Header: Depth=2
	ds_load_b32 v34, v32
	v_add_co_u32 v26, vcc_lo, v26, 32
	v_add_co_ci_u32_e32 v27, vcc_lo, 0, v27, vcc_lo
	s_waitcnt lgkmcnt(1)
	v_dual_max_f32 v33, v33, v33 :: v_dual_add_nc_u32 v32, 0x80, v32
	s_delay_alu instid0(VALU_DEP_2) | instskip(SKIP_3) | instid1(VALU_DEP_1)
	v_cmp_ge_i64_e32 vcc_lo, v[26:27], v[24:25]
	s_or_b32 s34, vcc_lo, s34
	s_waitcnt lgkmcnt(0)
	v_max_f32_e32 v34, v34, v34
	v_max_f32_e32 v33, v33, v34
	ds_store_b32 v21, v33
	s_and_not1_b32 exec_lo, exec_lo, s34
	s_cbranch_execnz .LBB45_33
.LBB45_34:                              ;   in Loop: Header=BB45_30 Depth=1
	s_or_b32 exec_lo, exec_lo, s3
	v_sub_co_u32 v22, vcc_lo, v24, v22
	v_sub_co_ci_u32_e32 v23, vcc_lo, v25, v23, vcc_lo
	s_mov_b32 s3, exec_lo
	s_delay_alu instid0(VALU_DEP_1) | instskip(SKIP_1) | instid1(VALU_DEP_1)
	v_cmp_gt_i64_e32 vcc_lo, 32, v[22:23]
	v_dual_cndmask_b32 v24, 0, v23 :: v_dual_cndmask_b32 v23, 32, v22
	v_cmpx_lt_i64_e64 v[11:12], v[23:24]
	s_cbranch_execz .LBB45_36
; %bb.35:                               ;   in Loop: Header=BB45_30 Depth=1
	v_dual_mov_b32 v22, s27 :: v_dual_add_nc_u32 v25, 64, v21
	v_mov_b32_e32 v26, s27
	flat_load_b32 v27, v[21:22] glc dlc
	s_waitcnt vmcnt(0)
	flat_load_b32 v25, v[25:26] glc dlc
	s_waitcnt vmcnt(0) lgkmcnt(0)
	v_dual_max_f32 v26, v27, v27 :: v_dual_max_f32 v25, v25, v25
	s_delay_alu instid0(VALU_DEP_1)
	v_max_f32_e32 v25, v26, v25
	flat_store_b32 v[21:22], v25 dlc
	s_waitcnt_vscnt null, 0x0
.LBB45_36:                              ;   in Loop: Header=BB45_30 Depth=1
	s_or_b32 exec_lo, exec_lo, s3
	s_delay_alu instid0(SALU_CYCLE_1)
	s_mov_b32 s3, exec_lo
	v_cmpx_lt_i64_e64 v[13:14], v[23:24]
	s_cbranch_execz .LBB45_38
; %bb.37:                               ;   in Loop: Header=BB45_30 Depth=1
	v_dual_mov_b32 v22, s27 :: v_dual_add_nc_u32 v25, 32, v21
	v_mov_b32_e32 v26, s27
	flat_load_b32 v27, v[21:22] glc dlc
	s_waitcnt vmcnt(0)
	flat_load_b32 v25, v[25:26] glc dlc
	s_waitcnt vmcnt(0) lgkmcnt(0)
	v_dual_max_f32 v26, v27, v27 :: v_dual_max_f32 v25, v25, v25
	s_delay_alu instid0(VALU_DEP_1)
	v_max_f32_e32 v25, v26, v25
	flat_store_b32 v[21:22], v25 dlc
	s_waitcnt_vscnt null, 0x0
.LBB45_38:                              ;   in Loop: Header=BB45_30 Depth=1
	s_or_b32 exec_lo, exec_lo, s3
	s_delay_alu instid0(SALU_CYCLE_1)
	s_mov_b32 s3, exec_lo
	v_cmpx_ge_i64_e64 v[15:16], v[23:24]
	s_xor_b32 s3, exec_lo, s3
; %bb.39:                               ;   in Loop: Header=BB45_30 Depth=1
                                        ; implicit-def: $vgpr21
; %bb.40:                               ;   in Loop: Header=BB45_30 Depth=1
	s_delay_alu instid0(SALU_CYCLE_1)
	s_and_not1_saveexec_b32 s3, s3
	s_cbranch_execz .LBB45_42
; %bb.41:                               ;   in Loop: Header=BB45_30 Depth=1
	v_dual_mov_b32 v22, s27 :: v_dual_add_nc_u32 v25, 16, v21
	v_mov_b32_e32 v26, s27
	flat_load_b32 v27, v[21:22] glc dlc
	s_waitcnt vmcnt(0)
	flat_load_b32 v25, v[25:26] glc dlc
	s_waitcnt vmcnt(0) lgkmcnt(0)
	v_dual_max_f32 v26, v27, v27 :: v_dual_max_f32 v25, v25, v25
	s_delay_alu instid0(VALU_DEP_1)
	v_max_f32_e32 v25, v26, v25
	flat_store_b32 v[21:22], v25 dlc
	s_waitcnt_vscnt null, 0x0
.LBB45_42:                              ;   in Loop: Header=BB45_30 Depth=1
	s_or_b32 exec_lo, exec_lo, s3
	v_lshlrev_b32_e32 v21, 2, v31
	s_mov_b32 s3, exec_lo
	v_cmpx_lt_i64_e64 v[17:18], v[23:24]
	s_cbranch_execz .LBB45_44
; %bb.43:                               ;   in Loop: Header=BB45_30 Depth=1
	s_delay_alu instid0(VALU_DEP_2)
	v_dual_mov_b32 v22, s27 :: v_dual_add_nc_u32 v25, 8, v21
	v_mov_b32_e32 v26, s27
	flat_load_b32 v27, v[21:22] glc dlc
	s_waitcnt vmcnt(0)
	flat_load_b32 v25, v[25:26] glc dlc
	s_waitcnt vmcnt(0) lgkmcnt(0)
	v_dual_max_f32 v26, v27, v27 :: v_dual_max_f32 v25, v25, v25
	s_delay_alu instid0(VALU_DEP_1)
	v_max_f32_e32 v25, v26, v25
	flat_store_b32 v[21:22], v25 dlc
	s_waitcnt_vscnt null, 0x0
.LBB45_44:                              ;   in Loop: Header=BB45_30 Depth=1
	s_or_b32 exec_lo, exec_lo, s3
	s_delay_alu instid0(SALU_CYCLE_1)
	s_mov_b32 s3, exec_lo
	v_cmpx_lt_i64_e64 v[19:20], v[23:24]
	s_cbranch_execz .LBB45_28
; %bb.45:                               ;   in Loop: Header=BB45_30 Depth=1
	v_dual_mov_b32 v22, s27 :: v_dual_add_nc_u32 v23, 4, v21
	v_mov_b32_e32 v24, s27
	flat_load_b32 v25, v[21:22] glc dlc
	s_waitcnt vmcnt(0)
	flat_load_b32 v23, v[23:24] glc dlc
	s_waitcnt vmcnt(0) lgkmcnt(0)
	v_dual_max_f32 v24, v25, v25 :: v_dual_max_f32 v23, v23, v23
	s_delay_alu instid0(VALU_DEP_1)
	v_max_f32_e32 v23, v24, v23
	flat_store_b32 v[21:22], v23 dlc
	s_waitcnt_vscnt null, 0x0
	s_branch .LBB45_28
.LBB45_46:
	v_cmp_lt_i64_e32 vcc_lo, v[7:8], v[5:6]
	v_cmp_eq_u32_e64 s3, 0, v3
	s_mul_i32 s9, s17, s15
	s_mul_hi_u32 s17, s16, s15
	s_mul_i32 s14, s16, s15
	s_waitcnt lgkmcnt(0)
	s_and_b32 s18, s3, vcc_lo
	s_barrier
	buffer_gl0_inv
	s_and_saveexec_b32 s3, s18
	s_cbranch_execz .LBB45_50
; %bb.47:
	s_load_b64 s[0:1], s[0:1], 0x20
	ds_load_b32 v3, v29
	s_waitcnt lgkmcnt(0)
	s_cmp_eq_u64 s[0:1], 0
	s_cbranch_scc1 .LBB45_49
; %bb.48:
	s_load_b32 s0, s[0:1], 0x0
	v_max_f32_e32 v3, v3, v3
	s_waitcnt lgkmcnt(0)
	v_max_f32_e64 v4, s0, s0
	s_delay_alu instid0(VALU_DEP_1)
	v_min_f32_e32 v3, v3, v4
.LBB45_49:
	s_delay_alu instid0(VALU_DEP_1) | instskip(SKIP_2) | instid1(VALU_DEP_2)
	v_div_scale_f32 v4, null, 0x43e00000, 0x43e00000, v3
	v_div_scale_f32 v7, vcc_lo, v3, 0x43e00000, v3
	s_add_i32 s15, s17, s9
	v_rcp_f32_e32 v5, v4
	v_lshlrev_b64 v[1:2], 2, v[1:2]
	s_lshl_b64 s[0:1], s[14:15], 2
	s_delay_alu instid0(SALU_CYCLE_1) | instskip(SKIP_3) | instid1(VALU_DEP_1)
	s_add_u32 s0, s6, s0
	s_addc_u32 s1, s7, s1
	s_waitcnt_depctr 0xfff
	v_fma_f32 v6, -v4, v5, 1.0
	v_fmac_f32_e32 v5, v6, v5
	s_delay_alu instid0(VALU_DEP_1) | instskip(NEXT) | instid1(VALU_DEP_1)
	v_mul_f32_e32 v6, v7, v5
	v_fma_f32 v8, -v4, v6, v7
	s_delay_alu instid0(VALU_DEP_1) | instskip(NEXT) | instid1(VALU_DEP_1)
	v_fmac_f32_e32 v6, v8, v5
	v_fma_f32 v4, -v4, v6, v7
	s_delay_alu instid0(VALU_DEP_1) | instskip(SKIP_2) | instid1(VALU_DEP_3)
	v_div_fmas_f32 v4, v4, v5, v6
	v_add_co_u32 v1, vcc_lo, s0, v1
	v_add_co_ci_u32_e32 v2, vcc_lo, s1, v2, vcc_lo
	v_div_fixup_f32 v3, v4, 0x43e00000, v3
	s_delay_alu instid0(VALU_DEP_1)
	v_max_f32_e32 v3, 0x36924925, v3
	global_store_b32 v[1:2], v3, off
.LBB45_50:
	s_or_b32 exec_lo, exec_lo, s3
	s_waitcnt_vscnt null, 0x0
	s_barrier
	buffer_gl0_inv
	s_and_saveexec_b32 s0, s2
	s_cbranch_execz .LBB45_155
; %bb.51:
	s_add_u32 s2, s4, s12
	s_addc_u32 s3, s5, s13
	s_add_i32 s15, s17, s9
	v_mov_b32_e32 v1, 0
	s_lshl_b64 s[0:1], s[14:15], 2
	s_mul_i32 s4, s33, 3
	s_add_u32 s0, s6, s0
	s_addc_u32 s1, s7, s1
	s_lshl_b32 s5, s33, 1
	s_mov_b32 s6, 0
	s_mov_b32 s7, 0x43e00000
	s_add_i32 s9, s33, s33
	s_branch .LBB45_57
.LBB45_52:                              ;   in Loop: Header=BB45_57 Depth=1
	s_or_b32 exec_lo, exec_lo, s16
.LBB45_53:                              ;   in Loop: Header=BB45_57 Depth=1
	s_delay_alu instid0(SALU_CYCLE_1)
	s_or_b32 exec_lo, exec_lo, s15
	v_lshrrev_b32_e32 v8, 24, v12
	v_lshrrev_b32_e32 v3, 24, v3
	v_lshlrev_b32_e32 v9, 24, v10
	v_and_b32_e32 v10, 0x80000000, v4
	v_lshrrev_b32_e32 v6, 24, v6
	v_and_b32_e32 v8, 0x80, v8
	v_and_b32_e32 v3, 0x80, v3
	;; [unrolled: 1-line block ×3, first 2 shown]
	s_delay_alu instid0(VALU_DEP_3) | instskip(NEXT) | instid1(VALU_DEP_3)
	v_and_or_b32 v8, 0xff, v11, v8
	v_and_or_b32 v5, 0xff, v5, v3
	v_lshlrev_b64 v[3:4], 2, v[0:1]
	v_add3_u32 v0, s9, s33, v2
	v_and_or_b32 v6, 0x80, v6, v7
	v_lshlrev_b32_e32 v8, 16, v8
	v_lshlrev_b32_e32 v5, 8, v5
	v_add_co_u32 v2, vcc_lo, s2, v3
	s_delay_alu instid0(VALU_DEP_3) | instskip(SKIP_2) | instid1(VALU_DEP_3)
	v_or3_b32 v7, v10, v9, v8
	v_add_co_ci_u32_e32 v3, vcc_lo, s3, v4, vcc_lo
	v_cmp_le_u32_e32 vcc_lo, s8, v0
	v_or3_b32 v4, v7, v5, v6
	s_or_not1_b32 s15, vcc_lo, exec_lo
	global_store_b32 v[2:3], v4, off
.LBB45_54:                              ;   in Loop: Header=BB45_57 Depth=1
	s_or_b32 exec_lo, exec_lo, s14
	s_delay_alu instid0(SALU_CYCLE_1)
	s_or_not1_b32 s14, s15, exec_lo
.LBB45_55:                              ;   in Loop: Header=BB45_57 Depth=1
	s_or_b32 exec_lo, exec_lo, s13
	s_delay_alu instid0(SALU_CYCLE_1)
	s_or_not1_b32 s13, s14, exec_lo
.LBB45_56:                              ;   in Loop: Header=BB45_57 Depth=1
	s_or_b32 exec_lo, exec_lo, s12
	s_delay_alu instid0(SALU_CYCLE_1) | instskip(NEXT) | instid1(SALU_CYCLE_1)
	s_and_b32 s12, exec_lo, s13
	s_or_b32 s6, s12, s6
	s_delay_alu instid0(SALU_CYCLE_1)
	s_and_not1_b32 exec_lo, exec_lo, s6
	s_cbranch_execz .LBB45_155
.LBB45_57:                              ; =>This Inner Loop Header: Depth=1
	v_lshlrev_b64 v[2:3], 3, v[0:1]
	v_lshrrev_b32_e32 v6, 3, v0
	s_mov_b32 s12, exec_lo
	s_delay_alu instid0(VALU_DEP_1) | instskip(NEXT) | instid1(VALU_DEP_3)
	v_and_b32_e32 v6, 0x7fffffc, v6
	v_add_co_u32 v4, vcc_lo, s28, v2
	s_delay_alu instid0(VALU_DEP_4)
	v_add_co_ci_u32_e32 v5, vcc_lo, s29, v3, vcc_lo
	v_add_co_u32 v12, vcc_lo, s30, v2
	v_add_co_ci_u32_e32 v13, vcc_lo, s31, v3, vcc_lo
	global_load_b64 v[4:5], v[4:5], off
	global_load_b64 v[8:9], v[12:13], off
	v_add_co_u32 v2, vcc_lo, s10, v2
	v_add_co_ci_u32_e32 v3, vcc_lo, s11, v3, vcc_lo
	global_load_b32 v7, v6, s[0:1]
	global_load_b64 v[2:3], v[2:3], off
	s_waitcnt vmcnt(3)
	v_cvt_f32_f16_e32 v6, v4
	s_waitcnt vmcnt(2)
	v_cvt_f32_f16_e32 v10, v8
	v_lshrrev_b32_e32 v4, 16, v4
	v_lshrrev_b32_e32 v8, 16, v8
	s_delay_alu instid0(VALU_DEP_3) | instskip(NEXT) | instid1(VALU_DEP_3)
	v_add_f32_e32 v6, v6, v10
	v_cvt_f32_f16_e32 v4, v4
	s_delay_alu instid0(VALU_DEP_2) | instskip(SKIP_1) | instid1(VALU_DEP_1)
	v_fma_mixlo_f16 v10, v28, v6, 0
	s_waitcnt vmcnt(0)
	v_mul_f16_e32 v10, v2, v10
	s_delay_alu instid0(VALU_DEP_1) | instskip(NEXT) | instid1(VALU_DEP_1)
	v_cvt_f32_f16_e32 v10, v10
	v_div_scale_f32 v11, null, v7, v7, v10
	v_div_scale_f32 v16, vcc_lo, v10, v7, v10
	s_delay_alu instid0(VALU_DEP_2) | instskip(SKIP_2) | instid1(VALU_DEP_1)
	v_rcp_f32_e32 v14, v11
	s_waitcnt_depctr 0xfff
	v_fma_f32 v15, -v11, v14, 1.0
	v_fmac_f32_e32 v14, v15, v14
	s_delay_alu instid0(VALU_DEP_1) | instskip(NEXT) | instid1(VALU_DEP_1)
	v_mul_f32_e32 v15, v16, v14
	v_fma_f32 v17, -v11, v15, v16
	s_delay_alu instid0(VALU_DEP_1) | instskip(SKIP_2) | instid1(VALU_DEP_3)
	v_fmac_f32_e32 v15, v17, v14
	v_lshrrev_b32_e32 v17, 16, v5
	v_cvt_f32_f16_e32 v5, v5
	v_fma_f32 v11, -v11, v15, v16
	v_lshrrev_b32_e32 v16, 16, v9
	v_cvt_f32_f16_e32 v9, v9
	s_delay_alu instid0(VALU_DEP_3) | instskip(SKIP_1) | instid1(VALU_DEP_4)
	v_div_fmas_f32 v11, v11, v14, v15
	v_cvt_f32_f16_e32 v14, v17
	v_cvt_f32_f16_e32 v15, v16
	;; [unrolled: 1-line block ×3, first 2 shown]
	v_add_f32_e32 v9, v5, v9
	v_div_fixup_f32 v11, v11, v7, v10
	s_delay_alu instid0(VALU_DEP_4) | instskip(NEXT) | instid1(VALU_DEP_4)
	v_add_f32_e32 v8, v14, v15
	v_add_f32_e32 v10, v4, v16
	s_delay_alu instid0(VALU_DEP_4) | instskip(NEXT) | instid1(VALU_DEP_4)
	v_cvt_f16_f32_e32 v14, v9
	v_minmax_f32 v5, v11, s7, 0xc3e00000
	v_mov_b32_e32 v4, 0x7f
	v_cvt_f16_f32_e32 v15, v8
	v_cvt_f16_f32_e32 v16, v10
	s_delay_alu instid0(VALU_DEP_4) | instskip(SKIP_1) | instid1(VALU_DEP_4)
	v_and_b32_e32 v11, 0x7fffffff, v5
	v_cvt_f16_f32_e32 v6, v6
	v_pack_b32_f16 v15, v14, v15
	s_delay_alu instid0(VALU_DEP_2)
	v_pack_b32_f16 v14, v6, v16
	v_mov_b32_e32 v6, 0x7f
	global_store_b64 v[12:13], v[14:15], off
	v_cmpx_gt_u32_e32 0x43f00000, v11
	s_cbranch_execz .LBB45_63
; %bb.58:                               ;   in Loop: Header=BB45_57 Depth=1
	s_mov_b32 s13, exec_lo
                                        ; implicit-def: $vgpr6
	v_cmpx_lt_u32_e32 0x3c7fffff, v11
	s_xor_b32 s13, exec_lo, s13
; %bb.59:                               ;   in Loop: Header=BB45_57 Depth=1
	v_bfe_u32 v6, v5, 20, 1
	s_delay_alu instid0(VALU_DEP_1) | instskip(NEXT) | instid1(VALU_DEP_1)
	v_add3_u32 v6, v5, v6, 0x407ffff
	v_lshrrev_b32_e32 v6, 20, v6
; %bb.60:                               ;   in Loop: Header=BB45_57 Depth=1
	s_and_not1_saveexec_b32 s13, s13
; %bb.61:                               ;   in Loop: Header=BB45_57 Depth=1
	v_add_f32_e64 v6, 0x46800000, |v5|
; %bb.62:                               ;   in Loop: Header=BB45_57 Depth=1
	s_or_b32 exec_lo, exec_lo, s13
.LBB45_63:                              ;   in Loop: Header=BB45_57 Depth=1
	s_delay_alu instid0(SALU_CYCLE_1) | instskip(SKIP_3) | instid1(VALU_DEP_1)
	s_or_b32 exec_lo, exec_lo, s12
	v_lshrrev_b32_e32 v2, 16, v2
	v_fma_mixlo_f16 v10, v28, v10, 0
	s_mov_b32 s12, exec_lo
	v_mul_f16_e32 v2, v2, v10
	s_delay_alu instid0(VALU_DEP_1) | instskip(NEXT) | instid1(VALU_DEP_1)
	v_cvt_f32_f16_e32 v2, v2
	v_div_scale_f32 v10, null, v7, v7, v2
	s_delay_alu instid0(VALU_DEP_1) | instskip(SKIP_2) | instid1(VALU_DEP_1)
	v_rcp_f32_e32 v11, v10
	s_waitcnt_depctr 0xfff
	v_fma_f32 v12, -v10, v11, 1.0
	v_fmac_f32_e32 v11, v12, v11
	v_div_scale_f32 v12, vcc_lo, v2, v7, v2
	s_delay_alu instid0(VALU_DEP_1) | instskip(NEXT) | instid1(VALU_DEP_1)
	v_mul_f32_e32 v13, v12, v11
	v_fma_f32 v14, -v10, v13, v12
	s_delay_alu instid0(VALU_DEP_1) | instskip(NEXT) | instid1(VALU_DEP_1)
	v_fmac_f32_e32 v13, v14, v11
	v_fma_f32 v10, -v10, v13, v12
	s_delay_alu instid0(VALU_DEP_1) | instskip(NEXT) | instid1(VALU_DEP_1)
	v_div_fmas_f32 v10, v10, v11, v13
	v_div_fixup_f32 v2, v10, v7, v2
	s_delay_alu instid0(VALU_DEP_1) | instskip(NEXT) | instid1(VALU_DEP_1)
	v_minmax_f32 v2, v2, s7, 0xc3e00000
	v_and_b32_e32 v10, 0x7fffffff, v2
	s_delay_alu instid0(VALU_DEP_1)
	v_cmpx_gt_u32_e32 0x43f00000, v10
	s_cbranch_execz .LBB45_69
; %bb.64:                               ;   in Loop: Header=BB45_57 Depth=1
	s_mov_b32 s13, exec_lo
                                        ; implicit-def: $vgpr4
	v_cmpx_lt_u32_e32 0x3c7fffff, v10
	s_xor_b32 s13, exec_lo, s13
; %bb.65:                               ;   in Loop: Header=BB45_57 Depth=1
	v_bfe_u32 v4, v2, 20, 1
	s_delay_alu instid0(VALU_DEP_1) | instskip(NEXT) | instid1(VALU_DEP_1)
	v_add3_u32 v4, v2, v4, 0x407ffff
	v_lshrrev_b32_e32 v4, 20, v4
; %bb.66:                               ;   in Loop: Header=BB45_57 Depth=1
	s_and_not1_saveexec_b32 s13, s13
; %bb.67:                               ;   in Loop: Header=BB45_57 Depth=1
	v_add_f32_e64 v4, 0x46800000, |v2|
; %bb.68:                               ;   in Loop: Header=BB45_57 Depth=1
	s_or_b32 exec_lo, exec_lo, s13
.LBB45_69:                              ;   in Loop: Header=BB45_57 Depth=1
	s_delay_alu instid0(SALU_CYCLE_1) | instskip(SKIP_2) | instid1(VALU_DEP_1)
	s_or_b32 exec_lo, exec_lo, s12
	v_fma_mixlo_f16 v9, v28, v9, 0
	s_mov_b32 s12, exec_lo
	v_mul_f16_e32 v9, v3, v9
	s_delay_alu instid0(VALU_DEP_1) | instskip(NEXT) | instid1(VALU_DEP_1)
	v_cvt_f32_f16_e32 v9, v9
	v_div_scale_f32 v10, null, v7, v7, v9
	v_div_scale_f32 v13, vcc_lo, v9, v7, v9
	s_delay_alu instid0(VALU_DEP_2) | instskip(SKIP_2) | instid1(VALU_DEP_1)
	v_rcp_f32_e32 v11, v10
	s_waitcnt_depctr 0xfff
	v_fma_f32 v12, -v10, v11, 1.0
	v_fmac_f32_e32 v11, v12, v11
	s_delay_alu instid0(VALU_DEP_1) | instskip(NEXT) | instid1(VALU_DEP_1)
	v_mul_f32_e32 v12, v13, v11
	v_fma_f32 v14, -v10, v12, v13
	s_delay_alu instid0(VALU_DEP_1) | instskip(NEXT) | instid1(VALU_DEP_1)
	v_fmac_f32_e32 v12, v14, v11
	v_fma_f32 v10, -v10, v12, v13
	s_delay_alu instid0(VALU_DEP_1) | instskip(NEXT) | instid1(VALU_DEP_1)
	v_div_fmas_f32 v10, v10, v11, v12
	v_div_fixup_f32 v9, v10, v7, v9
	v_mov_b32_e32 v10, 0x7f
	s_delay_alu instid0(VALU_DEP_2) | instskip(SKIP_1) | instid1(VALU_DEP_2)
	v_minmax_f32 v11, v9, s7, 0xc3e00000
	v_mov_b32_e32 v9, 0x7f
	v_and_b32_e32 v12, 0x7fffffff, v11
	s_delay_alu instid0(VALU_DEP_1)
	v_cmpx_gt_u32_e32 0x43f00000, v12
	s_cbranch_execz .LBB45_75
; %bb.70:                               ;   in Loop: Header=BB45_57 Depth=1
	s_mov_b32 s13, exec_lo
                                        ; implicit-def: $vgpr10
	v_cmpx_lt_u32_e32 0x3c7fffff, v12
	s_xor_b32 s13, exec_lo, s13
; %bb.71:                               ;   in Loop: Header=BB45_57 Depth=1
	v_bfe_u32 v10, v11, 20, 1
	s_delay_alu instid0(VALU_DEP_1) | instskip(NEXT) | instid1(VALU_DEP_1)
	v_add3_u32 v10, v11, v10, 0x407ffff
	v_lshrrev_b32_e32 v10, 20, v10
; %bb.72:                               ;   in Loop: Header=BB45_57 Depth=1
	s_and_not1_saveexec_b32 s13, s13
; %bb.73:                               ;   in Loop: Header=BB45_57 Depth=1
	v_add_f32_e64 v10, 0x46800000, |v11|
; %bb.74:                               ;   in Loop: Header=BB45_57 Depth=1
	s_or_b32 exec_lo, exec_lo, s13
.LBB45_75:                              ;   in Loop: Header=BB45_57 Depth=1
	s_delay_alu instid0(SALU_CYCLE_1) | instskip(SKIP_3) | instid1(VALU_DEP_1)
	s_or_b32 exec_lo, exec_lo, s12
	v_lshrrev_b32_e32 v3, 16, v3
	v_fma_mixlo_f16 v8, v28, v8, 0
	s_mov_b32 s12, exec_lo
	v_mul_f16_e32 v3, v3, v8
	s_delay_alu instid0(VALU_DEP_1) | instskip(NEXT) | instid1(VALU_DEP_1)
	v_cvt_f32_f16_e32 v3, v3
	v_div_scale_f32 v8, null, v7, v7, v3
	s_delay_alu instid0(VALU_DEP_1) | instskip(SKIP_2) | instid1(VALU_DEP_1)
	v_rcp_f32_e32 v12, v8
	s_waitcnt_depctr 0xfff
	v_fma_f32 v13, -v8, v12, 1.0
	v_fmac_f32_e32 v12, v13, v12
	v_div_scale_f32 v13, vcc_lo, v3, v7, v3
	s_delay_alu instid0(VALU_DEP_1) | instskip(NEXT) | instid1(VALU_DEP_1)
	v_mul_f32_e32 v14, v13, v12
	v_fma_f32 v15, -v8, v14, v13
	s_delay_alu instid0(VALU_DEP_1) | instskip(NEXT) | instid1(VALU_DEP_1)
	v_fmac_f32_e32 v14, v15, v12
	v_fma_f32 v8, -v8, v14, v13
	s_delay_alu instid0(VALU_DEP_1) | instskip(NEXT) | instid1(VALU_DEP_1)
	v_div_fmas_f32 v8, v8, v12, v14
	v_div_fixup_f32 v3, v8, v7, v3
	s_delay_alu instid0(VALU_DEP_1) | instskip(NEXT) | instid1(VALU_DEP_1)
	v_minmax_f32 v3, v3, s7, 0xc3e00000
	v_and_b32_e32 v7, 0x7fffffff, v3
	s_delay_alu instid0(VALU_DEP_1)
	v_cmpx_gt_u32_e32 0x43f00000, v7
	s_cbranch_execz .LBB45_81
; %bb.76:                               ;   in Loop: Header=BB45_57 Depth=1
	s_mov_b32 s13, exec_lo
                                        ; implicit-def: $vgpr9
	v_cmpx_lt_u32_e32 0x3c7fffff, v7
	s_xor_b32 s13, exec_lo, s13
; %bb.77:                               ;   in Loop: Header=BB45_57 Depth=1
	v_bfe_u32 v7, v3, 20, 1
	s_delay_alu instid0(VALU_DEP_1) | instskip(NEXT) | instid1(VALU_DEP_1)
	v_add3_u32 v7, v3, v7, 0x407ffff
	v_lshrrev_b32_e32 v9, 20, v7
; %bb.78:                               ;   in Loop: Header=BB45_57 Depth=1
	s_and_not1_saveexec_b32 s13, s13
; %bb.79:                               ;   in Loop: Header=BB45_57 Depth=1
	v_add_f32_e64 v9, 0x46800000, |v3|
; %bb.80:                               ;   in Loop: Header=BB45_57 Depth=1
	s_or_b32 exec_lo, exec_lo, s13
.LBB45_81:                              ;   in Loop: Header=BB45_57 Depth=1
	s_delay_alu instid0(SALU_CYCLE_1)
	s_or_b32 exec_lo, exec_lo, s12
	v_lshrrev_b32_e32 v7, 24, v11
	v_lshrrev_b32_e32 v2, 24, v2
	;; [unrolled: 1-line block ×3, first 2 shown]
	v_lshlrev_b32_e32 v8, 24, v9
	v_and_b32_e32 v9, 0x80000000, v3
	v_and_b32_e32 v7, 0x80, v7
	;; [unrolled: 1-line block ×4, first 2 shown]
	s_mov_b32 s13, -1
	s_mov_b32 s12, exec_lo
	v_and_or_b32 v7, 0xff, v10, v7
	v_and_or_b32 v2, 0xff, v4, v2
	v_lshlrev_b64 v[3:4], 2, v[0:1]
	v_and_or_b32 v5, 0x80, v5, v6
	s_delay_alu instid0(VALU_DEP_4) | instskip(NEXT) | instid1(VALU_DEP_4)
	v_lshlrev_b32_e32 v7, 16, v7
	v_lshlrev_b32_e32 v6, 8, v2
	v_add_nc_u32_e32 v2, s33, v0
	v_add_co_u32 v3, vcc_lo, s2, v3
	s_delay_alu instid0(VALU_DEP_4) | instskip(SKIP_1) | instid1(VALU_DEP_2)
	v_or3_b32 v7, v9, v8, v7
	v_add_co_ci_u32_e32 v4, vcc_lo, s3, v4, vcc_lo
	v_or3_b32 v5, v7, v6, v5
	global_store_b32 v[3:4], v5, off
	v_cmpx_gt_u32_e64 s8, v2
	s_cbranch_execz .LBB45_56
; %bb.82:                               ;   in Loop: Header=BB45_57 Depth=1
	v_lshrrev_b32_e32 v8, 3, v2
	v_mov_b32_e32 v3, v1
	s_mov_b32 s13, exec_lo
	s_delay_alu instid0(VALU_DEP_2) | instskip(NEXT) | instid1(VALU_DEP_2)
	v_and_b32_e32 v8, 0x7fffffc, v8
	v_lshlrev_b64 v[4:5], 3, v[2:3]
	s_delay_alu instid0(VALU_DEP_1) | instskip(NEXT) | instid1(VALU_DEP_2)
	v_add_co_u32 v6, vcc_lo, s28, v4
	v_add_co_ci_u32_e32 v7, vcc_lo, s29, v5, vcc_lo
	v_add_co_u32 v14, vcc_lo, s30, v4
	v_add_co_ci_u32_e32 v15, vcc_lo, s31, v5, vcc_lo
	global_load_b64 v[6:7], v[6:7], off
	global_load_b64 v[10:11], v[14:15], off
	v_add_co_u32 v4, vcc_lo, s10, v4
	v_add_co_ci_u32_e32 v5, vcc_lo, s11, v5, vcc_lo
	global_load_b32 v9, v8, s[0:1]
	global_load_b64 v[4:5], v[4:5], off
	s_waitcnt vmcnt(3)
	v_cvt_f32_f16_e32 v8, v6
	s_waitcnt vmcnt(2)
	v_cvt_f32_f16_e32 v12, v10
	v_lshrrev_b32_e32 v6, 16, v6
	v_lshrrev_b32_e32 v10, 16, v10
	s_delay_alu instid0(VALU_DEP_3) | instskip(NEXT) | instid1(VALU_DEP_3)
	v_add_f32_e32 v8, v8, v12
	v_cvt_f32_f16_e32 v6, v6
	s_delay_alu instid0(VALU_DEP_2) | instskip(SKIP_1) | instid1(VALU_DEP_1)
	v_fma_mixlo_f16 v12, v28, v8, 0
	s_waitcnt vmcnt(0)
	v_mul_f16_e32 v12, v4, v12
	s_delay_alu instid0(VALU_DEP_1) | instskip(NEXT) | instid1(VALU_DEP_1)
	v_cvt_f32_f16_e32 v12, v12
	v_div_scale_f32 v13, null, v9, v9, v12
	v_div_scale_f32 v18, vcc_lo, v12, v9, v12
	s_delay_alu instid0(VALU_DEP_2) | instskip(SKIP_2) | instid1(VALU_DEP_1)
	v_rcp_f32_e32 v16, v13
	s_waitcnt_depctr 0xfff
	v_fma_f32 v17, -v13, v16, 1.0
	v_fmac_f32_e32 v16, v17, v16
	s_delay_alu instid0(VALU_DEP_1) | instskip(NEXT) | instid1(VALU_DEP_1)
	v_mul_f32_e32 v17, v18, v16
	v_fma_f32 v19, -v13, v17, v18
	s_delay_alu instid0(VALU_DEP_1) | instskip(SKIP_2) | instid1(VALU_DEP_3)
	v_fmac_f32_e32 v17, v19, v16
	v_lshrrev_b32_e32 v19, 16, v7
	v_cvt_f32_f16_e32 v7, v7
	v_fma_f32 v13, -v13, v17, v18
	v_lshrrev_b32_e32 v18, 16, v11
	v_cvt_f32_f16_e32 v11, v11
	s_delay_alu instid0(VALU_DEP_3) | instskip(SKIP_1) | instid1(VALU_DEP_4)
	v_div_fmas_f32 v13, v13, v16, v17
	v_cvt_f32_f16_e32 v16, v19
	v_cvt_f32_f16_e32 v17, v18
	;; [unrolled: 1-line block ×3, first 2 shown]
	v_add_f32_e32 v11, v7, v11
	v_div_fixup_f32 v13, v13, v9, v12
	v_cvt_f16_f32_e32 v8, v8
	v_add_f32_e32 v10, v16, v17
	v_add_f32_e32 v12, v6, v18
	v_cvt_f16_f32_e32 v16, v11
	v_minmax_f32 v7, v13, s7, 0xc3e00000
	v_mov_b32_e32 v6, 0x7f
	v_cvt_f16_f32_e32 v17, v10
	v_cvt_f16_f32_e32 v18, v12
	s_delay_alu instid0(VALU_DEP_4) | instskip(NEXT) | instid1(VALU_DEP_3)
	v_and_b32_e32 v13, 0x7fffffff, v7
	v_pack_b32_f16 v17, v16, v17
	s_delay_alu instid0(VALU_DEP_3)
	v_pack_b32_f16 v16, v8, v18
	v_mov_b32_e32 v8, 0x7f
	global_store_b64 v[14:15], v[16:17], off
	v_cmpx_gt_u32_e32 0x43f00000, v13
	s_cbranch_execz .LBB45_88
; %bb.83:                               ;   in Loop: Header=BB45_57 Depth=1
	s_mov_b32 s14, exec_lo
                                        ; implicit-def: $vgpr8
	v_cmpx_lt_u32_e32 0x3c7fffff, v13
	s_xor_b32 s14, exec_lo, s14
; %bb.84:                               ;   in Loop: Header=BB45_57 Depth=1
	v_bfe_u32 v8, v7, 20, 1
	s_delay_alu instid0(VALU_DEP_1) | instskip(NEXT) | instid1(VALU_DEP_1)
	v_add3_u32 v8, v7, v8, 0x407ffff
	v_lshrrev_b32_e32 v8, 20, v8
; %bb.85:                               ;   in Loop: Header=BB45_57 Depth=1
	s_and_not1_saveexec_b32 s14, s14
; %bb.86:                               ;   in Loop: Header=BB45_57 Depth=1
	v_add_f32_e64 v8, 0x46800000, |v7|
; %bb.87:                               ;   in Loop: Header=BB45_57 Depth=1
	s_or_b32 exec_lo, exec_lo, s14
.LBB45_88:                              ;   in Loop: Header=BB45_57 Depth=1
	s_delay_alu instid0(SALU_CYCLE_1) | instskip(SKIP_3) | instid1(VALU_DEP_1)
	s_or_b32 exec_lo, exec_lo, s13
	v_lshrrev_b32_e32 v4, 16, v4
	v_fma_mixlo_f16 v12, v28, v12, 0
	s_mov_b32 s13, exec_lo
	v_mul_f16_e32 v4, v4, v12
	s_delay_alu instid0(VALU_DEP_1) | instskip(NEXT) | instid1(VALU_DEP_1)
	v_cvt_f32_f16_e32 v4, v4
	v_div_scale_f32 v12, null, v9, v9, v4
	s_delay_alu instid0(VALU_DEP_1) | instskip(SKIP_2) | instid1(VALU_DEP_1)
	v_rcp_f32_e32 v13, v12
	s_waitcnt_depctr 0xfff
	v_fma_f32 v14, -v12, v13, 1.0
	v_fmac_f32_e32 v13, v14, v13
	v_div_scale_f32 v14, vcc_lo, v4, v9, v4
	s_delay_alu instid0(VALU_DEP_1) | instskip(NEXT) | instid1(VALU_DEP_1)
	v_mul_f32_e32 v15, v14, v13
	v_fma_f32 v16, -v12, v15, v14
	s_delay_alu instid0(VALU_DEP_1) | instskip(NEXT) | instid1(VALU_DEP_1)
	v_fmac_f32_e32 v15, v16, v13
	v_fma_f32 v12, -v12, v15, v14
	s_delay_alu instid0(VALU_DEP_1) | instskip(NEXT) | instid1(VALU_DEP_1)
	v_div_fmas_f32 v12, v12, v13, v15
	v_div_fixup_f32 v4, v12, v9, v4
	s_delay_alu instid0(VALU_DEP_1) | instskip(NEXT) | instid1(VALU_DEP_1)
	v_minmax_f32 v4, v4, s7, 0xc3e00000
	v_and_b32_e32 v12, 0x7fffffff, v4
	s_delay_alu instid0(VALU_DEP_1)
	v_cmpx_gt_u32_e32 0x43f00000, v12
	s_cbranch_execz .LBB45_94
; %bb.89:                               ;   in Loop: Header=BB45_57 Depth=1
	s_mov_b32 s14, exec_lo
                                        ; implicit-def: $vgpr6
	v_cmpx_lt_u32_e32 0x3c7fffff, v12
	s_xor_b32 s14, exec_lo, s14
; %bb.90:                               ;   in Loop: Header=BB45_57 Depth=1
	v_bfe_u32 v6, v4, 20, 1
	s_delay_alu instid0(VALU_DEP_1) | instskip(NEXT) | instid1(VALU_DEP_1)
	v_add3_u32 v6, v4, v6, 0x407ffff
	v_lshrrev_b32_e32 v6, 20, v6
; %bb.91:                               ;   in Loop: Header=BB45_57 Depth=1
	s_and_not1_saveexec_b32 s14, s14
; %bb.92:                               ;   in Loop: Header=BB45_57 Depth=1
	v_add_f32_e64 v6, 0x46800000, |v4|
; %bb.93:                               ;   in Loop: Header=BB45_57 Depth=1
	s_or_b32 exec_lo, exec_lo, s14
.LBB45_94:                              ;   in Loop: Header=BB45_57 Depth=1
	s_delay_alu instid0(SALU_CYCLE_1) | instskip(SKIP_2) | instid1(VALU_DEP_1)
	s_or_b32 exec_lo, exec_lo, s13
	v_fma_mixlo_f16 v11, v28, v11, 0
	s_mov_b32 s13, exec_lo
	v_mul_f16_e32 v11, v5, v11
	s_delay_alu instid0(VALU_DEP_1) | instskip(NEXT) | instid1(VALU_DEP_1)
	v_cvt_f32_f16_e32 v11, v11
	v_div_scale_f32 v12, null, v9, v9, v11
	v_div_scale_f32 v15, vcc_lo, v11, v9, v11
	s_delay_alu instid0(VALU_DEP_2) | instskip(SKIP_2) | instid1(VALU_DEP_1)
	v_rcp_f32_e32 v13, v12
	s_waitcnt_depctr 0xfff
	v_fma_f32 v14, -v12, v13, 1.0
	v_fmac_f32_e32 v13, v14, v13
	s_delay_alu instid0(VALU_DEP_1) | instskip(NEXT) | instid1(VALU_DEP_1)
	v_mul_f32_e32 v14, v15, v13
	v_fma_f32 v16, -v12, v14, v15
	s_delay_alu instid0(VALU_DEP_1) | instskip(NEXT) | instid1(VALU_DEP_1)
	v_fmac_f32_e32 v14, v16, v13
	v_fma_f32 v12, -v12, v14, v15
	s_delay_alu instid0(VALU_DEP_1) | instskip(NEXT) | instid1(VALU_DEP_1)
	v_div_fmas_f32 v12, v12, v13, v14
	v_div_fixup_f32 v11, v12, v9, v11
	v_mov_b32_e32 v12, 0x7f
	s_delay_alu instid0(VALU_DEP_2) | instskip(SKIP_1) | instid1(VALU_DEP_2)
	v_minmax_f32 v13, v11, s7, 0xc3e00000
	v_mov_b32_e32 v11, 0x7f
	v_and_b32_e32 v14, 0x7fffffff, v13
	s_delay_alu instid0(VALU_DEP_1)
	v_cmpx_gt_u32_e32 0x43f00000, v14
	s_cbranch_execz .LBB45_100
; %bb.95:                               ;   in Loop: Header=BB45_57 Depth=1
	s_mov_b32 s14, exec_lo
                                        ; implicit-def: $vgpr12
	v_cmpx_lt_u32_e32 0x3c7fffff, v14
	s_xor_b32 s14, exec_lo, s14
; %bb.96:                               ;   in Loop: Header=BB45_57 Depth=1
	v_bfe_u32 v12, v13, 20, 1
	s_delay_alu instid0(VALU_DEP_1) | instskip(NEXT) | instid1(VALU_DEP_1)
	v_add3_u32 v12, v13, v12, 0x407ffff
	v_lshrrev_b32_e32 v12, 20, v12
; %bb.97:                               ;   in Loop: Header=BB45_57 Depth=1
	s_and_not1_saveexec_b32 s14, s14
; %bb.98:                               ;   in Loop: Header=BB45_57 Depth=1
	v_add_f32_e64 v12, 0x46800000, |v13|
; %bb.99:                               ;   in Loop: Header=BB45_57 Depth=1
	s_or_b32 exec_lo, exec_lo, s14
.LBB45_100:                             ;   in Loop: Header=BB45_57 Depth=1
	s_delay_alu instid0(SALU_CYCLE_1) | instskip(SKIP_3) | instid1(VALU_DEP_1)
	s_or_b32 exec_lo, exec_lo, s13
	v_lshrrev_b32_e32 v5, 16, v5
	v_fma_mixlo_f16 v10, v28, v10, 0
	s_mov_b32 s13, exec_lo
	v_mul_f16_e32 v5, v5, v10
	s_delay_alu instid0(VALU_DEP_1) | instskip(NEXT) | instid1(VALU_DEP_1)
	v_cvt_f32_f16_e32 v5, v5
	v_div_scale_f32 v10, null, v9, v9, v5
	s_delay_alu instid0(VALU_DEP_1) | instskip(SKIP_2) | instid1(VALU_DEP_1)
	v_rcp_f32_e32 v14, v10
	s_waitcnt_depctr 0xfff
	v_fma_f32 v15, -v10, v14, 1.0
	v_fmac_f32_e32 v14, v15, v14
	v_div_scale_f32 v15, vcc_lo, v5, v9, v5
	s_delay_alu instid0(VALU_DEP_1) | instskip(NEXT) | instid1(VALU_DEP_1)
	v_mul_f32_e32 v16, v15, v14
	v_fma_f32 v17, -v10, v16, v15
	s_delay_alu instid0(VALU_DEP_1) | instskip(NEXT) | instid1(VALU_DEP_1)
	v_fmac_f32_e32 v16, v17, v14
	v_fma_f32 v10, -v10, v16, v15
	s_delay_alu instid0(VALU_DEP_1) | instskip(NEXT) | instid1(VALU_DEP_1)
	v_div_fmas_f32 v10, v10, v14, v16
	v_div_fixup_f32 v5, v10, v9, v5
	s_delay_alu instid0(VALU_DEP_1) | instskip(NEXT) | instid1(VALU_DEP_1)
	v_minmax_f32 v5, v5, s7, 0xc3e00000
	v_and_b32_e32 v9, 0x7fffffff, v5
	s_delay_alu instid0(VALU_DEP_1)
	v_cmpx_gt_u32_e32 0x43f00000, v9
	s_cbranch_execz .LBB45_106
; %bb.101:                              ;   in Loop: Header=BB45_57 Depth=1
	s_mov_b32 s14, exec_lo
                                        ; implicit-def: $vgpr11
	v_cmpx_lt_u32_e32 0x3c7fffff, v9
	s_xor_b32 s14, exec_lo, s14
; %bb.102:                              ;   in Loop: Header=BB45_57 Depth=1
	v_bfe_u32 v9, v5, 20, 1
	s_delay_alu instid0(VALU_DEP_1) | instskip(NEXT) | instid1(VALU_DEP_1)
	v_add3_u32 v9, v5, v9, 0x407ffff
	v_lshrrev_b32_e32 v11, 20, v9
; %bb.103:                              ;   in Loop: Header=BB45_57 Depth=1
	s_and_not1_saveexec_b32 s14, s14
; %bb.104:                              ;   in Loop: Header=BB45_57 Depth=1
	v_add_f32_e64 v11, 0x46800000, |v5|
; %bb.105:                              ;   in Loop: Header=BB45_57 Depth=1
	s_or_b32 exec_lo, exec_lo, s14
.LBB45_106:                             ;   in Loop: Header=BB45_57 Depth=1
	s_delay_alu instid0(SALU_CYCLE_1)
	s_or_b32 exec_lo, exec_lo, s13
	v_lshrrev_b32_e32 v9, 24, v13
	v_lshrrev_b32_e32 v4, 24, v4
	v_lshrrev_b32_e32 v7, 24, v7
	v_lshlrev_b32_e32 v10, 24, v11
	v_and_b32_e32 v11, 0x80000000, v5
	v_and_b32_e32 v9, 0x80, v9
	v_and_b32_e32 v4, 0x80, v4
	v_and_b32_e32 v8, 0xff, v8
	s_mov_b32 s14, -1
	s_mov_b32 s13, exec_lo
	v_and_or_b32 v9, 0xff, v12, v9
	v_and_or_b32 v6, 0xff, v6, v4
	v_lshlrev_b64 v[4:5], 2, v[2:3]
	v_and_or_b32 v7, 0x80, v7, v8
	v_add_nc_u32_e32 v3, s5, v0
	v_lshlrev_b32_e32 v9, 16, v9
	v_lshlrev_b32_e32 v6, 8, v6
	v_add_co_u32 v4, vcc_lo, s2, v4
	s_delay_alu instid0(VALU_DEP_3) | instskip(SKIP_1) | instid1(VALU_DEP_2)
	v_or3_b32 v8, v11, v10, v9
	v_add_co_ci_u32_e32 v5, vcc_lo, s3, v5, vcc_lo
	v_or3_b32 v6, v8, v6, v7
	global_store_b32 v[4:5], v6, off
	v_cmpx_gt_u32_e64 s8, v3
	s_cbranch_execz .LBB45_55
; %bb.107:                              ;   in Loop: Header=BB45_57 Depth=1
	v_lshrrev_b32_e32 v9, 3, v3
	v_mov_b32_e32 v4, v1
	s_mov_b32 s14, exec_lo
	s_delay_alu instid0(VALU_DEP_2) | instskip(NEXT) | instid1(VALU_DEP_2)
	v_and_b32_e32 v9, 0x7fffffc, v9
	v_lshlrev_b64 v[5:6], 3, v[3:4]
	s_delay_alu instid0(VALU_DEP_1) | instskip(NEXT) | instid1(VALU_DEP_2)
	v_add_co_u32 v7, vcc_lo, s28, v5
	v_add_co_ci_u32_e32 v8, vcc_lo, s29, v6, vcc_lo
	v_add_co_u32 v15, vcc_lo, s30, v5
	v_add_co_ci_u32_e32 v16, vcc_lo, s31, v6, vcc_lo
	global_load_b64 v[7:8], v[7:8], off
	global_load_b64 v[11:12], v[15:16], off
	v_add_co_u32 v5, vcc_lo, s10, v5
	v_add_co_ci_u32_e32 v6, vcc_lo, s11, v6, vcc_lo
	global_load_b32 v10, v9, s[0:1]
	global_load_b64 v[5:6], v[5:6], off
	s_waitcnt vmcnt(3)
	v_cvt_f32_f16_e32 v9, v7
	s_waitcnt vmcnt(2)
	v_cvt_f32_f16_e32 v13, v11
	v_lshrrev_b32_e32 v7, 16, v7
	v_lshrrev_b32_e32 v11, 16, v11
	s_delay_alu instid0(VALU_DEP_3) | instskip(NEXT) | instid1(VALU_DEP_3)
	v_add_f32_e32 v9, v9, v13
	v_cvt_f32_f16_e32 v7, v7
	s_delay_alu instid0(VALU_DEP_2) | instskip(SKIP_1) | instid1(VALU_DEP_1)
	v_fma_mixlo_f16 v13, v28, v9, 0
	s_waitcnt vmcnt(0)
	v_mul_f16_e32 v13, v5, v13
	s_delay_alu instid0(VALU_DEP_1) | instskip(NEXT) | instid1(VALU_DEP_1)
	v_cvt_f32_f16_e32 v13, v13
	v_div_scale_f32 v14, null, v10, v10, v13
	v_div_scale_f32 v19, vcc_lo, v13, v10, v13
	s_delay_alu instid0(VALU_DEP_2) | instskip(SKIP_2) | instid1(VALU_DEP_1)
	v_rcp_f32_e32 v17, v14
	s_waitcnt_depctr 0xfff
	v_fma_f32 v18, -v14, v17, 1.0
	v_fmac_f32_e32 v17, v18, v17
	s_delay_alu instid0(VALU_DEP_1) | instskip(NEXT) | instid1(VALU_DEP_1)
	v_mul_f32_e32 v18, v19, v17
	v_fma_f32 v20, -v14, v18, v19
	s_delay_alu instid0(VALU_DEP_1) | instskip(SKIP_2) | instid1(VALU_DEP_3)
	v_fmac_f32_e32 v18, v20, v17
	v_lshrrev_b32_e32 v20, 16, v8
	v_cvt_f32_f16_e32 v8, v8
	v_fma_f32 v14, -v14, v18, v19
	v_lshrrev_b32_e32 v19, 16, v12
	v_cvt_f32_f16_e32 v12, v12
	s_delay_alu instid0(VALU_DEP_3) | instskip(SKIP_1) | instid1(VALU_DEP_4)
	v_div_fmas_f32 v14, v14, v17, v18
	v_cvt_f32_f16_e32 v17, v20
	v_cvt_f32_f16_e32 v18, v19
	;; [unrolled: 1-line block ×3, first 2 shown]
	v_add_f32_e32 v12, v8, v12
	v_div_fixup_f32 v14, v14, v10, v13
	v_cvt_f16_f32_e32 v9, v9
	v_add_f32_e32 v11, v17, v18
	v_add_f32_e32 v13, v7, v19
	v_cvt_f16_f32_e32 v17, v12
	v_minmax_f32 v8, v14, s7, 0xc3e00000
	v_mov_b32_e32 v7, 0x7f
	v_cvt_f16_f32_e32 v18, v11
	v_cvt_f16_f32_e32 v19, v13
	s_delay_alu instid0(VALU_DEP_4) | instskip(NEXT) | instid1(VALU_DEP_3)
	v_and_b32_e32 v14, 0x7fffffff, v8
	v_pack_b32_f16 v18, v17, v18
	s_delay_alu instid0(VALU_DEP_3)
	v_pack_b32_f16 v17, v9, v19
	v_mov_b32_e32 v9, 0x7f
	global_store_b64 v[15:16], v[17:18], off
	v_cmpx_gt_u32_e32 0x43f00000, v14
	s_cbranch_execz .LBB45_113
; %bb.108:                              ;   in Loop: Header=BB45_57 Depth=1
	s_mov_b32 s15, exec_lo
                                        ; implicit-def: $vgpr9
	v_cmpx_lt_u32_e32 0x3c7fffff, v14
	s_xor_b32 s15, exec_lo, s15
; %bb.109:                              ;   in Loop: Header=BB45_57 Depth=1
	v_bfe_u32 v9, v8, 20, 1
	s_delay_alu instid0(VALU_DEP_1) | instskip(NEXT) | instid1(VALU_DEP_1)
	v_add3_u32 v9, v8, v9, 0x407ffff
	v_lshrrev_b32_e32 v9, 20, v9
; %bb.110:                              ;   in Loop: Header=BB45_57 Depth=1
	s_and_not1_saveexec_b32 s15, s15
; %bb.111:                              ;   in Loop: Header=BB45_57 Depth=1
	v_add_f32_e64 v9, 0x46800000, |v8|
; %bb.112:                              ;   in Loop: Header=BB45_57 Depth=1
	s_or_b32 exec_lo, exec_lo, s15
.LBB45_113:                             ;   in Loop: Header=BB45_57 Depth=1
	s_delay_alu instid0(SALU_CYCLE_1) | instskip(SKIP_3) | instid1(VALU_DEP_1)
	s_or_b32 exec_lo, exec_lo, s14
	v_lshrrev_b32_e32 v5, 16, v5
	v_fma_mixlo_f16 v13, v28, v13, 0
	s_mov_b32 s14, exec_lo
	v_mul_f16_e32 v5, v5, v13
	s_delay_alu instid0(VALU_DEP_1) | instskip(NEXT) | instid1(VALU_DEP_1)
	v_cvt_f32_f16_e32 v5, v5
	v_div_scale_f32 v13, null, v10, v10, v5
	s_delay_alu instid0(VALU_DEP_1) | instskip(SKIP_2) | instid1(VALU_DEP_1)
	v_rcp_f32_e32 v14, v13
	s_waitcnt_depctr 0xfff
	v_fma_f32 v15, -v13, v14, 1.0
	v_fmac_f32_e32 v14, v15, v14
	v_div_scale_f32 v15, vcc_lo, v5, v10, v5
	s_delay_alu instid0(VALU_DEP_1) | instskip(NEXT) | instid1(VALU_DEP_1)
	v_mul_f32_e32 v16, v15, v14
	v_fma_f32 v17, -v13, v16, v15
	s_delay_alu instid0(VALU_DEP_1) | instskip(NEXT) | instid1(VALU_DEP_1)
	v_fmac_f32_e32 v16, v17, v14
	v_fma_f32 v13, -v13, v16, v15
	s_delay_alu instid0(VALU_DEP_1) | instskip(NEXT) | instid1(VALU_DEP_1)
	v_div_fmas_f32 v13, v13, v14, v16
	v_div_fixup_f32 v5, v13, v10, v5
	s_delay_alu instid0(VALU_DEP_1) | instskip(NEXT) | instid1(VALU_DEP_1)
	v_minmax_f32 v5, v5, s7, 0xc3e00000
	v_and_b32_e32 v13, 0x7fffffff, v5
	s_delay_alu instid0(VALU_DEP_1)
	v_cmpx_gt_u32_e32 0x43f00000, v13
	s_cbranch_execz .LBB45_119
; %bb.114:                              ;   in Loop: Header=BB45_57 Depth=1
	s_mov_b32 s15, exec_lo
                                        ; implicit-def: $vgpr7
	v_cmpx_lt_u32_e32 0x3c7fffff, v13
	s_xor_b32 s15, exec_lo, s15
; %bb.115:                              ;   in Loop: Header=BB45_57 Depth=1
	v_bfe_u32 v7, v5, 20, 1
	s_delay_alu instid0(VALU_DEP_1) | instskip(NEXT) | instid1(VALU_DEP_1)
	v_add3_u32 v7, v5, v7, 0x407ffff
	v_lshrrev_b32_e32 v7, 20, v7
; %bb.116:                              ;   in Loop: Header=BB45_57 Depth=1
	s_and_not1_saveexec_b32 s15, s15
; %bb.117:                              ;   in Loop: Header=BB45_57 Depth=1
	v_add_f32_e64 v7, 0x46800000, |v5|
; %bb.118:                              ;   in Loop: Header=BB45_57 Depth=1
	s_or_b32 exec_lo, exec_lo, s15
.LBB45_119:                             ;   in Loop: Header=BB45_57 Depth=1
	s_delay_alu instid0(SALU_CYCLE_1) | instskip(SKIP_2) | instid1(VALU_DEP_1)
	s_or_b32 exec_lo, exec_lo, s14
	v_fma_mixlo_f16 v12, v28, v12, 0
	s_mov_b32 s14, exec_lo
	v_mul_f16_e32 v12, v6, v12
	s_delay_alu instid0(VALU_DEP_1) | instskip(NEXT) | instid1(VALU_DEP_1)
	v_cvt_f32_f16_e32 v12, v12
	v_div_scale_f32 v13, null, v10, v10, v12
	v_div_scale_f32 v16, vcc_lo, v12, v10, v12
	s_delay_alu instid0(VALU_DEP_2) | instskip(SKIP_2) | instid1(VALU_DEP_1)
	v_rcp_f32_e32 v14, v13
	s_waitcnt_depctr 0xfff
	v_fma_f32 v15, -v13, v14, 1.0
	v_fmac_f32_e32 v14, v15, v14
	s_delay_alu instid0(VALU_DEP_1) | instskip(NEXT) | instid1(VALU_DEP_1)
	v_mul_f32_e32 v15, v16, v14
	v_fma_f32 v17, -v13, v15, v16
	s_delay_alu instid0(VALU_DEP_1) | instskip(NEXT) | instid1(VALU_DEP_1)
	v_fmac_f32_e32 v15, v17, v14
	v_fma_f32 v13, -v13, v15, v16
	s_delay_alu instid0(VALU_DEP_1) | instskip(NEXT) | instid1(VALU_DEP_1)
	v_div_fmas_f32 v13, v13, v14, v15
	v_div_fixup_f32 v12, v13, v10, v12
	v_mov_b32_e32 v13, 0x7f
	s_delay_alu instid0(VALU_DEP_2) | instskip(SKIP_1) | instid1(VALU_DEP_2)
	v_minmax_f32 v14, v12, s7, 0xc3e00000
	v_mov_b32_e32 v12, 0x7f
	v_and_b32_e32 v15, 0x7fffffff, v14
	s_delay_alu instid0(VALU_DEP_1)
	v_cmpx_gt_u32_e32 0x43f00000, v15
	s_cbranch_execz .LBB45_125
; %bb.120:                              ;   in Loop: Header=BB45_57 Depth=1
	s_mov_b32 s15, exec_lo
                                        ; implicit-def: $vgpr13
	v_cmpx_lt_u32_e32 0x3c7fffff, v15
	s_xor_b32 s15, exec_lo, s15
; %bb.121:                              ;   in Loop: Header=BB45_57 Depth=1
	v_bfe_u32 v13, v14, 20, 1
	s_delay_alu instid0(VALU_DEP_1) | instskip(NEXT) | instid1(VALU_DEP_1)
	v_add3_u32 v13, v14, v13, 0x407ffff
	v_lshrrev_b32_e32 v13, 20, v13
; %bb.122:                              ;   in Loop: Header=BB45_57 Depth=1
	s_and_not1_saveexec_b32 s15, s15
; %bb.123:                              ;   in Loop: Header=BB45_57 Depth=1
	v_add_f32_e64 v13, 0x46800000, |v14|
; %bb.124:                              ;   in Loop: Header=BB45_57 Depth=1
	s_or_b32 exec_lo, exec_lo, s15
.LBB45_125:                             ;   in Loop: Header=BB45_57 Depth=1
	s_delay_alu instid0(SALU_CYCLE_1) | instskip(SKIP_3) | instid1(VALU_DEP_1)
	s_or_b32 exec_lo, exec_lo, s14
	v_lshrrev_b32_e32 v6, 16, v6
	v_fma_mixlo_f16 v11, v28, v11, 0
	s_mov_b32 s14, exec_lo
	v_mul_f16_e32 v6, v6, v11
	s_delay_alu instid0(VALU_DEP_1) | instskip(NEXT) | instid1(VALU_DEP_1)
	v_cvt_f32_f16_e32 v6, v6
	v_div_scale_f32 v11, null, v10, v10, v6
	s_delay_alu instid0(VALU_DEP_1) | instskip(SKIP_2) | instid1(VALU_DEP_1)
	v_rcp_f32_e32 v15, v11
	s_waitcnt_depctr 0xfff
	v_fma_f32 v16, -v11, v15, 1.0
	v_fmac_f32_e32 v15, v16, v15
	v_div_scale_f32 v16, vcc_lo, v6, v10, v6
	s_delay_alu instid0(VALU_DEP_1) | instskip(NEXT) | instid1(VALU_DEP_1)
	v_mul_f32_e32 v17, v16, v15
	v_fma_f32 v18, -v11, v17, v16
	s_delay_alu instid0(VALU_DEP_1) | instskip(NEXT) | instid1(VALU_DEP_1)
	v_fmac_f32_e32 v17, v18, v15
	v_fma_f32 v11, -v11, v17, v16
	s_delay_alu instid0(VALU_DEP_1) | instskip(NEXT) | instid1(VALU_DEP_1)
	v_div_fmas_f32 v11, v11, v15, v17
	v_div_fixup_f32 v6, v11, v10, v6
	s_delay_alu instid0(VALU_DEP_1) | instskip(NEXT) | instid1(VALU_DEP_1)
	v_minmax_f32 v6, v6, s7, 0xc3e00000
	v_and_b32_e32 v10, 0x7fffffff, v6
	s_delay_alu instid0(VALU_DEP_1)
	v_cmpx_gt_u32_e32 0x43f00000, v10
	s_cbranch_execz .LBB45_131
; %bb.126:                              ;   in Loop: Header=BB45_57 Depth=1
	s_mov_b32 s15, exec_lo
                                        ; implicit-def: $vgpr12
	v_cmpx_lt_u32_e32 0x3c7fffff, v10
	s_xor_b32 s15, exec_lo, s15
; %bb.127:                              ;   in Loop: Header=BB45_57 Depth=1
	v_bfe_u32 v10, v6, 20, 1
	s_delay_alu instid0(VALU_DEP_1) | instskip(NEXT) | instid1(VALU_DEP_1)
	v_add3_u32 v10, v6, v10, 0x407ffff
	v_lshrrev_b32_e32 v12, 20, v10
; %bb.128:                              ;   in Loop: Header=BB45_57 Depth=1
	s_and_not1_saveexec_b32 s15, s15
; %bb.129:                              ;   in Loop: Header=BB45_57 Depth=1
	v_add_f32_e64 v12, 0x46800000, |v6|
; %bb.130:                              ;   in Loop: Header=BB45_57 Depth=1
	s_or_b32 exec_lo, exec_lo, s15
.LBB45_131:                             ;   in Loop: Header=BB45_57 Depth=1
	s_delay_alu instid0(SALU_CYCLE_1)
	s_or_b32 exec_lo, exec_lo, s14
	v_lshrrev_b32_e32 v10, 24, v14
	v_lshrrev_b32_e32 v5, 24, v5
	;; [unrolled: 1-line block ×3, first 2 shown]
	v_lshlrev_b32_e32 v11, 24, v12
	v_and_b32_e32 v6, 0x80000000, v6
	v_and_b32_e32 v10, 0x80, v10
	;; [unrolled: 1-line block ×4, first 2 shown]
	v_lshlrev_b64 v[3:4], 2, v[3:4]
	v_add_nc_u32_e32 v0, s4, v0
	v_and_or_b32 v10, 0xff, v13, v10
	v_and_or_b32 v5, 0xff, v7, v5
	;; [unrolled: 1-line block ×3, first 2 shown]
	s_mov_b32 s15, -1
	v_add_co_u32 v3, vcc_lo, s2, v3
	v_lshlrev_b32_e32 v7, 16, v10
	v_lshlrev_b32_e32 v5, 8, v5
	v_add_co_ci_u32_e32 v4, vcc_lo, s3, v4, vcc_lo
	s_mov_b32 s14, exec_lo
	s_delay_alu instid0(VALU_DEP_3) | instskip(NEXT) | instid1(VALU_DEP_1)
	v_or3_b32 v6, v6, v11, v7
	v_or3_b32 v5, v6, v5, v8
	global_store_b32 v[3:4], v5, off
	v_cmpx_gt_u32_e64 s8, v0
	s_cbranch_execz .LBB45_54
; %bb.132:                              ;   in Loop: Header=BB45_57 Depth=1
	v_lshlrev_b64 v[3:4], 3, v[0:1]
	v_lshrrev_b32_e32 v7, 3, v0
	s_mov_b32 s15, exec_lo
	s_delay_alu instid0(VALU_DEP_1) | instskip(NEXT) | instid1(VALU_DEP_3)
	v_and_b32_e32 v7, 0x7fffffc, v7
	v_add_co_u32 v5, vcc_lo, s28, v3
	s_delay_alu instid0(VALU_DEP_4)
	v_add_co_ci_u32_e32 v6, vcc_lo, s29, v4, vcc_lo
	v_add_co_u32 v13, vcc_lo, s30, v3
	v_add_co_ci_u32_e32 v14, vcc_lo, s31, v4, vcc_lo
	global_load_b64 v[5:6], v[5:6], off
	global_load_b64 v[9:10], v[13:14], off
	v_add_co_u32 v3, vcc_lo, s10, v3
	v_add_co_ci_u32_e32 v4, vcc_lo, s11, v4, vcc_lo
	global_load_b32 v8, v7, s[0:1]
	global_load_b64 v[3:4], v[3:4], off
	s_waitcnt vmcnt(3)
	v_cvt_f32_f16_e32 v7, v5
	s_waitcnt vmcnt(2)
	v_cvt_f32_f16_e32 v11, v9
	v_lshrrev_b32_e32 v5, 16, v5
	v_lshrrev_b32_e32 v9, 16, v9
	s_delay_alu instid0(VALU_DEP_3) | instskip(NEXT) | instid1(VALU_DEP_3)
	v_add_f32_e32 v7, v7, v11
	v_cvt_f32_f16_e32 v5, v5
	s_delay_alu instid0(VALU_DEP_2) | instskip(SKIP_1) | instid1(VALU_DEP_1)
	v_fma_mixlo_f16 v11, v28, v7, 0
	s_waitcnt vmcnt(0)
	v_mul_f16_e32 v11, v3, v11
	s_delay_alu instid0(VALU_DEP_1) | instskip(NEXT) | instid1(VALU_DEP_1)
	v_cvt_f32_f16_e32 v11, v11
	v_div_scale_f32 v12, null, v8, v8, v11
	v_div_scale_f32 v17, vcc_lo, v11, v8, v11
	s_delay_alu instid0(VALU_DEP_2) | instskip(SKIP_2) | instid1(VALU_DEP_1)
	v_rcp_f32_e32 v15, v12
	s_waitcnt_depctr 0xfff
	v_fma_f32 v16, -v12, v15, 1.0
	v_fmac_f32_e32 v15, v16, v15
	s_delay_alu instid0(VALU_DEP_1) | instskip(NEXT) | instid1(VALU_DEP_1)
	v_mul_f32_e32 v16, v17, v15
	v_fma_f32 v18, -v12, v16, v17
	s_delay_alu instid0(VALU_DEP_1) | instskip(SKIP_2) | instid1(VALU_DEP_3)
	v_fmac_f32_e32 v16, v18, v15
	v_lshrrev_b32_e32 v18, 16, v6
	v_cvt_f32_f16_e32 v6, v6
	v_fma_f32 v12, -v12, v16, v17
	v_lshrrev_b32_e32 v17, 16, v10
	v_cvt_f32_f16_e32 v10, v10
	s_delay_alu instid0(VALU_DEP_3) | instskip(SKIP_1) | instid1(VALU_DEP_4)
	v_div_fmas_f32 v12, v12, v15, v16
	v_cvt_f32_f16_e32 v15, v18
	v_cvt_f32_f16_e32 v16, v17
	;; [unrolled: 1-line block ×3, first 2 shown]
	v_add_f32_e32 v10, v6, v10
	v_div_fixup_f32 v12, v12, v8, v11
	s_delay_alu instid0(VALU_DEP_4) | instskip(NEXT) | instid1(VALU_DEP_4)
	v_add_f32_e32 v9, v15, v16
	v_add_f32_e32 v11, v5, v17
	s_delay_alu instid0(VALU_DEP_4) | instskip(NEXT) | instid1(VALU_DEP_4)
	v_cvt_f16_f32_e32 v15, v10
	v_minmax_f32 v6, v12, s7, 0xc3e00000
	v_mov_b32_e32 v5, 0x7f
	v_cvt_f16_f32_e32 v16, v9
	v_cvt_f16_f32_e32 v17, v11
	s_delay_alu instid0(VALU_DEP_4) | instskip(SKIP_1) | instid1(VALU_DEP_4)
	v_and_b32_e32 v12, 0x7fffffff, v6
	v_cvt_f16_f32_e32 v7, v7
	v_pack_b32_f16 v16, v15, v16
	s_delay_alu instid0(VALU_DEP_2)
	v_pack_b32_f16 v15, v7, v17
	v_mov_b32_e32 v7, 0x7f
	global_store_b64 v[13:14], v[15:16], off
	v_cmpx_gt_u32_e32 0x43f00000, v12
	s_cbranch_execz .LBB45_138
; %bb.133:                              ;   in Loop: Header=BB45_57 Depth=1
	s_mov_b32 s16, exec_lo
                                        ; implicit-def: $vgpr7
	v_cmpx_lt_u32_e32 0x3c7fffff, v12
	s_xor_b32 s16, exec_lo, s16
; %bb.134:                              ;   in Loop: Header=BB45_57 Depth=1
	v_bfe_u32 v7, v6, 20, 1
	s_delay_alu instid0(VALU_DEP_1) | instskip(NEXT) | instid1(VALU_DEP_1)
	v_add3_u32 v7, v6, v7, 0x407ffff
	v_lshrrev_b32_e32 v7, 20, v7
; %bb.135:                              ;   in Loop: Header=BB45_57 Depth=1
	s_and_not1_saveexec_b32 s16, s16
; %bb.136:                              ;   in Loop: Header=BB45_57 Depth=1
	v_add_f32_e64 v7, 0x46800000, |v6|
; %bb.137:                              ;   in Loop: Header=BB45_57 Depth=1
	s_or_b32 exec_lo, exec_lo, s16
.LBB45_138:                             ;   in Loop: Header=BB45_57 Depth=1
	s_delay_alu instid0(SALU_CYCLE_1) | instskip(SKIP_3) | instid1(VALU_DEP_1)
	s_or_b32 exec_lo, exec_lo, s15
	v_lshrrev_b32_e32 v3, 16, v3
	v_fma_mixlo_f16 v11, v28, v11, 0
	s_mov_b32 s15, exec_lo
	v_mul_f16_e32 v3, v3, v11
	s_delay_alu instid0(VALU_DEP_1) | instskip(NEXT) | instid1(VALU_DEP_1)
	v_cvt_f32_f16_e32 v3, v3
	v_div_scale_f32 v11, null, v8, v8, v3
	s_delay_alu instid0(VALU_DEP_1) | instskip(SKIP_2) | instid1(VALU_DEP_1)
	v_rcp_f32_e32 v12, v11
	s_waitcnt_depctr 0xfff
	v_fma_f32 v13, -v11, v12, 1.0
	v_fmac_f32_e32 v12, v13, v12
	v_div_scale_f32 v13, vcc_lo, v3, v8, v3
	s_delay_alu instid0(VALU_DEP_1) | instskip(NEXT) | instid1(VALU_DEP_1)
	v_mul_f32_e32 v14, v13, v12
	v_fma_f32 v15, -v11, v14, v13
	s_delay_alu instid0(VALU_DEP_1) | instskip(NEXT) | instid1(VALU_DEP_1)
	v_fmac_f32_e32 v14, v15, v12
	v_fma_f32 v11, -v11, v14, v13
	s_delay_alu instid0(VALU_DEP_1) | instskip(NEXT) | instid1(VALU_DEP_1)
	v_div_fmas_f32 v11, v11, v12, v14
	v_div_fixup_f32 v3, v11, v8, v3
	s_delay_alu instid0(VALU_DEP_1) | instskip(NEXT) | instid1(VALU_DEP_1)
	v_minmax_f32 v3, v3, s7, 0xc3e00000
	v_and_b32_e32 v11, 0x7fffffff, v3
	s_delay_alu instid0(VALU_DEP_1)
	v_cmpx_gt_u32_e32 0x43f00000, v11
	s_cbranch_execz .LBB45_144
; %bb.139:                              ;   in Loop: Header=BB45_57 Depth=1
	s_mov_b32 s16, exec_lo
                                        ; implicit-def: $vgpr5
	v_cmpx_lt_u32_e32 0x3c7fffff, v11
	s_xor_b32 s16, exec_lo, s16
; %bb.140:                              ;   in Loop: Header=BB45_57 Depth=1
	v_bfe_u32 v5, v3, 20, 1
	s_delay_alu instid0(VALU_DEP_1) | instskip(NEXT) | instid1(VALU_DEP_1)
	v_add3_u32 v5, v3, v5, 0x407ffff
	v_lshrrev_b32_e32 v5, 20, v5
; %bb.141:                              ;   in Loop: Header=BB45_57 Depth=1
	s_and_not1_saveexec_b32 s16, s16
; %bb.142:                              ;   in Loop: Header=BB45_57 Depth=1
	v_add_f32_e64 v5, 0x46800000, |v3|
; %bb.143:                              ;   in Loop: Header=BB45_57 Depth=1
	s_or_b32 exec_lo, exec_lo, s16
.LBB45_144:                             ;   in Loop: Header=BB45_57 Depth=1
	s_delay_alu instid0(SALU_CYCLE_1) | instskip(SKIP_2) | instid1(VALU_DEP_1)
	s_or_b32 exec_lo, exec_lo, s15
	v_fma_mixlo_f16 v10, v28, v10, 0
	s_mov_b32 s15, exec_lo
	v_mul_f16_e32 v10, v4, v10
	s_delay_alu instid0(VALU_DEP_1) | instskip(NEXT) | instid1(VALU_DEP_1)
	v_cvt_f32_f16_e32 v10, v10
	v_div_scale_f32 v11, null, v8, v8, v10
	v_div_scale_f32 v14, vcc_lo, v10, v8, v10
	s_delay_alu instid0(VALU_DEP_2) | instskip(SKIP_2) | instid1(VALU_DEP_1)
	v_rcp_f32_e32 v12, v11
	s_waitcnt_depctr 0xfff
	v_fma_f32 v13, -v11, v12, 1.0
	v_fmac_f32_e32 v12, v13, v12
	s_delay_alu instid0(VALU_DEP_1) | instskip(NEXT) | instid1(VALU_DEP_1)
	v_mul_f32_e32 v13, v14, v12
	v_fma_f32 v15, -v11, v13, v14
	s_delay_alu instid0(VALU_DEP_1) | instskip(NEXT) | instid1(VALU_DEP_1)
	v_fmac_f32_e32 v13, v15, v12
	v_fma_f32 v11, -v11, v13, v14
	s_delay_alu instid0(VALU_DEP_1) | instskip(NEXT) | instid1(VALU_DEP_1)
	v_div_fmas_f32 v11, v11, v12, v13
	v_div_fixup_f32 v10, v11, v8, v10
	v_mov_b32_e32 v11, 0x7f
	s_delay_alu instid0(VALU_DEP_2) | instskip(SKIP_1) | instid1(VALU_DEP_2)
	v_minmax_f32 v12, v10, s7, 0xc3e00000
	v_mov_b32_e32 v10, 0x7f
	v_and_b32_e32 v13, 0x7fffffff, v12
	s_delay_alu instid0(VALU_DEP_1)
	v_cmpx_gt_u32_e32 0x43f00000, v13
	s_cbranch_execz .LBB45_150
; %bb.145:                              ;   in Loop: Header=BB45_57 Depth=1
	s_mov_b32 s16, exec_lo
                                        ; implicit-def: $vgpr11
	v_cmpx_lt_u32_e32 0x3c7fffff, v13
	s_xor_b32 s16, exec_lo, s16
; %bb.146:                              ;   in Loop: Header=BB45_57 Depth=1
	v_bfe_u32 v11, v12, 20, 1
	s_delay_alu instid0(VALU_DEP_1) | instskip(NEXT) | instid1(VALU_DEP_1)
	v_add3_u32 v11, v12, v11, 0x407ffff
	v_lshrrev_b32_e32 v11, 20, v11
; %bb.147:                              ;   in Loop: Header=BB45_57 Depth=1
	s_and_not1_saveexec_b32 s16, s16
; %bb.148:                              ;   in Loop: Header=BB45_57 Depth=1
	v_add_f32_e64 v11, 0x46800000, |v12|
; %bb.149:                              ;   in Loop: Header=BB45_57 Depth=1
	s_or_b32 exec_lo, exec_lo, s16
.LBB45_150:                             ;   in Loop: Header=BB45_57 Depth=1
	s_delay_alu instid0(SALU_CYCLE_1) | instskip(SKIP_3) | instid1(VALU_DEP_1)
	s_or_b32 exec_lo, exec_lo, s15
	v_lshrrev_b32_e32 v4, 16, v4
	v_fma_mixlo_f16 v9, v28, v9, 0
	s_mov_b32 s15, exec_lo
	v_mul_f16_e32 v4, v4, v9
	s_delay_alu instid0(VALU_DEP_1) | instskip(NEXT) | instid1(VALU_DEP_1)
	v_cvt_f32_f16_e32 v4, v4
	v_div_scale_f32 v9, null, v8, v8, v4
	s_delay_alu instid0(VALU_DEP_1) | instskip(SKIP_2) | instid1(VALU_DEP_1)
	v_rcp_f32_e32 v13, v9
	s_waitcnt_depctr 0xfff
	v_fma_f32 v14, -v9, v13, 1.0
	v_fmac_f32_e32 v13, v14, v13
	v_div_scale_f32 v14, vcc_lo, v4, v8, v4
	s_delay_alu instid0(VALU_DEP_1) | instskip(NEXT) | instid1(VALU_DEP_1)
	v_mul_f32_e32 v15, v14, v13
	v_fma_f32 v16, -v9, v15, v14
	s_delay_alu instid0(VALU_DEP_1) | instskip(NEXT) | instid1(VALU_DEP_1)
	v_fmac_f32_e32 v15, v16, v13
	v_fma_f32 v9, -v9, v15, v14
	s_delay_alu instid0(VALU_DEP_1) | instskip(NEXT) | instid1(VALU_DEP_1)
	v_div_fmas_f32 v9, v9, v13, v15
	v_div_fixup_f32 v4, v9, v8, v4
	s_delay_alu instid0(VALU_DEP_1) | instskip(NEXT) | instid1(VALU_DEP_1)
	v_minmax_f32 v4, v4, s7, 0xc3e00000
	v_and_b32_e32 v8, 0x7fffffff, v4
	s_delay_alu instid0(VALU_DEP_1)
	v_cmpx_gt_u32_e32 0x43f00000, v8
	s_cbranch_execz .LBB45_53
; %bb.151:                              ;   in Loop: Header=BB45_57 Depth=1
	s_mov_b32 s16, exec_lo
                                        ; implicit-def: $vgpr10
	v_cmpx_lt_u32_e32 0x3c7fffff, v8
	s_xor_b32 s16, exec_lo, s16
; %bb.152:                              ;   in Loop: Header=BB45_57 Depth=1
	v_bfe_u32 v8, v4, 20, 1
	s_delay_alu instid0(VALU_DEP_1) | instskip(NEXT) | instid1(VALU_DEP_1)
	v_add3_u32 v8, v4, v8, 0x407ffff
	v_lshrrev_b32_e32 v10, 20, v8
; %bb.153:                              ;   in Loop: Header=BB45_57 Depth=1
	s_and_not1_saveexec_b32 s16, s16
	s_cbranch_execz .LBB45_52
; %bb.154:                              ;   in Loop: Header=BB45_57 Depth=1
	v_add_f32_e64 v10, 0x46800000, |v4|
	s_branch .LBB45_52
.LBB45_155:
	s_nop 0
	s_sendmsg sendmsg(MSG_DEALLOC_VGPRS)
	s_endpgm
	.section	.rodata,"a",@progbits
	.p2align	6, 0x0
	.amdhsa_kernel _ZN4vllm31rms_norm_per_block_quant_kernelIN3c104HalfENS1_13Float8_e4m3fnELb1ELb0ELi128EEEvPT0_PfPKT_S9_PKffiiPS7_l
		.amdhsa_group_segment_fixed_size 4228
		.amdhsa_private_segment_fixed_size 0
		.amdhsa_kernarg_size 328
		.amdhsa_user_sgpr_count 15
		.amdhsa_user_sgpr_dispatch_ptr 0
		.amdhsa_user_sgpr_queue_ptr 0
		.amdhsa_user_sgpr_kernarg_segment_ptr 1
		.amdhsa_user_sgpr_dispatch_id 0
		.amdhsa_user_sgpr_private_segment_size 0
		.amdhsa_wavefront_size32 1
		.amdhsa_uses_dynamic_stack 0
		.amdhsa_enable_private_segment 0
		.amdhsa_system_sgpr_workgroup_id_x 1
		.amdhsa_system_sgpr_workgroup_id_y 0
		.amdhsa_system_sgpr_workgroup_id_z 0
		.amdhsa_system_sgpr_workgroup_info 0
		.amdhsa_system_vgpr_workitem_id 0
		.amdhsa_next_free_vgpr 35
		.amdhsa_next_free_sgpr 40
		.amdhsa_reserve_vcc 1
		.amdhsa_float_round_mode_32 0
		.amdhsa_float_round_mode_16_64 0
		.amdhsa_float_denorm_mode_32 3
		.amdhsa_float_denorm_mode_16_64 3
		.amdhsa_dx10_clamp 1
		.amdhsa_ieee_mode 1
		.amdhsa_fp16_overflow 0
		.amdhsa_workgroup_processor_mode 1
		.amdhsa_memory_ordered 1
		.amdhsa_forward_progress 0
		.amdhsa_shared_vgpr_count 0
		.amdhsa_exception_fp_ieee_invalid_op 0
		.amdhsa_exception_fp_denorm_src 0
		.amdhsa_exception_fp_ieee_div_zero 0
		.amdhsa_exception_fp_ieee_overflow 0
		.amdhsa_exception_fp_ieee_underflow 0
		.amdhsa_exception_fp_ieee_inexact 0
		.amdhsa_exception_int_div_zero 0
	.end_amdhsa_kernel
	.section	.text._ZN4vllm31rms_norm_per_block_quant_kernelIN3c104HalfENS1_13Float8_e4m3fnELb1ELb0ELi128EEEvPT0_PfPKT_S9_PKffiiPS7_l,"axG",@progbits,_ZN4vllm31rms_norm_per_block_quant_kernelIN3c104HalfENS1_13Float8_e4m3fnELb1ELb0ELi128EEEvPT0_PfPKT_S9_PKffiiPS7_l,comdat
.Lfunc_end45:
	.size	_ZN4vllm31rms_norm_per_block_quant_kernelIN3c104HalfENS1_13Float8_e4m3fnELb1ELb0ELi128EEEvPT0_PfPKT_S9_PKffiiPS7_l, .Lfunc_end45-_ZN4vllm31rms_norm_per_block_quant_kernelIN3c104HalfENS1_13Float8_e4m3fnELb1ELb0ELi128EEEvPT0_PfPKT_S9_PKffiiPS7_l
                                        ; -- End function
	.section	.AMDGPU.csdata,"",@progbits
; Kernel info:
; codeLenInByte = 10468
; NumSgprs: 42
; NumVgprs: 35
; ScratchSize: 0
; MemoryBound: 0
; FloatMode: 240
; IeeeMode: 1
; LDSByteSize: 4228 bytes/workgroup (compile time only)
; SGPRBlocks: 5
; VGPRBlocks: 4
; NumSGPRsForWavesPerEU: 42
; NumVGPRsForWavesPerEU: 35
; Occupancy: 16
; WaveLimiterHint : 0
; COMPUTE_PGM_RSRC2:SCRATCH_EN: 0
; COMPUTE_PGM_RSRC2:USER_SGPR: 15
; COMPUTE_PGM_RSRC2:TRAP_HANDLER: 0
; COMPUTE_PGM_RSRC2:TGID_X_EN: 1
; COMPUTE_PGM_RSRC2:TGID_Y_EN: 0
; COMPUTE_PGM_RSRC2:TGID_Z_EN: 0
; COMPUTE_PGM_RSRC2:TIDIG_COMP_CNT: 0
	.section	.text._ZN4vllm31rms_norm_per_block_quant_kernelIN3c104HalfENS1_15Float8_e4m3fnuzELb1ELb0ELi128EEEvPT0_PfPKT_S9_PKffiiPS7_l,"axG",@progbits,_ZN4vllm31rms_norm_per_block_quant_kernelIN3c104HalfENS1_15Float8_e4m3fnuzELb1ELb0ELi128EEEvPT0_PfPKT_S9_PKffiiPS7_l,comdat
	.protected	_ZN4vllm31rms_norm_per_block_quant_kernelIN3c104HalfENS1_15Float8_e4m3fnuzELb1ELb0ELi128EEEvPT0_PfPKT_S9_PKffiiPS7_l ; -- Begin function _ZN4vllm31rms_norm_per_block_quant_kernelIN3c104HalfENS1_15Float8_e4m3fnuzELb1ELb0ELi128EEEvPT0_PfPKT_S9_PKffiiPS7_l
	.globl	_ZN4vllm31rms_norm_per_block_quant_kernelIN3c104HalfENS1_15Float8_e4m3fnuzELb1ELb0ELi128EEEvPT0_PfPKT_S9_PKffiiPS7_l
	.p2align	8
	.type	_ZN4vllm31rms_norm_per_block_quant_kernelIN3c104HalfENS1_15Float8_e4m3fnuzELb1ELb0ELi128EEEvPT0_PfPKT_S9_PKffiiPS7_l,@function
_ZN4vllm31rms_norm_per_block_quant_kernelIN3c104HalfENS1_15Float8_e4m3fnuzELb1ELb0ELi128EEEvPT0_PfPKT_S9_PKffiiPS7_l: ; @_ZN4vllm31rms_norm_per_block_quant_kernelIN3c104HalfENS1_15Float8_e4m3fnuzELb1ELb0ELi128EEEvPT0_PfPKT_S9_PKffiiPS7_l
; %bb.0:
	s_clause 0x2
	s_load_b128 s[16:19], s[0:1], 0x28
	s_load_b256 s[4:11], s[0:1], 0x0
	s_load_b64 s[2:3], s[0:1], 0x38
	v_mov_b32_e32 v6, 0
	s_waitcnt lgkmcnt(0)
	s_ashr_i32 s12, s18, 31
	s_mul_hi_u32 s13, s18, s15
	s_mul_i32 s20, s18, s15
	s_mul_i32 s18, s12, s15
	s_ashr_i32 s19, s17, 31
	s_add_i32 s21, s13, s18
	s_mul_hi_u32 s14, s17, s15
	s_mul_i32 s13, s19, s15
	s_lshl_b64 s[20:21], s[20:21], 1
	s_mul_i32 s12, s17, s15
	s_add_i32 s13, s14, s13
	s_add_u32 s28, s8, s20
	s_addc_u32 s29, s9, s21
	s_lshl_b64 s[8:9], s[12:13], 1
	s_mov_b32 s18, s17
	s_add_u32 s30, s2, s8
	s_addc_u32 s31, s3, s9
	s_ashr_i32 s8, s17, 2
	s_add_u32 s20, s0, 0x48
	v_cmp_gt_u32_e64 s2, s8, v0
	s_mov_b32 s3, 0
	s_addc_u32 s21, s1, 0
	s_delay_alu instid0(VALU_DEP_1)
	s_and_saveexec_b32 s9, s2
	s_cbranch_execz .LBB46_10
; %bb.1:
	s_load_b32 s14, s[20:21], 0x0
	v_dual_mov_b32 v2, 0 :: v_dual_mov_b32 v1, v0
	s_waitcnt lgkmcnt(0)
	s_cmp_lt_u32 s15, s14
	s_cselect_b32 s14, 12, 18
	s_delay_alu instid0(SALU_CYCLE_1)
	s_add_u32 s22, s20, s14
	s_addc_u32 s23, s21, 0
                                        ; implicit-def: $sgpr14
	global_load_u16 v7, v2, s[22:23]
	s_waitcnt vmcnt(0)
	v_lshlrev_b32_e32 v9, 1, v7
	v_mul_lo_u32 v8, v7, 3
	v_add_nc_u32_e32 v10, v7, v7
	v_mov_b32_e32 v6, v2
	s_branch .LBB46_5
.LBB46_2:                               ;   in Loop: Header=BB46_5 Depth=1
	s_or_b32 exec_lo, exec_lo, s23
	s_delay_alu instid0(SALU_CYCLE_1)
	s_or_not1_b32 s23, s24, exec_lo
.LBB46_3:                               ;   in Loop: Header=BB46_5 Depth=1
	s_or_b32 exec_lo, exec_lo, s22
	s_delay_alu instid0(SALU_CYCLE_1) | instskip(SKIP_1) | instid1(SALU_CYCLE_1)
	s_and_not1_b32 s14, s14, exec_lo
	s_and_b32 s22, s23, exec_lo
	s_or_b32 s14, s14, s22
.LBB46_4:                               ;   in Loop: Header=BB46_5 Depth=1
	s_or_b32 exec_lo, exec_lo, s17
	s_delay_alu instid0(SALU_CYCLE_1) | instskip(NEXT) | instid1(SALU_CYCLE_1)
	s_and_b32 s17, exec_lo, s14
	s_or_b32 s3, s17, s3
	s_delay_alu instid0(SALU_CYCLE_1)
	s_and_not1_b32 exec_lo, exec_lo, s3
	s_cbranch_execz .LBB46_9
.LBB46_5:                               ; =>This Inner Loop Header: Depth=1
	v_lshlrev_b64 v[3:4], 3, v[1:2]
	s_or_b32 s14, s14, exec_lo
	s_mov_b32 s17, exec_lo
	s_delay_alu instid0(VALU_DEP_1) | instskip(NEXT) | instid1(VALU_DEP_2)
	v_add_co_u32 v11, vcc_lo, s28, v3
	v_add_co_ci_u32_e32 v12, vcc_lo, s29, v4, vcc_lo
	v_add_co_u32 v3, vcc_lo, s30, v3
	v_add_co_ci_u32_e32 v4, vcc_lo, s31, v4, vcc_lo
	global_load_b64 v[11:12], v[11:12], off
	global_load_b64 v[3:4], v[3:4], off
	s_waitcnt vmcnt(1)
	v_lshrrev_b32_e32 v5, 16, v11
	s_waitcnt vmcnt(0)
	v_lshrrev_b32_e32 v13, 16, v3
	v_cvt_f32_f16_e32 v11, v11
	v_cvt_f32_f16_e32 v3, v3
	v_lshrrev_b32_e32 v14, 16, v12
	v_cvt_f32_f16_e32 v5, v5
	v_cvt_f32_f16_e32 v13, v13
	s_delay_alu instid0(VALU_DEP_1) | instskip(SKIP_4) | instid1(VALU_DEP_4)
	v_add_f32_e32 v5, v5, v13
	v_add_f32_e32 v3, v11, v3
	v_cvt_f32_f16_e32 v11, v12
	v_lshrrev_b32_e32 v12, 16, v4
	v_cvt_f32_f16_e32 v4, v4
	v_fmac_f32_e32 v6, v3, v3
	v_cvt_f32_f16_e32 v3, v14
	s_delay_alu instid0(VALU_DEP_3) | instskip(SKIP_1) | instid1(VALU_DEP_1)
	v_add_f32_e32 v4, v11, v4
	v_cvt_f32_f16_e32 v11, v12
	v_dual_fmac_f32 v6, v5, v5 :: v_dual_add_f32 v5, v3, v11
	s_delay_alu instid0(VALU_DEP_1) | instskip(NEXT) | instid1(VALU_DEP_1)
	v_dual_fmac_f32 v6, v4, v4 :: v_dual_add_nc_u32 v3, v1, v7
	v_fmac_f32_e32 v6, v5, v5
	s_delay_alu instid0(VALU_DEP_2)
	v_cmpx_gt_u32_e64 s8, v3
	s_cbranch_execz .LBB46_4
; %bb.6:                                ;   in Loop: Header=BB46_5 Depth=1
	v_mov_b32_e32 v4, v2
	s_mov_b32 s23, -1
	s_mov_b32 s22, exec_lo
	s_delay_alu instid0(VALU_DEP_1) | instskip(NEXT) | instid1(VALU_DEP_1)
	v_lshlrev_b64 v[4:5], 3, v[3:4]
	v_add_co_u32 v11, vcc_lo, s28, v4
	s_delay_alu instid0(VALU_DEP_2)
	v_add_co_ci_u32_e32 v12, vcc_lo, s29, v5, vcc_lo
	v_add_co_u32 v4, vcc_lo, s30, v4
	v_add_co_ci_u32_e32 v5, vcc_lo, s31, v5, vcc_lo
	global_load_b64 v[11:12], v[11:12], off
	global_load_b64 v[4:5], v[4:5], off
	s_waitcnt vmcnt(1)
	v_lshrrev_b32_e32 v13, 16, v11
	v_cvt_f32_f16_e32 v11, v11
	s_waitcnt vmcnt(0)
	v_lshrrev_b32_e32 v14, 16, v4
	v_cvt_f32_f16_e32 v4, v4
	v_lshrrev_b32_e32 v15, 16, v12
	v_cvt_f32_f16_e32 v13, v13
	s_delay_alu instid0(VALU_DEP_4) | instskip(NEXT) | instid1(VALU_DEP_4)
	v_cvt_f32_f16_e32 v14, v14
	v_add_f32_e32 v4, v11, v4
	v_cvt_f32_f16_e32 v11, v12
	v_lshrrev_b32_e32 v12, 16, v5
	v_cvt_f32_f16_e32 v5, v5
	s_delay_alu instid0(VALU_DEP_4) | instskip(SKIP_1) | instid1(VALU_DEP_3)
	v_dual_add_f32 v13, v13, v14 :: v_dual_fmac_f32 v6, v4, v4
	v_cvt_f32_f16_e32 v4, v15
	v_add_f32_e32 v5, v11, v5
	v_cvt_f32_f16_e32 v11, v12
	s_delay_alu instid0(VALU_DEP_1) | instskip(NEXT) | instid1(VALU_DEP_1)
	v_dual_fmac_f32 v6, v13, v13 :: v_dual_add_f32 v11, v4, v11
	v_fmac_f32_e32 v6, v5, v5
	v_add_nc_u32_e32 v4, v9, v1
	s_delay_alu instid0(VALU_DEP_2) | instskip(NEXT) | instid1(VALU_DEP_2)
	v_fmac_f32_e32 v6, v11, v11
	v_cmpx_gt_u32_e64 s8, v4
	s_cbranch_execz .LBB46_3
; %bb.7:                                ;   in Loop: Header=BB46_5 Depth=1
	v_mov_b32_e32 v5, v2
	v_add_nc_u32_e32 v1, v8, v1
	s_mov_b32 s24, -1
	s_mov_b32 s23, exec_lo
	s_delay_alu instid0(VALU_DEP_2) | instskip(NEXT) | instid1(VALU_DEP_1)
	v_lshlrev_b64 v[4:5], 3, v[4:5]
	v_add_co_u32 v11, vcc_lo, s28, v4
	s_delay_alu instid0(VALU_DEP_2)
	v_add_co_ci_u32_e32 v12, vcc_lo, s29, v5, vcc_lo
	v_add_co_u32 v4, vcc_lo, s30, v4
	v_add_co_ci_u32_e32 v5, vcc_lo, s31, v5, vcc_lo
	global_load_b64 v[11:12], v[11:12], off
	global_load_b64 v[4:5], v[4:5], off
	s_waitcnt vmcnt(1)
	v_lshrrev_b32_e32 v13, 16, v11
	v_cvt_f32_f16_e32 v11, v11
	s_waitcnt vmcnt(0)
	v_lshrrev_b32_e32 v14, 16, v4
	v_cvt_f32_f16_e32 v4, v4
	v_lshrrev_b32_e32 v15, 16, v12
	v_cvt_f32_f16_e32 v13, v13
	s_delay_alu instid0(VALU_DEP_4) | instskip(NEXT) | instid1(VALU_DEP_4)
	v_cvt_f32_f16_e32 v14, v14
	v_add_f32_e32 v4, v11, v4
	v_cvt_f32_f16_e32 v11, v12
	v_lshrrev_b32_e32 v12, 16, v5
	v_cvt_f32_f16_e32 v5, v5
	s_delay_alu instid0(VALU_DEP_4) | instskip(SKIP_1) | instid1(VALU_DEP_3)
	v_dual_add_f32 v13, v13, v14 :: v_dual_fmac_f32 v6, v4, v4
	v_cvt_f32_f16_e32 v4, v15
	v_add_f32_e32 v5, v11, v5
	v_cvt_f32_f16_e32 v11, v12
	s_delay_alu instid0(VALU_DEP_4) | instskip(NEXT) | instid1(VALU_DEP_2)
	v_fmac_f32_e32 v6, v13, v13
	v_add_f32_e32 v4, v4, v11
	s_delay_alu instid0(VALU_DEP_2) | instskip(NEXT) | instid1(VALU_DEP_1)
	v_fmac_f32_e32 v6, v5, v5
	v_fmac_f32_e32 v6, v4, v4
	v_cmpx_gt_u32_e64 s8, v1
	s_xor_b32 s23, exec_lo, s23
	s_cbranch_execz .LBB46_2
; %bb.8:                                ;   in Loop: Header=BB46_5 Depth=1
	v_lshlrev_b64 v[4:5], 3, v[1:2]
	s_delay_alu instid0(VALU_DEP_1) | instskip(NEXT) | instid1(VALU_DEP_2)
	v_add_co_u32 v11, vcc_lo, s28, v4
	v_add_co_ci_u32_e32 v12, vcc_lo, s29, v5, vcc_lo
	v_add_co_u32 v4, vcc_lo, s30, v4
	v_add_co_ci_u32_e32 v5, vcc_lo, s31, v5, vcc_lo
	global_load_b64 v[11:12], v[11:12], off
	global_load_b64 v[4:5], v[4:5], off
	s_waitcnt vmcnt(1)
	v_lshrrev_b32_e32 v1, 16, v11
	v_cvt_f32_f16_e32 v11, v11
	s_waitcnt vmcnt(0)
	v_lshrrev_b32_e32 v13, 16, v4
	v_cvt_f32_f16_e32 v4, v4
	v_lshrrev_b32_e32 v14, 16, v12
	v_cvt_f32_f16_e32 v1, v1
	s_delay_alu instid0(VALU_DEP_4) | instskip(NEXT) | instid1(VALU_DEP_4)
	v_cvt_f32_f16_e32 v13, v13
	v_add_f32_e32 v4, v11, v4
	v_cvt_f32_f16_e32 v11, v12
	v_lshrrev_b32_e32 v12, 16, v5
	v_cvt_f32_f16_e32 v5, v5
	s_delay_alu instid0(VALU_DEP_4) | instskip(SKIP_1) | instid1(VALU_DEP_3)
	v_dual_add_f32 v1, v1, v13 :: v_dual_fmac_f32 v6, v4, v4
	v_cvt_f32_f16_e32 v4, v14
	v_add_f32_e32 v5, v11, v5
	v_cvt_f32_f16_e32 v11, v12
	s_delay_alu instid0(VALU_DEP_4) | instskip(SKIP_1) | instid1(VALU_DEP_2)
	v_fmac_f32_e32 v6, v1, v1
	v_add3_u32 v1, v10, v7, v3
	v_dual_add_f32 v3, v4, v11 :: v_dual_fmac_f32 v6, v5, v5
	s_delay_alu instid0(VALU_DEP_2) | instskip(NEXT) | instid1(VALU_DEP_2)
	v_cmp_le_u32_e32 vcc_lo, s8, v1
	v_fmac_f32_e32 v6, v3, v3
	s_or_not1_b32 s24, vcc_lo, exec_lo
	s_branch .LBB46_2
.LBB46_9:
	s_or_b32 exec_lo, exec_lo, s3
.LBB46_10:
	s_delay_alu instid0(SALU_CYCLE_1) | instskip(SKIP_3) | instid1(VALU_DEP_2)
	s_or_b32 exec_lo, exec_lo, s9
	v_mbcnt_lo_u32_b32 v1, -1, 0
	s_load_b32 s3, s[20:21], 0xc
	v_and_b32_e32 v7, 0x3e0, v0
	v_cmp_ne_u32_e32 vcc_lo, 31, v1
	v_add_nc_u32_e32 v3, 1, v1
	v_add_co_ci_u32_e32 v2, vcc_lo, 0, v1, vcc_lo
	v_cmp_gt_u32_e32 vcc_lo, 30, v1
	s_delay_alu instid0(VALU_DEP_2)
	v_lshlrev_b32_e32 v2, 2, v2
	v_cndmask_b32_e64 v5, 0, 1, vcc_lo
	ds_bpermute_b32 v4, v2, v6
	s_waitcnt lgkmcnt(0)
	s_and_b32 s33, s3, 0xffff
	v_lshlrev_b32_e32 v5, 1, v5
	v_sub_nc_u32_e64 v12, s33, v7 clamp
	s_mov_b32 s3, exec_lo
	s_delay_alu instid0(VALU_DEP_1) | instskip(SKIP_2) | instid1(VALU_DEP_2)
	v_cmp_lt_u32_e32 vcc_lo, v3, v12
	v_add_f32_e32 v7, v6, v4
	v_add_lshl_u32 v4, v5, v1, 2
	v_cndmask_b32_e32 v7, v6, v7, vcc_lo
	v_cmp_gt_u32_e32 vcc_lo, 28, v1
	v_cndmask_b32_e64 v5, 0, 1, vcc_lo
	s_delay_alu instid0(VALU_DEP_1) | instskip(SKIP_2) | instid1(VALU_DEP_1)
	v_lshlrev_b32_e32 v8, 2, v5
	ds_bpermute_b32 v6, v4, v7
	v_add_nc_u32_e32 v5, 2, v1
	v_cmp_lt_u32_e32 vcc_lo, v5, v12
	s_waitcnt lgkmcnt(0)
	v_add_f32_e32 v9, v7, v6
	v_add_lshl_u32 v6, v8, v1, 2
	s_delay_alu instid0(VALU_DEP_2) | instskip(SKIP_3) | instid1(VALU_DEP_1)
	v_cndmask_b32_e32 v9, v7, v9, vcc_lo
	v_cmp_gt_u32_e32 vcc_lo, 24, v1
	ds_bpermute_b32 v8, v6, v9
	v_cndmask_b32_e64 v7, 0, 1, vcc_lo
	v_lshlrev_b32_e32 v10, 3, v7
	v_add_nc_u32_e32 v7, 4, v1
	s_delay_alu instid0(VALU_DEP_1) | instskip(SKIP_3) | instid1(VALU_DEP_2)
	v_cmp_lt_u32_e32 vcc_lo, v7, v12
	s_waitcnt lgkmcnt(0)
	v_add_f32_e32 v11, v9, v8
	v_add_lshl_u32 v8, v10, v1, 2
	v_cndmask_b32_e32 v11, v9, v11, vcc_lo
	v_cmp_gt_u32_e32 vcc_lo, 16, v1
	ds_bpermute_b32 v10, v8, v11
	v_cndmask_b32_e64 v9, 0, 1, vcc_lo
	s_delay_alu instid0(VALU_DEP_1) | instskip(SKIP_1) | instid1(VALU_DEP_1)
	v_lshlrev_b32_e32 v13, 4, v9
	v_add_nc_u32_e32 v9, 8, v1
	v_cmp_lt_u32_e32 vcc_lo, v9, v12
	s_waitcnt lgkmcnt(0)
	v_add_f32_e32 v14, v11, v10
	v_add_lshl_u32 v10, v13, v1, 2
	s_delay_alu instid0(VALU_DEP_2)
	v_cndmask_b32_e32 v13, v11, v14, vcc_lo
	v_add_nc_u32_e32 v11, 16, v1
	ds_bpermute_b32 v14, v10, v13
	v_cmp_lt_u32_e32 vcc_lo, v11, v12
	s_waitcnt lgkmcnt(0)
	v_add_f32_e32 v14, v13, v14
	s_delay_alu instid0(VALU_DEP_1)
	v_cndmask_b32_e32 v12, v13, v14, vcc_lo
	v_cmpx_eq_u32_e32 0, v1
	s_cbranch_execz .LBB46_12
; %bb.11:
	v_lshrrev_b32_e32 v13, 3, v0
	s_delay_alu instid0(VALU_DEP_1)
	v_and_b32_e32 v13, 0x7c, v13
	ds_store_b32 v13, v12 offset:4096
.LBB46_12:
	s_or_b32 exec_lo, exec_lo, s3
	s_delay_alu instid0(SALU_CYCLE_1)
	s_mov_b32 s3, exec_lo
	s_waitcnt lgkmcnt(0)
	s_barrier
	buffer_gl0_inv
	v_cmpx_gt_u32_e32 32, v0
	s_cbranch_execz .LBB46_14
; %bb.13:
	v_lshlrev_b32_e32 v1, 2, v1
	s_add_i32 s9, s33, 31
	s_delay_alu instid0(SALU_CYCLE_1) | instskip(NEXT) | instid1(SALU_CYCLE_1)
	s_lshr_b32 s9, s9, 5
	v_cmp_gt_u32_e32 vcc_lo, s9, v3
	ds_load_b32 v1, v1 offset:4096
	s_waitcnt lgkmcnt(0)
	ds_bpermute_b32 v2, v2, v1
	s_waitcnt lgkmcnt(0)
	v_add_f32_e32 v2, v1, v2
	s_delay_alu instid0(VALU_DEP_1) | instskip(SKIP_4) | instid1(VALU_DEP_1)
	v_cndmask_b32_e32 v1, v1, v2, vcc_lo
	v_cmp_gt_u32_e32 vcc_lo, s9, v5
	ds_bpermute_b32 v2, v4, v1
	s_waitcnt lgkmcnt(0)
	v_add_f32_e32 v2, v1, v2
	v_cndmask_b32_e32 v1, v1, v2, vcc_lo
	v_cmp_gt_u32_e32 vcc_lo, s9, v7
	ds_bpermute_b32 v2, v6, v1
	s_waitcnt lgkmcnt(0)
	v_add_f32_e32 v2, v1, v2
	s_delay_alu instid0(VALU_DEP_1) | instskip(SKIP_4) | instid1(VALU_DEP_1)
	v_cndmask_b32_e32 v1, v1, v2, vcc_lo
	v_cmp_gt_u32_e32 vcc_lo, s9, v9
	ds_bpermute_b32 v2, v8, v1
	s_waitcnt lgkmcnt(0)
	v_add_f32_e32 v2, v1, v2
	v_cndmask_b32_e32 v1, v1, v2, vcc_lo
	v_cmp_gt_u32_e32 vcc_lo, s9, v11
	ds_bpermute_b32 v2, v10, v1
	s_waitcnt lgkmcnt(0)
	v_add_f32_e32 v2, v1, v2
	s_delay_alu instid0(VALU_DEP_1)
	v_cndmask_b32_e32 v12, v1, v2, vcc_lo
.LBB46_14:
	s_or_b32 exec_lo, exec_lo, s3
	s_delay_alu instid0(SALU_CYCLE_1)
	s_mov_b32 s3, exec_lo
	v_cmpx_eq_u32_e32 0, v0
	s_cbranch_execz .LBB46_16
; %bb.15:
	v_cvt_f32_i32_e32 v1, s18
	s_delay_alu instid0(VALU_DEP_1) | instskip(SKIP_1) | instid1(VALU_DEP_2)
	v_div_scale_f32 v2, null, v1, v1, v12
	v_div_scale_f32 v5, vcc_lo, v12, v1, v12
	v_rcp_f32_e32 v3, v2
	s_waitcnt_depctr 0xfff
	v_fma_f32 v4, -v2, v3, 1.0
	s_delay_alu instid0(VALU_DEP_1) | instskip(NEXT) | instid1(VALU_DEP_1)
	v_fmac_f32_e32 v3, v4, v3
	v_mul_f32_e32 v4, v5, v3
	s_delay_alu instid0(VALU_DEP_1) | instskip(NEXT) | instid1(VALU_DEP_1)
	v_fma_f32 v6, -v2, v4, v5
	v_fmac_f32_e32 v4, v6, v3
	s_delay_alu instid0(VALU_DEP_1) | instskip(NEXT) | instid1(VALU_DEP_1)
	v_fma_f32 v2, -v2, v4, v5
	v_div_fmas_f32 v2, v2, v3, v4
	s_delay_alu instid0(VALU_DEP_1) | instskip(NEXT) | instid1(VALU_DEP_1)
	v_div_fixup_f32 v1, v2, v1, v12
	v_add_f32_e32 v1, s16, v1
	s_delay_alu instid0(VALU_DEP_1) | instskip(SKIP_1) | instid1(VALU_DEP_2)
	v_mul_f32_e32 v2, 0x4b800000, v1
	v_cmp_gt_f32_e32 vcc_lo, 0x800000, v1
	v_cndmask_b32_e32 v1, v1, v2, vcc_lo
	s_delay_alu instid0(VALU_DEP_1) | instskip(SKIP_2) | instid1(VALU_DEP_1)
	v_rsq_f32_e32 v1, v1
	s_waitcnt_depctr 0xfff
	v_mul_f32_e32 v2, 0x45800000, v1
	v_dual_cndmask_b32 v1, v1, v2 :: v_dual_mov_b32 v2, 0
	ds_store_b32 v2, v1 offset:4224
.LBB46_16:
	s_or_b32 exec_lo, exec_lo, s3
	s_ashr_i32 s3, s18, 31
	s_waitcnt lgkmcnt(0)
	s_lshr_b32 s3, s3, 25
	s_barrier
	s_add_i32 s3, s18, s3
	buffer_gl0_inv
	s_ashr_i32 s16, s3, 7
	s_ashr_i32 s3, s3, 31
	s_abs_i32 s9, s16
	s_delay_alu instid0(SALU_CYCLE_1) | instskip(SKIP_1) | instid1(VALU_DEP_1)
	v_cvt_f32_u32_e32 v1, s9
	s_sub_i32 s17, 0, s9
	v_rcp_iflag_f32_e32 v1, v1
	s_waitcnt_depctr 0xfff
	v_mul_f32_e32 v1, 0x4f7ffffe, v1
	s_delay_alu instid0(VALU_DEP_1) | instskip(NEXT) | instid1(VALU_DEP_1)
	v_cvt_u32_f32_e32 v1, v1
	v_readfirstlane_b32 s14, v1
	s_delay_alu instid0(VALU_DEP_1) | instskip(NEXT) | instid1(SALU_CYCLE_1)
	s_mul_i32 s17, s17, s14
	s_mul_hi_u32 s17, s14, s17
	s_delay_alu instid0(SALU_CYCLE_1) | instskip(NEXT) | instid1(SALU_CYCLE_1)
	s_add_i32 s14, s14, s17
	s_mul_hi_u32 s14, s33, s14
	s_delay_alu instid0(SALU_CYCLE_1) | instskip(SKIP_2) | instid1(SALU_CYCLE_1)
	s_mul_i32 s17, s14, s9
	s_add_i32 s20, s14, 1
	s_sub_i32 s17, s33, s17
	s_sub_i32 s21, s17, s9
	s_cmp_ge_u32 s17, s9
	s_cselect_b32 s14, s20, s14
	s_cselect_b32 s17, s21, s17
	s_add_i32 s20, s14, 1
	s_cmp_ge_u32 s17, s9
	s_cselect_b32 s9, s20, s14
	s_delay_alu instid0(SALU_CYCLE_1) | instskip(NEXT) | instid1(SALU_CYCLE_1)
	s_xor_b32 s9, s9, s3
	s_sub_i32 s20, s9, s3
	s_delay_alu instid0(SALU_CYCLE_1) | instskip(SKIP_3) | instid1(VALU_DEP_1)
	s_abs_i32 s3, s20
	s_ashr_i32 s21, s20, 31
	v_cvt_f32_u32_e32 v1, s3
	s_sub_i32 s9, 0, s3
	v_rcp_iflag_f32_e32 v1, v1
	s_waitcnt_depctr 0xfff
	v_mul_f32_e32 v1, 0x4f7ffffe, v1
	s_delay_alu instid0(VALU_DEP_1) | instskip(NEXT) | instid1(VALU_DEP_1)
	v_cvt_u32_f32_e32 v1, v1
	v_mul_lo_u32 v2, s9, v1
	s_ashr_i32 s9, s8, 31
	s_delay_alu instid0(VALU_DEP_1) | instskip(NEXT) | instid1(VALU_DEP_1)
	v_mul_hi_u32 v2, v1, v2
	v_add_nc_u32_e32 v1, v1, v2
	s_delay_alu instid0(VALU_DEP_1) | instskip(NEXT) | instid1(VALU_DEP_1)
	v_mul_hi_u32 v1, v0, v1
	v_mul_lo_u32 v2, v1, s3
	v_add_nc_u32_e32 v3, 1, v1
	s_delay_alu instid0(VALU_DEP_2) | instskip(NEXT) | instid1(VALU_DEP_1)
	v_sub_nc_u32_e32 v2, v0, v2
	v_subrev_nc_u32_e32 v4, s3, v2
	v_cmp_le_u32_e32 vcc_lo, s3, v2
	s_delay_alu instid0(VALU_DEP_2) | instskip(NEXT) | instid1(VALU_DEP_1)
	v_dual_cndmask_b32 v1, v1, v3 :: v_dual_cndmask_b32 v2, v2, v4
	v_dual_mov_b32 v4, 0 :: v_dual_add_nc_u32 v3, 1, v1
	s_delay_alu instid0(VALU_DEP_2) | instskip(SKIP_2) | instid1(VALU_DEP_1)
	v_cmp_le_u32_e32 vcc_lo, s3, v2
	ds_load_b32 v28, v4 offset:4224
	v_cndmask_b32_e32 v1, v1, v3, vcc_lo
	v_xor_b32_e32 v1, s21, v1
	s_delay_alu instid0(VALU_DEP_1) | instskip(NEXT) | instid1(VALU_DEP_1)
	v_subrev_nc_u32_e32 v1, s21, v1
	v_ashrrev_i32_e32 v2, 31, v1
	v_mul_lo_u32 v3, v1, s20
	s_delay_alu instid0(VALU_DEP_2) | instskip(NEXT) | instid1(VALU_DEP_2)
	v_lshlrev_b64 v[7:8], 5, v[1:2]
	v_sub_nc_u32_e32 v3, v0, v3
	s_delay_alu instid0(VALU_DEP_2) | instskip(NEXT) | instid1(VALU_DEP_3)
	v_add_co_u32 v5, vcc_lo, v7, 32
	v_add_co_ci_u32_e32 v6, vcc_lo, 0, v8, vcc_lo
	s_delay_alu instid0(VALU_DEP_1) | instskip(SKIP_4) | instid1(VALU_DEP_3)
	v_cmp_gt_i64_e32 vcc_lo, s[8:9], v[5:6]
	v_cndmask_b32_e32 v6, s9, v6, vcc_lo
	v_cndmask_b32_e32 v5, s8, v5, vcc_lo
	v_add_co_u32 v7, vcc_lo, v7, v3
	v_add_co_ci_u32_e32 v8, vcc_lo, 0, v8, vcc_lo
	v_ashrrev_i32_e32 v10, 31, v5
	v_mov_b32_e32 v9, v5
	s_mov_b32 s9, exec_lo
	s_delay_alu instid0(VALU_DEP_1)
	v_cmpx_lt_i64_e64 v[7:8], v[9:10]
	s_cbranch_execz .LBB46_26
; %bb.17:
	v_lshlrev_b64 v[11:12], 8, v[1:2]
	v_lshlrev_b64 v[13:14], 3, v[3:4]
	v_mov_b32_e32 v4, 0
	s_lshl_b64 s[22:23], s[20:21], 5
	s_mul_hi_i32 s14, s20, 3
	s_mul_i32 s17, s20, 3
	s_lshl_b64 s[24:25], s[20:21], 1
	v_add_co_u32 v21, vcc_lo, v11, v13
	v_add_co_ci_u32_e32 v22, vcc_lo, v12, v14, vcc_lo
	v_dual_mov_b32 v12, v8 :: v_dual_mov_b32 v11, v7
	s_lshl_b64 s[26:27], s[20:21], 3
	s_mov_b32 s34, 0
                                        ; implicit-def: $sgpr35
	s_branch .LBB46_21
.LBB46_18:                              ;   in Loop: Header=BB46_21 Depth=1
	s_or_b32 exec_lo, exec_lo, s38
	s_delay_alu instid0(SALU_CYCLE_1)
	s_or_not1_b32 s3, s3, exec_lo
.LBB46_19:                              ;   in Loop: Header=BB46_21 Depth=1
	s_or_b32 exec_lo, exec_lo, s37
	s_delay_alu instid0(SALU_CYCLE_1) | instskip(SKIP_1) | instid1(SALU_CYCLE_1)
	s_and_not1_b32 s35, s35, exec_lo
	s_and_b32 s3, s3, exec_lo
	s_or_b32 s35, s35, s3
.LBB46_20:                              ;   in Loop: Header=BB46_21 Depth=1
	s_or_b32 exec_lo, exec_lo, s36
	s_delay_alu instid0(SALU_CYCLE_1) | instskip(NEXT) | instid1(SALU_CYCLE_1)
	s_and_b32 s3, exec_lo, s35
	s_or_b32 s34, s3, s34
	s_delay_alu instid0(SALU_CYCLE_1)
	s_and_not1_b32 exec_lo, exec_lo, s34
	s_cbranch_execz .LBB46_25
.LBB46_21:                              ; =>This Inner Loop Header: Depth=1
	v_add_co_u32 v15, vcc_lo, s28, v21
	v_add_co_ci_u32_e32 v16, vcc_lo, s29, v22, vcc_lo
	v_add_co_u32 v19, vcc_lo, s30, v21
	v_add_co_ci_u32_e32 v20, vcc_lo, s31, v22, vcc_lo
	v_add_co_u32 v17, vcc_lo, s10, v21
	global_load_b64 v[13:14], v[15:16], off
	global_load_b64 v[23:24], v[19:20], off
	v_add_co_ci_u32_e32 v18, vcc_lo, s11, v22, vcc_lo
	s_or_b32 s35, s35, exec_lo
	s_mov_b32 s36, exec_lo
	global_load_b64 v[25:26], v[17:18], off
	s_waitcnt vmcnt(2)
	v_lshrrev_b32_e32 v27, 16, v13
	s_waitcnt vmcnt(1)
	v_lshrrev_b32_e32 v30, 16, v23
	v_lshrrev_b32_e32 v29, 16, v14
	v_cvt_f32_f16_e32 v13, v13
	v_lshrrev_b32_e32 v31, 16, v24
	v_cvt_f32_f16_e32 v23, v23
	v_cvt_f32_f16_e32 v27, v27
	;; [unrolled: 1-line block ×6, first 2 shown]
	v_add_f32_e32 v13, v13, v23
	v_cvt_f32_f16_e32 v23, v31
	s_delay_alu instid0(VALU_DEP_4)
	v_dual_add_f32 v27, v27, v30 :: v_dual_add_f32 v14, v14, v24
	s_waitcnt vmcnt(0)
	v_lshrrev_b32_e32 v30, 16, v25
	s_waitcnt lgkmcnt(0)
	v_fma_mixlo_f16 v13, v28, v13, 0
	v_add_f32_e32 v23, v29, v23
	v_fma_mixlo_f16 v24, v28, v27, 0
	v_lshrrev_b32_e32 v27, 16, v26
	v_fma_mixlo_f16 v14, v28, v14, 0
	v_mul_f16_e32 v13, v25, v13
	v_fma_mixlo_f16 v23, v28, v23, 0
	v_mul_f16_e32 v24, v30, v24
	s_delay_alu instid0(VALU_DEP_4) | instskip(NEXT) | instid1(VALU_DEP_4)
	v_mul_f16_e32 v25, v26, v14
	v_cvt_f32_f16_e64 v26, |v13|
	s_delay_alu instid0(VALU_DEP_4) | instskip(NEXT) | instid1(VALU_DEP_4)
	v_mul_f16_e32 v23, v27, v23
	v_cvt_f32_f16_e64 v24, |v24|
	v_add_co_u32 v13, vcc_lo, v11, s20
	v_cvt_f32_f16_e64 v25, |v25|
	s_delay_alu instid0(VALU_DEP_4) | instskip(NEXT) | instid1(VALU_DEP_4)
	v_cvt_f32_f16_e64 v23, |v23|
	v_max3_f32 v4, v4, v26, v24
	v_add_co_ci_u32_e32 v14, vcc_lo, s21, v12, vcc_lo
	s_delay_alu instid0(VALU_DEP_2) | instskip(NEXT) | instid1(VALU_DEP_2)
	v_max3_f32 v4, v4, v25, v23
	v_cmpx_lt_i64_e64 v[13:14], v[9:10]
	s_cbranch_execz .LBB46_20
; %bb.22:                               ;   in Loop: Header=BB46_21 Depth=1
	v_add_co_u32 v15, vcc_lo, v15, s26
	v_add_co_ci_u32_e32 v16, vcc_lo, s27, v16, vcc_lo
	v_add_co_u32 v19, vcc_lo, v19, s26
	v_add_co_ci_u32_e32 v20, vcc_lo, s27, v20, vcc_lo
	v_add_co_u32 v17, vcc_lo, v17, s26
	global_load_b64 v[23:24], v[15:16], off
	global_load_b64 v[25:26], v[19:20], off
	v_add_co_ci_u32_e32 v18, vcc_lo, s27, v18, vcc_lo
	s_mov_b32 s3, -1
	s_mov_b32 s37, exec_lo
	global_load_b64 v[29:30], v[17:18], off
	s_waitcnt vmcnt(2)
	v_lshrrev_b32_e32 v27, 16, v23
	s_waitcnt vmcnt(1)
	v_lshrrev_b32_e32 v32, 16, v25
	v_lshrrev_b32_e32 v31, 16, v24
	v_cvt_f32_f16_e32 v23, v23
	v_lshrrev_b32_e32 v33, 16, v26
	v_cvt_f32_f16_e32 v25, v25
	v_cvt_f32_f16_e32 v27, v27
	;; [unrolled: 1-line block ×6, first 2 shown]
	v_add_f32_e32 v23, v23, v25
	v_cvt_f32_f16_e32 v25, v33
	s_delay_alu instid0(VALU_DEP_4)
	v_dual_add_f32 v27, v27, v32 :: v_dual_add_f32 v24, v24, v26
	s_waitcnt vmcnt(0)
	v_lshrrev_b32_e32 v32, 16, v29
	v_fma_mixlo_f16 v23, v28, v23, 0
	v_add_f32_e32 v25, v31, v25
	v_fma_mixlo_f16 v26, v28, v27, 0
	v_lshrrev_b32_e32 v27, 16, v30
	v_fma_mixlo_f16 v24, v28, v24, 0
	v_mul_f16_e32 v23, v29, v23
	v_fma_mixlo_f16 v25, v28, v25, 0
	v_mul_f16_e32 v26, v32, v26
	s_delay_alu instid0(VALU_DEP_4) | instskip(NEXT) | instid1(VALU_DEP_4)
	v_mul_f16_e32 v29, v30, v24
	v_cvt_f32_f16_e64 v30, |v23|
	s_delay_alu instid0(VALU_DEP_4) | instskip(NEXT) | instid1(VALU_DEP_4)
	v_mul_f16_e32 v25, v27, v25
	v_cvt_f32_f16_e64 v26, |v26|
	v_add_co_u32 v23, vcc_lo, s24, v11
	v_cvt_f32_f16_e64 v27, |v29|
	s_delay_alu instid0(VALU_DEP_4) | instskip(NEXT) | instid1(VALU_DEP_4)
	v_cvt_f32_f16_e64 v25, |v25|
	v_max3_f32 v4, v4, v30, v26
	v_add_co_ci_u32_e32 v24, vcc_lo, s25, v12, vcc_lo
	s_delay_alu instid0(VALU_DEP_2) | instskip(NEXT) | instid1(VALU_DEP_2)
	v_max3_f32 v4, v4, v27, v25
	v_cmpx_lt_i64_e64 v[23:24], v[9:10]
	s_cbranch_execz .LBB46_19
; %bb.23:                               ;   in Loop: Header=BB46_21 Depth=1
	v_add_co_u32 v15, vcc_lo, v15, s26
	v_add_co_ci_u32_e32 v16, vcc_lo, s27, v16, vcc_lo
	v_add_co_u32 v19, vcc_lo, v19, s26
	v_add_co_ci_u32_e32 v20, vcc_lo, s27, v20, vcc_lo
	v_add_co_u32 v17, vcc_lo, v17, s26
	global_load_b64 v[23:24], v[15:16], off
	global_load_b64 v[25:26], v[19:20], off
	v_add_co_ci_u32_e32 v18, vcc_lo, s27, v18, vcc_lo
	v_add_co_u32 v11, vcc_lo, s17, v11
	v_add_co_ci_u32_e32 v12, vcc_lo, s14, v12, vcc_lo
	global_load_b64 v[29:30], v[17:18], off
	v_cmp_lt_i64_e32 vcc_lo, v[11:12], v[9:10]
                                        ; implicit-def: $vgpr11_vgpr12
	s_waitcnt vmcnt(2)
	v_lshrrev_b32_e32 v27, 16, v23
	s_waitcnt vmcnt(1)
	v_lshrrev_b32_e32 v32, 16, v25
	v_lshrrev_b32_e32 v31, 16, v24
	v_cvt_f32_f16_e32 v23, v23
	v_lshrrev_b32_e32 v33, 16, v26
	v_cvt_f32_f16_e32 v25, v25
	v_cvt_f32_f16_e32 v27, v27
	;; [unrolled: 1-line block ×6, first 2 shown]
	v_add_f32_e32 v23, v23, v25
	v_cvt_f32_f16_e32 v25, v33
	s_delay_alu instid0(VALU_DEP_4)
	v_dual_add_f32 v27, v27, v32 :: v_dual_add_f32 v24, v24, v26
	s_waitcnt vmcnt(0)
	v_lshrrev_b32_e32 v32, 16, v29
	v_fma_mixlo_f16 v23, v28, v23, 0
	v_add_f32_e32 v25, v31, v25
	v_fma_mixlo_f16 v26, v28, v27, 0
	v_lshrrev_b32_e32 v27, 16, v30
	v_fma_mixlo_f16 v24, v28, v24, 0
	v_mul_f16_e32 v23, v29, v23
	v_fma_mixlo_f16 v25, v28, v25, 0
	v_mul_f16_e32 v26, v32, v26
	s_delay_alu instid0(VALU_DEP_4) | instskip(NEXT) | instid1(VALU_DEP_4)
	v_mul_f16_e32 v24, v30, v24
	v_cvt_f32_f16_e64 v23, |v23|
	s_delay_alu instid0(VALU_DEP_4) | instskip(NEXT) | instid1(VALU_DEP_4)
	v_mul_f16_e32 v25, v27, v25
	v_cvt_f32_f16_e64 v26, |v26|
	s_delay_alu instid0(VALU_DEP_4) | instskip(NEXT) | instid1(VALU_DEP_2)
	v_cvt_f32_f16_e64 v24, |v24|
	v_max3_f32 v4, v4, v23, v26
	s_delay_alu instid0(VALU_DEP_4) | instskip(NEXT) | instid1(VALU_DEP_1)
	v_cvt_f32_f16_e64 v23, |v25|
	v_max3_f32 v4, v4, v24, v23
	s_and_saveexec_b32 s38, vcc_lo
	s_delay_alu instid0(SALU_CYCLE_1)
	s_xor_b32 s38, exec_lo, s38
	s_cbranch_execz .LBB46_18
; %bb.24:                               ;   in Loop: Header=BB46_21 Depth=1
	v_add_co_u32 v11, vcc_lo, v15, s26
	v_add_co_ci_u32_e32 v12, vcc_lo, s27, v16, vcc_lo
	v_add_co_u32 v15, vcc_lo, v19, s26
	v_add_co_ci_u32_e32 v16, vcc_lo, s27, v20, vcc_lo
	v_add_co_u32 v17, vcc_lo, v17, s26
	global_load_b64 v[11:12], v[11:12], off
	global_load_b64 v[15:16], v[15:16], off
	v_add_co_ci_u32_e32 v18, vcc_lo, s27, v18, vcc_lo
	s_add_u32 s3, s20, s20
	s_addc_u32 s39, s21, s21
	s_add_u32 s3, s3, s20
	global_load_b64 v[17:18], v[17:18], off
	s_addc_u32 s39, s39, s21
	s_waitcnt vmcnt(2)
	v_lshrrev_b32_e32 v19, 16, v11
	s_waitcnt vmcnt(1)
	v_lshrrev_b32_e32 v23, 16, v15
	v_lshrrev_b32_e32 v20, 16, v12
	v_cvt_f32_f16_e32 v11, v11
	v_lshrrev_b32_e32 v24, 16, v16
	v_cvt_f32_f16_e32 v15, v15
	v_cvt_f32_f16_e32 v19, v19
	;; [unrolled: 1-line block ×6, first 2 shown]
	v_add_f32_e32 v11, v11, v15
	v_cvt_f32_f16_e32 v15, v24
	s_delay_alu instid0(VALU_DEP_4)
	v_dual_add_f32 v19, v19, v23 :: v_dual_add_f32 v12, v12, v16
	s_waitcnt vmcnt(0)
	v_lshrrev_b32_e32 v23, 16, v17
	v_fma_mixlo_f16 v11, v28, v11, 0
	v_add_f32_e32 v15, v20, v15
	v_fma_mixlo_f16 v16, v28, v19, 0
	v_lshrrev_b32_e32 v19, 16, v18
	v_fma_mixlo_f16 v12, v28, v12, 0
	v_mul_f16_e32 v11, v17, v11
	v_fma_mixlo_f16 v15, v28, v15, 0
	v_mul_f16_e32 v16, v23, v16
	s_delay_alu instid0(VALU_DEP_4) | instskip(NEXT) | instid1(VALU_DEP_4)
	v_mul_f16_e32 v17, v18, v12
	v_cvt_f32_f16_e64 v18, |v11|
	s_delay_alu instid0(VALU_DEP_4) | instskip(NEXT) | instid1(VALU_DEP_4)
	v_mul_f16_e32 v15, v19, v15
	v_cvt_f32_f16_e64 v16, |v16|
	v_add_co_u32 v11, vcc_lo, s3, v13
	v_add_co_ci_u32_e32 v12, vcc_lo, s39, v14, vcc_lo
	v_cvt_f32_f16_e64 v13, |v17|
	v_cvt_f32_f16_e64 v14, |v15|
	v_max3_f32 v4, v4, v18, v16
	s_delay_alu instid0(VALU_DEP_4) | instskip(SKIP_1) | instid1(VALU_DEP_1)
	v_cmp_ge_i64_e32 vcc_lo, v[11:12], v[9:10]
	v_add_co_u32 v21, s3, v21, s22
	v_add_co_ci_u32_e64 v22, s3, s23, v22, s3
	s_delay_alu instid0(VALU_DEP_4)
	v_max3_f32 v4, v4, v13, v14
	s_or_not1_b32 s3, vcc_lo, exec_lo
	s_branch .LBB46_18
.LBB46_25:
	s_or_b32 exec_lo, exec_lo, s34
.LBB46_26:
	s_delay_alu instid0(SALU_CYCLE_1)
	s_or_b32 exec_lo, exec_lo, s9
	s_lshr_b32 s9, s33, 5
	v_lshlrev_b32_e32 v29, 2, v0
	v_cvt_f32_u32_e32 v9, s9
	s_sub_i32 s14, 0, s9
	s_add_i32 s17, s16, s9
	s_delay_alu instid0(SALU_CYCLE_1) | instskip(NEXT) | instid1(VALU_DEP_1)
	s_add_i32 s22, s17, -1
	v_rcp_iflag_f32_e32 v9, v9
	s_abs_i32 s23, s22
	s_ashr_i32 s17, s16, 31
	s_ashr_i32 s22, s22, 31
	ds_store_b32 v29, v4
	s_waitcnt lgkmcnt(0)
	s_barrier
	buffer_gl0_inv
	v_mul_f32_e32 v9, 0x4f7ffffe, v9
	s_delay_alu instid0(VALU_DEP_1) | instskip(NEXT) | instid1(VALU_DEP_1)
	v_cvt_u32_f32_e32 v9, v9
	v_readfirstlane_b32 s3, v9
	s_delay_alu instid0(VALU_DEP_1) | instskip(NEXT) | instid1(SALU_CYCLE_1)
	s_mul_i32 s14, s14, s3
	s_mul_hi_u32 s14, s3, s14
	s_delay_alu instid0(SALU_CYCLE_1) | instskip(NEXT) | instid1(SALU_CYCLE_1)
	s_add_i32 s3, s3, s14
	s_mul_hi_u32 s3, s23, s3
	s_delay_alu instid0(SALU_CYCLE_1) | instskip(NEXT) | instid1(SALU_CYCLE_1)
	s_mul_i32 s14, s3, s9
	s_sub_i32 s14, s23, s14
	s_add_i32 s23, s3, 1
	s_sub_i32 s24, s14, s9
	s_cmp_ge_u32 s14, s9
	s_cselect_b32 s3, s23, s3
	s_cselect_b32 s14, s24, s14
	s_add_i32 s23, s3, 1
	s_cmp_ge_u32 s14, s9
	s_cselect_b32 s3, s23, s3
	s_delay_alu instid0(SALU_CYCLE_1) | instskip(NEXT) | instid1(SALU_CYCLE_1)
	s_xor_b32 s3, s3, s22
	s_sub_i32 s22, s3, s22
	s_delay_alu instid0(SALU_CYCLE_1) | instskip(NEXT) | instid1(SALU_CYCLE_1)
	s_ashr_i32 s23, s22, 31
	v_cmp_lt_i64_e64 s3, s[22:23], 1
	s_delay_alu instid0(VALU_DEP_1)
	s_and_b32 vcc_lo, exec_lo, s3
	s_cbranch_vccnz .LBB46_46
; %bb.27:
	v_lshrrev_b32_e32 v9, 5, v0
	v_and_b32_e32 v4, 31, v0
	s_mov_b64 s[24:25], 0
	s_mov_b64 s[26:27], src_shared_base
	s_delay_alu instid0(VALU_DEP_2) | instskip(NEXT) | instid1(VALU_DEP_2)
	v_mul_lo_u32 v19, s20, v9
	v_add_co_u32 v11, s3, v4, 16
	s_delay_alu instid0(VALU_DEP_1) | instskip(SKIP_1) | instid1(VALU_DEP_1)
	v_add_co_ci_u32_e64 v12, null, 0, 0, s3
	v_add_co_u32 v13, s3, v4, 8
	v_add_co_ci_u32_e64 v14, null, 0, 0, s3
	v_add_co_u32 v15, s3, v4, 4
	v_dual_mov_b32 v10, 0 :: v_dual_lshlrev_b32 v21, 2, v19
	v_lshlrev_b32_e32 v22, 2, v4
	v_add_co_ci_u32_e64 v16, null, 0, 0, s3
	v_add_co_u32 v17, s3, v4, 2
	s_delay_alu instid0(VALU_DEP_1) | instskip(SKIP_1) | instid1(VALU_DEP_1)
	v_add_co_ci_u32_e64 v18, null, 0, 0, s3
	v_add_co_u32 v19, s3, v4, 1
	v_add_co_ci_u32_e64 v20, null, 0, 0, s3
	v_add3_u32 v30, v21, v22, 0x80
	s_mul_i32 s3, s20, s9
	s_delay_alu instid0(SALU_CYCLE_1)
	s_lshl_b32 s14, s3, 2
	s_branch .LBB46_30
.LBB46_28:                              ;   in Loop: Header=BB46_30 Depth=1
	s_or_b32 exec_lo, exec_lo, s3
	v_mov_b32_e32 v22, s27
	flat_load_b32 v21, v[21:22] glc dlc
	s_waitcnt vmcnt(0)
.LBB46_29:                              ;   in Loop: Header=BB46_30 Depth=1
	s_or_b32 exec_lo, exec_lo, s26
	s_add_u32 s24, s24, 1
	v_add_nc_u32_e32 v30, s14, v30
	s_addc_u32 s25, s25, 0
	s_delay_alu instid0(SALU_CYCLE_1)
	s_cmp_eq_u64 s[24:25], s[22:23]
	s_cbranch_scc1 .LBB46_46
.LBB46_30:                              ; =>This Loop Header: Depth=1
                                        ;     Child Loop BB46_33 Depth 2
	s_waitcnt lgkmcnt(0)
	v_mad_u64_u32 v[21:22], null, s24, s9, v[9:10]
	s_mov_b32 s26, exec_lo
	s_delay_alu instid0(VALU_DEP_1) | instskip(NEXT) | instid1(VALU_DEP_1)
	v_mad_u64_u32 v[23:24], null, s25, s9, v[22:23]
	v_mov_b32_e32 v22, v23
	s_delay_alu instid0(VALU_DEP_1)
	v_cmpx_gt_i64_e64 s[16:17], v[21:22]
	s_cbranch_execz .LBB46_29
; %bb.31:                               ;   in Loop: Header=BB46_30 Depth=1
	v_mul_lo_u32 v24, v22, s20
	v_mul_lo_u32 v25, v21, s21
	v_mad_u64_u32 v[22:23], null, v21, s20, 0
	s_delay_alu instid0(VALU_DEP_1) | instskip(NEXT) | instid1(VALU_DEP_2)
	v_add3_u32 v23, v23, v25, v24
	v_add_co_u32 v24, vcc_lo, v22, s20
	v_add_co_u32 v31, s3, v22, v4
	s_delay_alu instid0(VALU_DEP_3) | instskip(SKIP_2) | instid1(VALU_DEP_2)
	v_add_co_ci_u32_e32 v25, vcc_lo, s21, v23, vcc_lo
	v_add_co_ci_u32_e64 v21, s3, 0, v23, s3
	s_mov_b32 s3, exec_lo
	v_cmp_gt_i64_e32 vcc_lo, s[18:19], v[24:25]
	v_cndmask_b32_e32 v25, s19, v25, vcc_lo
	v_cndmask_b32_e32 v24, s18, v24, vcc_lo
	v_add_co_u32 v26, vcc_lo, v31, 32
	v_add_co_ci_u32_e32 v27, vcc_lo, 0, v21, vcc_lo
	v_lshlrev_b32_e32 v21, 2, v31
	s_delay_alu instid0(VALU_DEP_2)
	v_cmpx_lt_i64_e64 v[26:27], v[24:25]
	s_cbranch_execz .LBB46_34
; %bb.32:                               ;   in Loop: Header=BB46_30 Depth=1
	ds_load_b32 v33, v21
	v_mov_b32_e32 v32, v30
	s_mov_b32 s34, 0
.LBB46_33:                              ;   Parent Loop BB46_30 Depth=1
                                        ; =>  This Inner Loop Header: Depth=2
	ds_load_b32 v34, v32
	v_add_co_u32 v26, vcc_lo, v26, 32
	v_add_co_ci_u32_e32 v27, vcc_lo, 0, v27, vcc_lo
	s_waitcnt lgkmcnt(1)
	v_dual_max_f32 v33, v33, v33 :: v_dual_add_nc_u32 v32, 0x80, v32
	s_delay_alu instid0(VALU_DEP_2) | instskip(SKIP_3) | instid1(VALU_DEP_1)
	v_cmp_ge_i64_e32 vcc_lo, v[26:27], v[24:25]
	s_or_b32 s34, vcc_lo, s34
	s_waitcnt lgkmcnt(0)
	v_max_f32_e32 v34, v34, v34
	v_max_f32_e32 v33, v33, v34
	ds_store_b32 v21, v33
	s_and_not1_b32 exec_lo, exec_lo, s34
	s_cbranch_execnz .LBB46_33
.LBB46_34:                              ;   in Loop: Header=BB46_30 Depth=1
	s_or_b32 exec_lo, exec_lo, s3
	v_sub_co_u32 v22, vcc_lo, v24, v22
	v_sub_co_ci_u32_e32 v23, vcc_lo, v25, v23, vcc_lo
	s_mov_b32 s3, exec_lo
	s_delay_alu instid0(VALU_DEP_1) | instskip(SKIP_1) | instid1(VALU_DEP_1)
	v_cmp_gt_i64_e32 vcc_lo, 32, v[22:23]
	v_dual_cndmask_b32 v24, 0, v23 :: v_dual_cndmask_b32 v23, 32, v22
	v_cmpx_lt_i64_e64 v[11:12], v[23:24]
	s_cbranch_execz .LBB46_36
; %bb.35:                               ;   in Loop: Header=BB46_30 Depth=1
	v_dual_mov_b32 v22, s27 :: v_dual_add_nc_u32 v25, 64, v21
	v_mov_b32_e32 v26, s27
	flat_load_b32 v27, v[21:22] glc dlc
	s_waitcnt vmcnt(0)
	flat_load_b32 v25, v[25:26] glc dlc
	s_waitcnt vmcnt(0) lgkmcnt(0)
	v_dual_max_f32 v26, v27, v27 :: v_dual_max_f32 v25, v25, v25
	s_delay_alu instid0(VALU_DEP_1)
	v_max_f32_e32 v25, v26, v25
	flat_store_b32 v[21:22], v25 dlc
	s_waitcnt_vscnt null, 0x0
.LBB46_36:                              ;   in Loop: Header=BB46_30 Depth=1
	s_or_b32 exec_lo, exec_lo, s3
	s_delay_alu instid0(SALU_CYCLE_1)
	s_mov_b32 s3, exec_lo
	v_cmpx_lt_i64_e64 v[13:14], v[23:24]
	s_cbranch_execz .LBB46_38
; %bb.37:                               ;   in Loop: Header=BB46_30 Depth=1
	v_dual_mov_b32 v22, s27 :: v_dual_add_nc_u32 v25, 32, v21
	v_mov_b32_e32 v26, s27
	flat_load_b32 v27, v[21:22] glc dlc
	s_waitcnt vmcnt(0)
	flat_load_b32 v25, v[25:26] glc dlc
	s_waitcnt vmcnt(0) lgkmcnt(0)
	v_dual_max_f32 v26, v27, v27 :: v_dual_max_f32 v25, v25, v25
	s_delay_alu instid0(VALU_DEP_1)
	v_max_f32_e32 v25, v26, v25
	flat_store_b32 v[21:22], v25 dlc
	s_waitcnt_vscnt null, 0x0
.LBB46_38:                              ;   in Loop: Header=BB46_30 Depth=1
	s_or_b32 exec_lo, exec_lo, s3
	s_delay_alu instid0(SALU_CYCLE_1)
	s_mov_b32 s3, exec_lo
	v_cmpx_ge_i64_e64 v[15:16], v[23:24]
	s_xor_b32 s3, exec_lo, s3
; %bb.39:                               ;   in Loop: Header=BB46_30 Depth=1
                                        ; implicit-def: $vgpr21
; %bb.40:                               ;   in Loop: Header=BB46_30 Depth=1
	s_delay_alu instid0(SALU_CYCLE_1)
	s_and_not1_saveexec_b32 s3, s3
	s_cbranch_execz .LBB46_42
; %bb.41:                               ;   in Loop: Header=BB46_30 Depth=1
	v_dual_mov_b32 v22, s27 :: v_dual_add_nc_u32 v25, 16, v21
	v_mov_b32_e32 v26, s27
	flat_load_b32 v27, v[21:22] glc dlc
	s_waitcnt vmcnt(0)
	flat_load_b32 v25, v[25:26] glc dlc
	s_waitcnt vmcnt(0) lgkmcnt(0)
	v_dual_max_f32 v26, v27, v27 :: v_dual_max_f32 v25, v25, v25
	s_delay_alu instid0(VALU_DEP_1)
	v_max_f32_e32 v25, v26, v25
	flat_store_b32 v[21:22], v25 dlc
	s_waitcnt_vscnt null, 0x0
.LBB46_42:                              ;   in Loop: Header=BB46_30 Depth=1
	s_or_b32 exec_lo, exec_lo, s3
	v_lshlrev_b32_e32 v21, 2, v31
	s_mov_b32 s3, exec_lo
	v_cmpx_lt_i64_e64 v[17:18], v[23:24]
	s_cbranch_execz .LBB46_44
; %bb.43:                               ;   in Loop: Header=BB46_30 Depth=1
	s_delay_alu instid0(VALU_DEP_2)
	v_dual_mov_b32 v22, s27 :: v_dual_add_nc_u32 v25, 8, v21
	v_mov_b32_e32 v26, s27
	flat_load_b32 v27, v[21:22] glc dlc
	s_waitcnt vmcnt(0)
	flat_load_b32 v25, v[25:26] glc dlc
	s_waitcnt vmcnt(0) lgkmcnt(0)
	v_dual_max_f32 v26, v27, v27 :: v_dual_max_f32 v25, v25, v25
	s_delay_alu instid0(VALU_DEP_1)
	v_max_f32_e32 v25, v26, v25
	flat_store_b32 v[21:22], v25 dlc
	s_waitcnt_vscnt null, 0x0
.LBB46_44:                              ;   in Loop: Header=BB46_30 Depth=1
	s_or_b32 exec_lo, exec_lo, s3
	s_delay_alu instid0(SALU_CYCLE_1)
	s_mov_b32 s3, exec_lo
	v_cmpx_lt_i64_e64 v[19:20], v[23:24]
	s_cbranch_execz .LBB46_28
; %bb.45:                               ;   in Loop: Header=BB46_30 Depth=1
	v_dual_mov_b32 v22, s27 :: v_dual_add_nc_u32 v23, 4, v21
	v_mov_b32_e32 v24, s27
	flat_load_b32 v25, v[21:22] glc dlc
	s_waitcnt vmcnt(0)
	flat_load_b32 v23, v[23:24] glc dlc
	s_waitcnt vmcnt(0) lgkmcnt(0)
	v_dual_max_f32 v24, v25, v25 :: v_dual_max_f32 v23, v23, v23
	s_delay_alu instid0(VALU_DEP_1)
	v_max_f32_e32 v23, v24, v23
	flat_store_b32 v[21:22], v23 dlc
	s_waitcnt_vscnt null, 0x0
	s_branch .LBB46_28
.LBB46_46:
	v_cmp_lt_i64_e32 vcc_lo, v[7:8], v[5:6]
	v_cmp_eq_u32_e64 s3, 0, v3
	s_mul_i32 s9, s17, s15
	s_mul_hi_u32 s17, s16, s15
	s_mul_i32 s14, s16, s15
	s_waitcnt lgkmcnt(0)
	s_and_b32 s18, s3, vcc_lo
	s_barrier
	buffer_gl0_inv
	s_and_saveexec_b32 s3, s18
	s_cbranch_execz .LBB46_50
; %bb.47:
	s_load_b64 s[0:1], s[0:1], 0x20
	ds_load_b32 v3, v29
	s_waitcnt lgkmcnt(0)
	s_cmp_eq_u64 s[0:1], 0
	s_cbranch_scc1 .LBB46_49
; %bb.48:
	s_load_b32 s0, s[0:1], 0x0
	v_max_f32_e32 v3, v3, v3
	s_waitcnt lgkmcnt(0)
	v_max_f32_e64 v4, s0, s0
	s_delay_alu instid0(VALU_DEP_1)
	v_min_f32_e32 v3, v3, v4
.LBB46_49:
	s_delay_alu instid0(VALU_DEP_1) | instskip(SKIP_2) | instid1(VALU_DEP_2)
	v_div_scale_f32 v4, null, 0x43600000, 0x43600000, v3
	v_div_scale_f32 v7, vcc_lo, v3, 0x43600000, v3
	s_add_i32 s15, s17, s9
	v_rcp_f32_e32 v5, v4
	v_lshlrev_b64 v[1:2], 2, v[1:2]
	s_lshl_b64 s[0:1], s[14:15], 2
	s_delay_alu instid0(SALU_CYCLE_1) | instskip(SKIP_3) | instid1(VALU_DEP_1)
	s_add_u32 s0, s6, s0
	s_addc_u32 s1, s7, s1
	s_waitcnt_depctr 0xfff
	v_fma_f32 v6, -v4, v5, 1.0
	v_fmac_f32_e32 v5, v6, v5
	s_delay_alu instid0(VALU_DEP_1) | instskip(NEXT) | instid1(VALU_DEP_1)
	v_mul_f32_e32 v6, v7, v5
	v_fma_f32 v8, -v4, v6, v7
	s_delay_alu instid0(VALU_DEP_1) | instskip(NEXT) | instid1(VALU_DEP_1)
	v_fmac_f32_e32 v6, v8, v5
	v_fma_f32 v4, -v4, v6, v7
	s_delay_alu instid0(VALU_DEP_1) | instskip(SKIP_2) | instid1(VALU_DEP_3)
	v_div_fmas_f32 v4, v4, v5, v6
	v_add_co_u32 v1, vcc_lo, s0, v1
	v_add_co_ci_u32_e32 v2, vcc_lo, s1, v2, vcc_lo
	v_div_fixup_f32 v3, v4, 0x43600000, v3
	s_delay_alu instid0(VALU_DEP_1)
	v_max_f32_e32 v3, 0x37124925, v3
	global_store_b32 v[1:2], v3, off
.LBB46_50:
	s_or_b32 exec_lo, exec_lo, s3
	s_waitcnt_vscnt null, 0x0
	s_barrier
	buffer_gl0_inv
	s_and_saveexec_b32 s0, s2
	s_cbranch_execz .LBB46_187
; %bb.51:
	s_add_u32 s2, s4, s12
	s_addc_u32 s3, s5, s13
	s_add_i32 s15, s17, s9
	v_mov_b32_e32 v1, 0
	s_lshl_b64 s[0:1], s[14:15], 2
	s_mul_i32 s4, s33, 3
	s_add_u32 s0, s6, s0
	s_addc_u32 s1, s7, s1
	s_lshl_b32 s5, s33, 1
	s_mov_b32 s6, 0
	s_mov_b32 s7, 0x43600000
	s_branch .LBB46_57
.LBB46_52:                              ;   in Loop: Header=BB46_57 Depth=1
	s_or_b32 exec_lo, exec_lo, s16
.LBB46_53:                              ;   in Loop: Header=BB46_57 Depth=1
	s_delay_alu instid0(SALU_CYCLE_1)
	s_or_b32 exec_lo, exec_lo, s14
	v_lshlrev_b64 v[4:5], 2, v[0:1]
	v_lshlrev_b32_e32 v8, 16, v9
	v_lshlrev_b32_e32 v7, 8, v7
	s_add_i32 s14, s33, s33
	v_and_b32_e32 v6, 0xff, v6
	v_add3_u32 v0, s14, s33, v2
	v_perm_b32 v8, v3, v8, 0x4020c0c
	v_and_b32_e32 v7, 0xff00, v7
	v_add_co_u32 v2, vcc_lo, s2, v4
	v_add_co_ci_u32_e32 v3, vcc_lo, s3, v5, vcc_lo
	v_cmp_le_u32_e32 vcc_lo, s8, v0
	s_delay_alu instid0(VALU_DEP_4)
	v_or3_b32 v4, v8, v7, v6
	s_or_not1_b32 s14, vcc_lo, exec_lo
	global_store_b32 v[2:3], v4, off
.LBB46_54:                              ;   in Loop: Header=BB46_57 Depth=1
	s_or_b32 exec_lo, exec_lo, s13
	s_delay_alu instid0(SALU_CYCLE_1)
	s_or_not1_b32 s13, s14, exec_lo
.LBB46_55:                              ;   in Loop: Header=BB46_57 Depth=1
	s_or_b32 exec_lo, exec_lo, s12
	s_delay_alu instid0(SALU_CYCLE_1)
	s_or_not1_b32 s12, s13, exec_lo
.LBB46_56:                              ;   in Loop: Header=BB46_57 Depth=1
	s_or_b32 exec_lo, exec_lo, s9
	s_delay_alu instid0(SALU_CYCLE_1) | instskip(NEXT) | instid1(SALU_CYCLE_1)
	s_and_b32 s9, exec_lo, s12
	s_or_b32 s6, s9, s6
	s_delay_alu instid0(SALU_CYCLE_1)
	s_and_not1_b32 exec_lo, exec_lo, s6
	s_cbranch_execz .LBB46_187
.LBB46_57:                              ; =>This Inner Loop Header: Depth=1
	v_lshlrev_b64 v[2:3], 3, v[0:1]
	s_mov_b32 s9, exec_lo
	s_delay_alu instid0(VALU_DEP_1) | instskip(NEXT) | instid1(VALU_DEP_2)
	v_add_co_u32 v4, vcc_lo, s28, v2
	v_add_co_ci_u32_e32 v5, vcc_lo, s29, v3, vcc_lo
	v_add_co_u32 v12, vcc_lo, s30, v2
	v_add_co_ci_u32_e32 v13, vcc_lo, s31, v3, vcc_lo
	v_add_co_u32 v2, vcc_lo, s10, v2
	global_load_b64 v[5:6], v[4:5], off
	global_load_b64 v[7:8], v[12:13], off
	v_add_co_ci_u32_e32 v3, vcc_lo, s11, v3, vcc_lo
	v_lshrrev_b32_e32 v4, 3, v0
	global_load_b64 v[2:3], v[2:3], off
	s_waitcnt vmcnt(2)
	v_cvt_f32_f16_e32 v9, v5
	s_waitcnt vmcnt(1)
	v_cvt_f32_f16_e32 v10, v7
	v_and_b32_e32 v4, 0x7fffffc, v4
	v_lshrrev_b32_e32 v5, 16, v5
	v_lshrrev_b32_e32 v7, 16, v7
	s_delay_alu instid0(VALU_DEP_4) | instskip(SKIP_4) | instid1(VALU_DEP_1)
	v_add_f32_e32 v11, v9, v10
	global_load_b32 v4, v4, s[0:1]
	v_cvt_f32_f16_e32 v5, v5
	v_fma_mixlo_f16 v9, v28, v11, 0
	s_waitcnt vmcnt(1)
	v_mul_f16_e32 v9, v2, v9
	s_delay_alu instid0(VALU_DEP_1) | instskip(SKIP_1) | instid1(VALU_DEP_1)
	v_cvt_f32_f16_e32 v9, v9
	s_waitcnt vmcnt(0)
	v_div_scale_f32 v10, null, v4, v4, v9
	v_div_scale_f32 v16, vcc_lo, v9, v4, v9
	s_delay_alu instid0(VALU_DEP_2) | instskip(SKIP_2) | instid1(VALU_DEP_1)
	v_rcp_f32_e32 v14, v10
	s_waitcnt_depctr 0xfff
	v_fma_f32 v15, -v10, v14, 1.0
	v_fmac_f32_e32 v14, v15, v14
	s_delay_alu instid0(VALU_DEP_1) | instskip(NEXT) | instid1(VALU_DEP_1)
	v_mul_f32_e32 v15, v16, v14
	v_fma_f32 v17, -v10, v15, v16
	s_delay_alu instid0(VALU_DEP_1) | instskip(SKIP_2) | instid1(VALU_DEP_3)
	v_fmac_f32_e32 v15, v17, v14
	v_lshrrev_b32_e32 v17, 16, v6
	v_cvt_f32_f16_e32 v6, v6
	v_fma_f32 v10, -v10, v15, v16
	v_lshrrev_b32_e32 v16, 16, v8
	v_cvt_f32_f16_e32 v8, v8
	s_delay_alu instid0(VALU_DEP_3) | instskip(SKIP_1) | instid1(VALU_DEP_4)
	v_div_fmas_f32 v10, v10, v14, v15
	v_cvt_f32_f16_e32 v14, v17
	v_cvt_f32_f16_e32 v15, v16
	;; [unrolled: 1-line block ×3, first 2 shown]
	v_add_f32_e32 v8, v6, v8
	v_div_fixup_f32 v10, v10, v4, v9
	v_cvt_f16_f32_e32 v6, v11
	v_add_f32_e32 v7, v14, v15
	v_add_f32_e32 v9, v5, v16
	v_cvt_f16_f32_e32 v14, v8
	v_minmax_f32 v10, v10, s7, 0xc3600000
	v_mov_b32_e32 v5, 0x80
	v_cvt_f16_f32_e32 v15, v7
	v_cvt_f16_f32_e32 v16, v9
	s_delay_alu instid0(VALU_DEP_4) | instskip(NEXT) | instid1(VALU_DEP_3)
	v_and_b32_e32 v11, 0x7fffffff, v10
	v_pack_b32_f16 v15, v14, v15
	s_delay_alu instid0(VALU_DEP_3)
	v_pack_b32_f16 v14, v6, v16
	v_mov_b32_e32 v6, 0x80
	global_store_b64 v[12:13], v[14:15], off
	v_cmpx_gt_u32_e32 0x43800000, v11
	s_cbranch_execz .LBB46_63
; %bb.58:                               ;   in Loop: Header=BB46_57 Depth=1
	v_cmp_lt_u32_e32 vcc_lo, 0x3bffffff, v11
	s_mov_b32 s12, 0
                                        ; implicit-def: $vgpr11
	s_and_saveexec_b32 s13, vcc_lo
	s_delay_alu instid0(SALU_CYCLE_1)
	s_xor_b32 s13, exec_lo, s13
	s_cbranch_execnz .LBB46_154
; %bb.59:                               ;   in Loop: Header=BB46_57 Depth=1
	s_or_saveexec_b32 s13, s13
                                        ; implicit-def: $sgpr14
	s_delay_alu instid0(SALU_CYCLE_1)
	s_xor_b32 exec_lo, exec_lo, s13
	s_cbranch_execnz .LBB46_155
.LBB46_60:                              ;   in Loop: Header=BB46_57 Depth=1
	s_or_b32 exec_lo, exec_lo, s13
	v_mov_b32_e32 v6, s14
	s_and_saveexec_b32 s13, s12
.LBB46_61:                              ;   in Loop: Header=BB46_57 Depth=1
	v_lshrrev_b32_e32 v6, 24, v10
	s_delay_alu instid0(VALU_DEP_1)
	v_and_or_b32 v6, 0x80, v6, v11
.LBB46_62:                              ;   in Loop: Header=BB46_57 Depth=1
	s_or_b32 exec_lo, exec_lo, s13
.LBB46_63:                              ;   in Loop: Header=BB46_57 Depth=1
	s_delay_alu instid0(SALU_CYCLE_1) | instskip(SKIP_3) | instid1(VALU_DEP_1)
	s_or_b32 exec_lo, exec_lo, s9
	v_lshrrev_b32_e32 v2, 16, v2
	v_fma_mixlo_f16 v9, v28, v9, 0
	s_mov_b32 s9, exec_lo
	v_mul_f16_e32 v2, v2, v9
	s_delay_alu instid0(VALU_DEP_1) | instskip(NEXT) | instid1(VALU_DEP_1)
	v_cvt_f32_f16_e32 v2, v2
	v_div_scale_f32 v9, null, v4, v4, v2
	s_delay_alu instid0(VALU_DEP_1) | instskip(SKIP_2) | instid1(VALU_DEP_1)
	v_rcp_f32_e32 v10, v9
	s_waitcnt_depctr 0xfff
	v_fma_f32 v11, -v9, v10, 1.0
	v_fmac_f32_e32 v10, v11, v10
	v_div_scale_f32 v11, vcc_lo, v2, v4, v2
	s_delay_alu instid0(VALU_DEP_1) | instskip(NEXT) | instid1(VALU_DEP_1)
	v_mul_f32_e32 v12, v11, v10
	v_fma_f32 v13, -v9, v12, v11
	s_delay_alu instid0(VALU_DEP_1) | instskip(NEXT) | instid1(VALU_DEP_1)
	v_fmac_f32_e32 v12, v13, v10
	v_fma_f32 v9, -v9, v12, v11
	s_delay_alu instid0(VALU_DEP_1) | instskip(NEXT) | instid1(VALU_DEP_1)
	v_div_fmas_f32 v9, v9, v10, v12
	v_div_fixup_f32 v2, v9, v4, v2
	s_delay_alu instid0(VALU_DEP_1) | instskip(NEXT) | instid1(VALU_DEP_1)
	v_minmax_f32 v2, v2, s7, 0xc3600000
	v_and_b32_e32 v9, 0x7fffffff, v2
	s_delay_alu instid0(VALU_DEP_1)
	v_cmpx_gt_u32_e32 0x43800000, v9
	s_cbranch_execz .LBB46_69
; %bb.64:                               ;   in Loop: Header=BB46_57 Depth=1
	v_cmp_lt_u32_e32 vcc_lo, 0x3bffffff, v9
	s_mov_b32 s12, 0
                                        ; implicit-def: $vgpr9
	s_and_saveexec_b32 s13, vcc_lo
	s_delay_alu instid0(SALU_CYCLE_1)
	s_xor_b32 s13, exec_lo, s13
	s_cbranch_execnz .LBB46_156
; %bb.65:                               ;   in Loop: Header=BB46_57 Depth=1
	s_or_saveexec_b32 s13, s13
                                        ; implicit-def: $sgpr14
	s_delay_alu instid0(SALU_CYCLE_1)
	s_xor_b32 exec_lo, exec_lo, s13
	s_cbranch_execnz .LBB46_157
.LBB46_66:                              ;   in Loop: Header=BB46_57 Depth=1
	s_or_b32 exec_lo, exec_lo, s13
	v_mov_b32_e32 v5, s14
	s_and_saveexec_b32 s13, s12
.LBB46_67:                              ;   in Loop: Header=BB46_57 Depth=1
	v_lshrrev_b32_e32 v2, 24, v2
	s_delay_alu instid0(VALU_DEP_1)
	v_and_or_b32 v5, 0x80, v2, v9
.LBB46_68:                              ;   in Loop: Header=BB46_57 Depth=1
	s_or_b32 exec_lo, exec_lo, s13
.LBB46_69:                              ;   in Loop: Header=BB46_57 Depth=1
	s_delay_alu instid0(SALU_CYCLE_1) | instskip(SKIP_2) | instid1(VALU_DEP_1)
	s_or_b32 exec_lo, exec_lo, s9
	v_fma_mixlo_f16 v2, v28, v8, 0
	s_mov_b32 s9, exec_lo
	v_mul_f16_e32 v2, v3, v2
	s_delay_alu instid0(VALU_DEP_1) | instskip(NEXT) | instid1(VALU_DEP_1)
	v_cvt_f32_f16_e32 v2, v2
	v_div_scale_f32 v8, null, v4, v4, v2
	v_div_scale_f32 v11, vcc_lo, v2, v4, v2
	s_delay_alu instid0(VALU_DEP_2) | instskip(SKIP_2) | instid1(VALU_DEP_1)
	v_rcp_f32_e32 v9, v8
	s_waitcnt_depctr 0xfff
	v_fma_f32 v10, -v8, v9, 1.0
	v_fmac_f32_e32 v9, v10, v9
	s_delay_alu instid0(VALU_DEP_1) | instskip(NEXT) | instid1(VALU_DEP_1)
	v_mul_f32_e32 v10, v11, v9
	v_fma_f32 v12, -v8, v10, v11
	s_delay_alu instid0(VALU_DEP_1) | instskip(NEXT) | instid1(VALU_DEP_1)
	v_fmac_f32_e32 v10, v12, v9
	v_fma_f32 v8, -v8, v10, v11
	s_delay_alu instid0(VALU_DEP_1) | instskip(NEXT) | instid1(VALU_DEP_1)
	v_div_fmas_f32 v8, v8, v9, v10
	v_div_fixup_f32 v2, v8, v4, v2
	v_mov_b32_e32 v8, 0x80
	s_delay_alu instid0(VALU_DEP_2) | instskip(SKIP_1) | instid1(VALU_DEP_2)
	v_minmax_f32 v9, v2, s7, 0xc3600000
	v_mov_b32_e32 v2, 0x80
	v_and_b32_e32 v10, 0x7fffffff, v9
	s_delay_alu instid0(VALU_DEP_1)
	v_cmpx_gt_u32_e32 0x43800000, v10
	s_cbranch_execz .LBB46_75
; %bb.70:                               ;   in Loop: Header=BB46_57 Depth=1
	v_cmp_lt_u32_e32 vcc_lo, 0x3bffffff, v10
	s_mov_b32 s12, 0
                                        ; implicit-def: $vgpr10
	s_and_saveexec_b32 s13, vcc_lo
	s_delay_alu instid0(SALU_CYCLE_1)
	s_xor_b32 s13, exec_lo, s13
	s_cbranch_execnz .LBB46_158
; %bb.71:                               ;   in Loop: Header=BB46_57 Depth=1
	s_or_saveexec_b32 s13, s13
                                        ; implicit-def: $sgpr14
	s_delay_alu instid0(SALU_CYCLE_1)
	s_xor_b32 exec_lo, exec_lo, s13
	s_cbranch_execnz .LBB46_159
.LBB46_72:                              ;   in Loop: Header=BB46_57 Depth=1
	s_or_b32 exec_lo, exec_lo, s13
	v_mov_b32_e32 v8, s14
	s_and_saveexec_b32 s13, s12
.LBB46_73:                              ;   in Loop: Header=BB46_57 Depth=1
	v_lshrrev_b32_e32 v8, 24, v9
	s_delay_alu instid0(VALU_DEP_1)
	v_and_or_b32 v8, 0x80, v8, v10
.LBB46_74:                              ;   in Loop: Header=BB46_57 Depth=1
	s_or_b32 exec_lo, exec_lo, s13
.LBB46_75:                              ;   in Loop: Header=BB46_57 Depth=1
	s_delay_alu instid0(SALU_CYCLE_1) | instskip(SKIP_3) | instid1(VALU_DEP_1)
	s_or_b32 exec_lo, exec_lo, s9
	v_lshrrev_b32_e32 v3, 16, v3
	v_fma_mixlo_f16 v7, v28, v7, 0
	s_mov_b32 s9, exec_lo
	v_mul_f16_e32 v3, v3, v7
	s_delay_alu instid0(VALU_DEP_1) | instskip(NEXT) | instid1(VALU_DEP_1)
	v_cvt_f32_f16_e32 v3, v3
	v_div_scale_f32 v7, null, v4, v4, v3
	s_delay_alu instid0(VALU_DEP_1) | instskip(SKIP_2) | instid1(VALU_DEP_1)
	v_rcp_f32_e32 v9, v7
	s_waitcnt_depctr 0xfff
	v_fma_f32 v10, -v7, v9, 1.0
	v_fmac_f32_e32 v9, v10, v9
	v_div_scale_f32 v10, vcc_lo, v3, v4, v3
	s_delay_alu instid0(VALU_DEP_1) | instskip(NEXT) | instid1(VALU_DEP_1)
	v_mul_f32_e32 v11, v10, v9
	v_fma_f32 v12, -v7, v11, v10
	s_delay_alu instid0(VALU_DEP_1) | instskip(NEXT) | instid1(VALU_DEP_1)
	v_fmac_f32_e32 v11, v12, v9
	v_fma_f32 v7, -v7, v11, v10
	s_delay_alu instid0(VALU_DEP_1) | instskip(NEXT) | instid1(VALU_DEP_1)
	v_div_fmas_f32 v7, v7, v9, v11
	v_div_fixup_f32 v3, v7, v4, v3
	s_delay_alu instid0(VALU_DEP_1) | instskip(NEXT) | instid1(VALU_DEP_1)
	v_minmax_f32 v3, v3, s7, 0xc3600000
	v_and_b32_e32 v4, 0x7fffffff, v3
	s_delay_alu instid0(VALU_DEP_1)
	v_cmpx_gt_u32_e32 0x43800000, v4
	s_cbranch_execz .LBB46_81
; %bb.76:                               ;   in Loop: Header=BB46_57 Depth=1
	v_cmp_lt_u32_e32 vcc_lo, 0x3bffffff, v4
	s_mov_b32 s12, 0
                                        ; implicit-def: $vgpr4
	s_and_saveexec_b32 s13, vcc_lo
	s_delay_alu instid0(SALU_CYCLE_1)
	s_xor_b32 s13, exec_lo, s13
	s_cbranch_execnz .LBB46_160
; %bb.77:                               ;   in Loop: Header=BB46_57 Depth=1
	s_or_saveexec_b32 s13, s13
                                        ; implicit-def: $sgpr14
	s_delay_alu instid0(SALU_CYCLE_1)
	s_xor_b32 exec_lo, exec_lo, s13
	s_cbranch_execnz .LBB46_161
.LBB46_78:                              ;   in Loop: Header=BB46_57 Depth=1
	s_or_b32 exec_lo, exec_lo, s13
	v_mov_b32_e32 v2, s14
	s_and_saveexec_b32 s13, s12
.LBB46_79:                              ;   in Loop: Header=BB46_57 Depth=1
	v_lshrrev_b32_e32 v2, 24, v3
	s_delay_alu instid0(VALU_DEP_1)
	v_and_or_b32 v2, 0x80, v2, v4
.LBB46_80:                              ;   in Loop: Header=BB46_57 Depth=1
	s_or_b32 exec_lo, exec_lo, s13
.LBB46_81:                              ;   in Loop: Header=BB46_57 Depth=1
	s_delay_alu instid0(SALU_CYCLE_1)
	s_or_b32 exec_lo, exec_lo, s9
	v_lshlrev_b32_e32 v7, 16, v8
	v_lshlrev_b32_e32 v5, 8, v5
	v_lshlrev_b64 v[3:4], 2, v[0:1]
	v_and_b32_e32 v6, 0xff, v6
	s_mov_b32 s12, -1
	v_perm_b32 v7, v2, v7, 0x4020c0c
	v_and_b32_e32 v5, 0xff00, v5
	v_add_nc_u32_e32 v2, s33, v0
	v_add_co_u32 v3, vcc_lo, s2, v3
	v_add_co_ci_u32_e32 v4, vcc_lo, s3, v4, vcc_lo
	s_delay_alu instid0(VALU_DEP_4)
	v_or3_b32 v5, v7, v5, v6
	s_mov_b32 s9, exec_lo
	global_store_b32 v[3:4], v5, off
	v_cmpx_gt_u32_e64 s8, v2
	s_cbranch_execz .LBB46_56
; %bb.82:                               ;   in Loop: Header=BB46_57 Depth=1
	v_mov_b32_e32 v3, v1
	s_mov_b32 s12, exec_lo
	s_delay_alu instid0(VALU_DEP_1) | instskip(NEXT) | instid1(VALU_DEP_1)
	v_lshlrev_b64 v[4:5], 3, v[2:3]
	v_add_co_u32 v6, vcc_lo, s28, v4
	s_delay_alu instid0(VALU_DEP_2)
	v_add_co_ci_u32_e32 v7, vcc_lo, s29, v5, vcc_lo
	v_add_co_u32 v14, vcc_lo, s30, v4
	v_add_co_ci_u32_e32 v15, vcc_lo, s31, v5, vcc_lo
	v_add_co_u32 v4, vcc_lo, s10, v4
	global_load_b64 v[7:8], v[6:7], off
	global_load_b64 v[9:10], v[14:15], off
	v_add_co_ci_u32_e32 v5, vcc_lo, s11, v5, vcc_lo
	v_lshrrev_b32_e32 v6, 3, v2
	global_load_b64 v[4:5], v[4:5], off
	v_and_b32_e32 v6, 0x7fffffc, v6
	global_load_b32 v6, v6, s[0:1]
	s_waitcnt vmcnt(3)
	v_cvt_f32_f16_e32 v11, v7
	s_waitcnt vmcnt(2)
	v_cvt_f32_f16_e32 v12, v9
	v_lshrrev_b32_e32 v7, 16, v7
	v_lshrrev_b32_e32 v9, 16, v9
	s_delay_alu instid0(VALU_DEP_3) | instskip(NEXT) | instid1(VALU_DEP_3)
	v_add_f32_e32 v13, v11, v12
	v_cvt_f32_f16_e32 v7, v7
	s_delay_alu instid0(VALU_DEP_2) | instskip(SKIP_1) | instid1(VALU_DEP_1)
	v_fma_mixlo_f16 v11, v28, v13, 0
	s_waitcnt vmcnt(1)
	v_mul_f16_e32 v11, v4, v11
	s_delay_alu instid0(VALU_DEP_1) | instskip(SKIP_1) | instid1(VALU_DEP_1)
	v_cvt_f32_f16_e32 v11, v11
	s_waitcnt vmcnt(0)
	v_div_scale_f32 v12, null, v6, v6, v11
	v_div_scale_f32 v18, vcc_lo, v11, v6, v11
	s_delay_alu instid0(VALU_DEP_2) | instskip(SKIP_2) | instid1(VALU_DEP_1)
	v_rcp_f32_e32 v16, v12
	s_waitcnt_depctr 0xfff
	v_fma_f32 v17, -v12, v16, 1.0
	v_fmac_f32_e32 v16, v17, v16
	s_delay_alu instid0(VALU_DEP_1) | instskip(NEXT) | instid1(VALU_DEP_1)
	v_mul_f32_e32 v17, v18, v16
	v_fma_f32 v19, -v12, v17, v18
	s_delay_alu instid0(VALU_DEP_1) | instskip(SKIP_2) | instid1(VALU_DEP_3)
	v_fmac_f32_e32 v17, v19, v16
	v_lshrrev_b32_e32 v19, 16, v8
	v_cvt_f32_f16_e32 v8, v8
	v_fma_f32 v12, -v12, v17, v18
	v_lshrrev_b32_e32 v18, 16, v10
	v_cvt_f32_f16_e32 v10, v10
	s_delay_alu instid0(VALU_DEP_3) | instskip(SKIP_1) | instid1(VALU_DEP_4)
	v_div_fmas_f32 v12, v12, v16, v17
	v_cvt_f32_f16_e32 v16, v19
	v_cvt_f32_f16_e32 v17, v18
	;; [unrolled: 1-line block ×3, first 2 shown]
	v_add_f32_e32 v10, v8, v10
	v_div_fixup_f32 v12, v12, v6, v11
	v_cvt_f16_f32_e32 v8, v13
	v_add_f32_e32 v9, v16, v17
	v_add_f32_e32 v11, v7, v18
	v_cvt_f16_f32_e32 v16, v10
	v_minmax_f32 v12, v12, s7, 0xc3600000
	v_mov_b32_e32 v7, 0x80
	v_cvt_f16_f32_e32 v17, v9
	v_cvt_f16_f32_e32 v18, v11
	s_delay_alu instid0(VALU_DEP_4) | instskip(NEXT) | instid1(VALU_DEP_3)
	v_and_b32_e32 v13, 0x7fffffff, v12
	v_pack_b32_f16 v17, v16, v17
	s_delay_alu instid0(VALU_DEP_3)
	v_pack_b32_f16 v16, v8, v18
	v_mov_b32_e32 v8, 0x80
	global_store_b64 v[14:15], v[16:17], off
	v_cmpx_gt_u32_e32 0x43800000, v13
	s_cbranch_execz .LBB46_88
; %bb.83:                               ;   in Loop: Header=BB46_57 Depth=1
	v_cmp_lt_u32_e32 vcc_lo, 0x3bffffff, v13
	s_mov_b32 s13, 0
                                        ; implicit-def: $vgpr13
	s_and_saveexec_b32 s14, vcc_lo
	s_delay_alu instid0(SALU_CYCLE_1)
	s_xor_b32 s14, exec_lo, s14
	s_cbranch_execnz .LBB46_162
; %bb.84:                               ;   in Loop: Header=BB46_57 Depth=1
	s_or_saveexec_b32 s14, s14
                                        ; implicit-def: $sgpr15
	s_delay_alu instid0(SALU_CYCLE_1)
	s_xor_b32 exec_lo, exec_lo, s14
	s_cbranch_execnz .LBB46_163
.LBB46_85:                              ;   in Loop: Header=BB46_57 Depth=1
	s_or_b32 exec_lo, exec_lo, s14
	v_mov_b32_e32 v8, s15
	s_and_saveexec_b32 s14, s13
.LBB46_86:                              ;   in Loop: Header=BB46_57 Depth=1
	v_lshrrev_b32_e32 v8, 24, v12
	s_delay_alu instid0(VALU_DEP_1)
	v_and_or_b32 v8, 0x80, v8, v13
.LBB46_87:                              ;   in Loop: Header=BB46_57 Depth=1
	s_or_b32 exec_lo, exec_lo, s14
.LBB46_88:                              ;   in Loop: Header=BB46_57 Depth=1
	s_delay_alu instid0(SALU_CYCLE_1) | instskip(SKIP_3) | instid1(VALU_DEP_1)
	s_or_b32 exec_lo, exec_lo, s12
	v_lshrrev_b32_e32 v4, 16, v4
	v_fma_mixlo_f16 v11, v28, v11, 0
	s_mov_b32 s12, exec_lo
	v_mul_f16_e32 v4, v4, v11
	s_delay_alu instid0(VALU_DEP_1) | instskip(NEXT) | instid1(VALU_DEP_1)
	v_cvt_f32_f16_e32 v4, v4
	v_div_scale_f32 v11, null, v6, v6, v4
	s_delay_alu instid0(VALU_DEP_1) | instskip(SKIP_2) | instid1(VALU_DEP_1)
	v_rcp_f32_e32 v12, v11
	s_waitcnt_depctr 0xfff
	v_fma_f32 v13, -v11, v12, 1.0
	v_fmac_f32_e32 v12, v13, v12
	v_div_scale_f32 v13, vcc_lo, v4, v6, v4
	s_delay_alu instid0(VALU_DEP_1) | instskip(NEXT) | instid1(VALU_DEP_1)
	v_mul_f32_e32 v14, v13, v12
	v_fma_f32 v15, -v11, v14, v13
	s_delay_alu instid0(VALU_DEP_1) | instskip(NEXT) | instid1(VALU_DEP_1)
	v_fmac_f32_e32 v14, v15, v12
	v_fma_f32 v11, -v11, v14, v13
	s_delay_alu instid0(VALU_DEP_1) | instskip(NEXT) | instid1(VALU_DEP_1)
	v_div_fmas_f32 v11, v11, v12, v14
	v_div_fixup_f32 v4, v11, v6, v4
	s_delay_alu instid0(VALU_DEP_1) | instskip(NEXT) | instid1(VALU_DEP_1)
	v_minmax_f32 v4, v4, s7, 0xc3600000
	v_and_b32_e32 v11, 0x7fffffff, v4
	s_delay_alu instid0(VALU_DEP_1)
	v_cmpx_gt_u32_e32 0x43800000, v11
	s_cbranch_execz .LBB46_94
; %bb.89:                               ;   in Loop: Header=BB46_57 Depth=1
	v_cmp_lt_u32_e32 vcc_lo, 0x3bffffff, v11
	s_mov_b32 s13, 0
                                        ; implicit-def: $vgpr11
	s_and_saveexec_b32 s14, vcc_lo
	s_delay_alu instid0(SALU_CYCLE_1)
	s_xor_b32 s14, exec_lo, s14
	s_cbranch_execnz .LBB46_164
; %bb.90:                               ;   in Loop: Header=BB46_57 Depth=1
	s_or_saveexec_b32 s14, s14
                                        ; implicit-def: $sgpr15
	s_delay_alu instid0(SALU_CYCLE_1)
	s_xor_b32 exec_lo, exec_lo, s14
	s_cbranch_execnz .LBB46_165
.LBB46_91:                              ;   in Loop: Header=BB46_57 Depth=1
	s_or_b32 exec_lo, exec_lo, s14
	v_mov_b32_e32 v7, s15
	s_and_saveexec_b32 s14, s13
.LBB46_92:                              ;   in Loop: Header=BB46_57 Depth=1
	v_lshrrev_b32_e32 v4, 24, v4
	s_delay_alu instid0(VALU_DEP_1)
	v_and_or_b32 v7, 0x80, v4, v11
.LBB46_93:                              ;   in Loop: Header=BB46_57 Depth=1
	s_or_b32 exec_lo, exec_lo, s14
.LBB46_94:                              ;   in Loop: Header=BB46_57 Depth=1
	s_delay_alu instid0(SALU_CYCLE_1) | instskip(SKIP_2) | instid1(VALU_DEP_1)
	s_or_b32 exec_lo, exec_lo, s12
	v_fma_mixlo_f16 v4, v28, v10, 0
	s_mov_b32 s12, exec_lo
	v_mul_f16_e32 v4, v5, v4
	s_delay_alu instid0(VALU_DEP_1) | instskip(NEXT) | instid1(VALU_DEP_1)
	v_cvt_f32_f16_e32 v4, v4
	v_div_scale_f32 v10, null, v6, v6, v4
	v_div_scale_f32 v13, vcc_lo, v4, v6, v4
	s_delay_alu instid0(VALU_DEP_2) | instskip(SKIP_2) | instid1(VALU_DEP_1)
	v_rcp_f32_e32 v11, v10
	s_waitcnt_depctr 0xfff
	v_fma_f32 v12, -v10, v11, 1.0
	v_fmac_f32_e32 v11, v12, v11
	s_delay_alu instid0(VALU_DEP_1) | instskip(NEXT) | instid1(VALU_DEP_1)
	v_mul_f32_e32 v12, v13, v11
	v_fma_f32 v14, -v10, v12, v13
	s_delay_alu instid0(VALU_DEP_1) | instskip(NEXT) | instid1(VALU_DEP_1)
	v_fmac_f32_e32 v12, v14, v11
	v_fma_f32 v10, -v10, v12, v13
	s_delay_alu instid0(VALU_DEP_1) | instskip(NEXT) | instid1(VALU_DEP_1)
	v_div_fmas_f32 v10, v10, v11, v12
	v_div_fixup_f32 v4, v10, v6, v4
	v_mov_b32_e32 v10, 0x80
	s_delay_alu instid0(VALU_DEP_2) | instskip(SKIP_1) | instid1(VALU_DEP_2)
	v_minmax_f32 v11, v4, s7, 0xc3600000
	v_mov_b32_e32 v4, 0x80
	v_and_b32_e32 v12, 0x7fffffff, v11
	s_delay_alu instid0(VALU_DEP_1)
	v_cmpx_gt_u32_e32 0x43800000, v12
	s_cbranch_execz .LBB46_100
; %bb.95:                               ;   in Loop: Header=BB46_57 Depth=1
	v_cmp_lt_u32_e32 vcc_lo, 0x3bffffff, v12
	s_mov_b32 s13, 0
                                        ; implicit-def: $vgpr12
	s_and_saveexec_b32 s14, vcc_lo
	s_delay_alu instid0(SALU_CYCLE_1)
	s_xor_b32 s14, exec_lo, s14
	s_cbranch_execnz .LBB46_166
; %bb.96:                               ;   in Loop: Header=BB46_57 Depth=1
	s_or_saveexec_b32 s14, s14
                                        ; implicit-def: $sgpr15
	s_delay_alu instid0(SALU_CYCLE_1)
	s_xor_b32 exec_lo, exec_lo, s14
	s_cbranch_execnz .LBB46_167
.LBB46_97:                              ;   in Loop: Header=BB46_57 Depth=1
	s_or_b32 exec_lo, exec_lo, s14
	v_mov_b32_e32 v10, s15
	s_and_saveexec_b32 s14, s13
.LBB46_98:                              ;   in Loop: Header=BB46_57 Depth=1
	v_lshrrev_b32_e32 v10, 24, v11
	s_delay_alu instid0(VALU_DEP_1)
	v_and_or_b32 v10, 0x80, v10, v12
.LBB46_99:                              ;   in Loop: Header=BB46_57 Depth=1
	s_or_b32 exec_lo, exec_lo, s14
.LBB46_100:                             ;   in Loop: Header=BB46_57 Depth=1
	s_delay_alu instid0(SALU_CYCLE_1) | instskip(SKIP_3) | instid1(VALU_DEP_1)
	s_or_b32 exec_lo, exec_lo, s12
	v_lshrrev_b32_e32 v5, 16, v5
	v_fma_mixlo_f16 v9, v28, v9, 0
	s_mov_b32 s12, exec_lo
	v_mul_f16_e32 v5, v5, v9
	s_delay_alu instid0(VALU_DEP_1) | instskip(NEXT) | instid1(VALU_DEP_1)
	v_cvt_f32_f16_e32 v5, v5
	v_div_scale_f32 v9, null, v6, v6, v5
	s_delay_alu instid0(VALU_DEP_1) | instskip(SKIP_2) | instid1(VALU_DEP_1)
	v_rcp_f32_e32 v11, v9
	s_waitcnt_depctr 0xfff
	v_fma_f32 v12, -v9, v11, 1.0
	v_fmac_f32_e32 v11, v12, v11
	v_div_scale_f32 v12, vcc_lo, v5, v6, v5
	s_delay_alu instid0(VALU_DEP_1) | instskip(NEXT) | instid1(VALU_DEP_1)
	v_mul_f32_e32 v13, v12, v11
	v_fma_f32 v14, -v9, v13, v12
	s_delay_alu instid0(VALU_DEP_1) | instskip(NEXT) | instid1(VALU_DEP_1)
	v_fmac_f32_e32 v13, v14, v11
	v_fma_f32 v9, -v9, v13, v12
	s_delay_alu instid0(VALU_DEP_1) | instskip(NEXT) | instid1(VALU_DEP_1)
	v_div_fmas_f32 v9, v9, v11, v13
	v_div_fixup_f32 v5, v9, v6, v5
	s_delay_alu instid0(VALU_DEP_1) | instskip(NEXT) | instid1(VALU_DEP_1)
	v_minmax_f32 v5, v5, s7, 0xc3600000
	v_and_b32_e32 v6, 0x7fffffff, v5
	s_delay_alu instid0(VALU_DEP_1)
	v_cmpx_gt_u32_e32 0x43800000, v6
	s_cbranch_execz .LBB46_106
; %bb.101:                              ;   in Loop: Header=BB46_57 Depth=1
	v_cmp_lt_u32_e32 vcc_lo, 0x3bffffff, v6
	s_mov_b32 s13, 0
                                        ; implicit-def: $vgpr6
	s_and_saveexec_b32 s14, vcc_lo
	s_delay_alu instid0(SALU_CYCLE_1)
	s_xor_b32 s14, exec_lo, s14
	s_cbranch_execnz .LBB46_168
; %bb.102:                              ;   in Loop: Header=BB46_57 Depth=1
	s_or_saveexec_b32 s14, s14
                                        ; implicit-def: $sgpr15
	s_delay_alu instid0(SALU_CYCLE_1)
	s_xor_b32 exec_lo, exec_lo, s14
	s_cbranch_execnz .LBB46_169
.LBB46_103:                             ;   in Loop: Header=BB46_57 Depth=1
	s_or_b32 exec_lo, exec_lo, s14
	v_mov_b32_e32 v4, s15
	s_and_saveexec_b32 s14, s13
.LBB46_104:                             ;   in Loop: Header=BB46_57 Depth=1
	v_lshrrev_b32_e32 v4, 24, v5
	s_delay_alu instid0(VALU_DEP_1)
	v_and_or_b32 v4, 0x80, v4, v6
.LBB46_105:                             ;   in Loop: Header=BB46_57 Depth=1
	s_or_b32 exec_lo, exec_lo, s14
.LBB46_106:                             ;   in Loop: Header=BB46_57 Depth=1
	s_delay_alu instid0(SALU_CYCLE_1)
	s_or_b32 exec_lo, exec_lo, s12
	v_lshlrev_b32_e32 v9, 16, v10
	v_lshlrev_b32_e32 v7, 8, v7
	v_lshlrev_b64 v[5:6], 2, v[2:3]
	v_and_b32_e32 v8, 0xff, v8
	v_add_nc_u32_e32 v3, s5, v0
	v_perm_b32 v9, v4, v9, 0x4020c0c
	v_and_b32_e32 v7, 0xff00, v7
	s_mov_b32 s13, -1
	v_add_co_u32 v4, vcc_lo, s2, v5
	v_add_co_ci_u32_e32 v5, vcc_lo, s3, v6, vcc_lo
	s_delay_alu instid0(VALU_DEP_3)
	v_or3_b32 v6, v9, v7, v8
	s_mov_b32 s12, exec_lo
	global_store_b32 v[4:5], v6, off
	v_cmpx_gt_u32_e64 s8, v3
	s_cbranch_execz .LBB46_55
; %bb.107:                              ;   in Loop: Header=BB46_57 Depth=1
	v_mov_b32_e32 v4, v1
	s_mov_b32 s13, exec_lo
	s_delay_alu instid0(VALU_DEP_1) | instskip(NEXT) | instid1(VALU_DEP_1)
	v_lshlrev_b64 v[5:6], 3, v[3:4]
	v_add_co_u32 v7, vcc_lo, s28, v5
	s_delay_alu instid0(VALU_DEP_2)
	v_add_co_ci_u32_e32 v8, vcc_lo, s29, v6, vcc_lo
	v_add_co_u32 v15, vcc_lo, s30, v5
	v_add_co_ci_u32_e32 v16, vcc_lo, s31, v6, vcc_lo
	v_add_co_u32 v5, vcc_lo, s10, v5
	global_load_b64 v[8:9], v[7:8], off
	global_load_b64 v[10:11], v[15:16], off
	v_add_co_ci_u32_e32 v6, vcc_lo, s11, v6, vcc_lo
	v_lshrrev_b32_e32 v7, 3, v3
	global_load_b64 v[5:6], v[5:6], off
	v_and_b32_e32 v7, 0x7fffffc, v7
	global_load_b32 v7, v7, s[0:1]
	s_waitcnt vmcnt(3)
	v_cvt_f32_f16_e32 v12, v8
	s_waitcnt vmcnt(2)
	v_cvt_f32_f16_e32 v13, v10
	v_lshrrev_b32_e32 v8, 16, v8
	v_lshrrev_b32_e32 v10, 16, v10
	s_delay_alu instid0(VALU_DEP_3) | instskip(NEXT) | instid1(VALU_DEP_3)
	v_add_f32_e32 v14, v12, v13
	v_cvt_f32_f16_e32 v8, v8
	s_delay_alu instid0(VALU_DEP_2) | instskip(SKIP_1) | instid1(VALU_DEP_1)
	v_fma_mixlo_f16 v12, v28, v14, 0
	s_waitcnt vmcnt(1)
	v_mul_f16_e32 v12, v5, v12
	s_delay_alu instid0(VALU_DEP_1) | instskip(SKIP_1) | instid1(VALU_DEP_1)
	v_cvt_f32_f16_e32 v12, v12
	s_waitcnt vmcnt(0)
	v_div_scale_f32 v13, null, v7, v7, v12
	v_div_scale_f32 v19, vcc_lo, v12, v7, v12
	s_delay_alu instid0(VALU_DEP_2) | instskip(SKIP_2) | instid1(VALU_DEP_1)
	v_rcp_f32_e32 v17, v13
	s_waitcnt_depctr 0xfff
	v_fma_f32 v18, -v13, v17, 1.0
	v_fmac_f32_e32 v17, v18, v17
	s_delay_alu instid0(VALU_DEP_1) | instskip(NEXT) | instid1(VALU_DEP_1)
	v_mul_f32_e32 v18, v19, v17
	v_fma_f32 v20, -v13, v18, v19
	s_delay_alu instid0(VALU_DEP_1) | instskip(SKIP_2) | instid1(VALU_DEP_3)
	v_fmac_f32_e32 v18, v20, v17
	v_lshrrev_b32_e32 v20, 16, v9
	v_cvt_f32_f16_e32 v9, v9
	v_fma_f32 v13, -v13, v18, v19
	v_lshrrev_b32_e32 v19, 16, v11
	v_cvt_f32_f16_e32 v11, v11
	s_delay_alu instid0(VALU_DEP_3) | instskip(SKIP_1) | instid1(VALU_DEP_4)
	v_div_fmas_f32 v13, v13, v17, v18
	v_cvt_f32_f16_e32 v17, v20
	v_cvt_f32_f16_e32 v18, v19
	;; [unrolled: 1-line block ×3, first 2 shown]
	v_add_f32_e32 v11, v9, v11
	v_div_fixup_f32 v13, v13, v7, v12
	v_cvt_f16_f32_e32 v9, v14
	v_add_f32_e32 v10, v17, v18
	v_add_f32_e32 v12, v8, v19
	v_cvt_f16_f32_e32 v17, v11
	v_minmax_f32 v13, v13, s7, 0xc3600000
	v_mov_b32_e32 v8, 0x80
	v_cvt_f16_f32_e32 v18, v10
	v_cvt_f16_f32_e32 v19, v12
	s_delay_alu instid0(VALU_DEP_4) | instskip(NEXT) | instid1(VALU_DEP_3)
	v_and_b32_e32 v14, 0x7fffffff, v13
	v_pack_b32_f16 v18, v17, v18
	s_delay_alu instid0(VALU_DEP_3)
	v_pack_b32_f16 v17, v9, v19
	v_mov_b32_e32 v9, 0x80
	global_store_b64 v[15:16], v[17:18], off
	v_cmpx_gt_u32_e32 0x43800000, v14
	s_cbranch_execz .LBB46_113
; %bb.108:                              ;   in Loop: Header=BB46_57 Depth=1
	v_cmp_lt_u32_e32 vcc_lo, 0x3bffffff, v14
	s_mov_b32 s14, 0
                                        ; implicit-def: $vgpr14
	s_and_saveexec_b32 s15, vcc_lo
	s_delay_alu instid0(SALU_CYCLE_1)
	s_xor_b32 s15, exec_lo, s15
	s_cbranch_execnz .LBB46_170
; %bb.109:                              ;   in Loop: Header=BB46_57 Depth=1
	s_or_saveexec_b32 s15, s15
                                        ; implicit-def: $sgpr16
	s_delay_alu instid0(SALU_CYCLE_1)
	s_xor_b32 exec_lo, exec_lo, s15
	s_cbranch_execnz .LBB46_171
.LBB46_110:                             ;   in Loop: Header=BB46_57 Depth=1
	s_or_b32 exec_lo, exec_lo, s15
	v_mov_b32_e32 v9, s16
	s_and_saveexec_b32 s15, s14
.LBB46_111:                             ;   in Loop: Header=BB46_57 Depth=1
	v_lshrrev_b32_e32 v9, 24, v13
	s_delay_alu instid0(VALU_DEP_1)
	v_and_or_b32 v9, 0x80, v9, v14
.LBB46_112:                             ;   in Loop: Header=BB46_57 Depth=1
	s_or_b32 exec_lo, exec_lo, s15
.LBB46_113:                             ;   in Loop: Header=BB46_57 Depth=1
	s_delay_alu instid0(SALU_CYCLE_1) | instskip(SKIP_3) | instid1(VALU_DEP_1)
	s_or_b32 exec_lo, exec_lo, s13
	v_lshrrev_b32_e32 v5, 16, v5
	v_fma_mixlo_f16 v12, v28, v12, 0
	s_mov_b32 s13, exec_lo
	v_mul_f16_e32 v5, v5, v12
	s_delay_alu instid0(VALU_DEP_1) | instskip(NEXT) | instid1(VALU_DEP_1)
	v_cvt_f32_f16_e32 v5, v5
	v_div_scale_f32 v12, null, v7, v7, v5
	s_delay_alu instid0(VALU_DEP_1) | instskip(SKIP_2) | instid1(VALU_DEP_1)
	v_rcp_f32_e32 v13, v12
	s_waitcnt_depctr 0xfff
	v_fma_f32 v14, -v12, v13, 1.0
	v_fmac_f32_e32 v13, v14, v13
	v_div_scale_f32 v14, vcc_lo, v5, v7, v5
	s_delay_alu instid0(VALU_DEP_1) | instskip(NEXT) | instid1(VALU_DEP_1)
	v_mul_f32_e32 v15, v14, v13
	v_fma_f32 v16, -v12, v15, v14
	s_delay_alu instid0(VALU_DEP_1) | instskip(NEXT) | instid1(VALU_DEP_1)
	v_fmac_f32_e32 v15, v16, v13
	v_fma_f32 v12, -v12, v15, v14
	s_delay_alu instid0(VALU_DEP_1) | instskip(NEXT) | instid1(VALU_DEP_1)
	v_div_fmas_f32 v12, v12, v13, v15
	v_div_fixup_f32 v5, v12, v7, v5
	s_delay_alu instid0(VALU_DEP_1) | instskip(NEXT) | instid1(VALU_DEP_1)
	v_minmax_f32 v5, v5, s7, 0xc3600000
	v_and_b32_e32 v12, 0x7fffffff, v5
	s_delay_alu instid0(VALU_DEP_1)
	v_cmpx_gt_u32_e32 0x43800000, v12
	s_cbranch_execz .LBB46_119
; %bb.114:                              ;   in Loop: Header=BB46_57 Depth=1
	v_cmp_lt_u32_e32 vcc_lo, 0x3bffffff, v12
	s_mov_b32 s14, 0
                                        ; implicit-def: $vgpr12
	s_and_saveexec_b32 s15, vcc_lo
	s_delay_alu instid0(SALU_CYCLE_1)
	s_xor_b32 s15, exec_lo, s15
	s_cbranch_execnz .LBB46_172
; %bb.115:                              ;   in Loop: Header=BB46_57 Depth=1
	s_or_saveexec_b32 s15, s15
                                        ; implicit-def: $sgpr16
	s_delay_alu instid0(SALU_CYCLE_1)
	s_xor_b32 exec_lo, exec_lo, s15
	s_cbranch_execnz .LBB46_173
.LBB46_116:                             ;   in Loop: Header=BB46_57 Depth=1
	s_or_b32 exec_lo, exec_lo, s15
	v_mov_b32_e32 v8, s16
	s_and_saveexec_b32 s15, s14
.LBB46_117:                             ;   in Loop: Header=BB46_57 Depth=1
	v_lshrrev_b32_e32 v5, 24, v5
	s_delay_alu instid0(VALU_DEP_1)
	v_and_or_b32 v8, 0x80, v5, v12
.LBB46_118:                             ;   in Loop: Header=BB46_57 Depth=1
	s_or_b32 exec_lo, exec_lo, s15
.LBB46_119:                             ;   in Loop: Header=BB46_57 Depth=1
	s_delay_alu instid0(SALU_CYCLE_1) | instskip(SKIP_2) | instid1(VALU_DEP_1)
	s_or_b32 exec_lo, exec_lo, s13
	v_fma_mixlo_f16 v5, v28, v11, 0
	s_mov_b32 s13, exec_lo
	v_mul_f16_e32 v5, v6, v5
	s_delay_alu instid0(VALU_DEP_1) | instskip(NEXT) | instid1(VALU_DEP_1)
	v_cvt_f32_f16_e32 v5, v5
	v_div_scale_f32 v11, null, v7, v7, v5
	v_div_scale_f32 v14, vcc_lo, v5, v7, v5
	s_delay_alu instid0(VALU_DEP_2) | instskip(SKIP_2) | instid1(VALU_DEP_1)
	v_rcp_f32_e32 v12, v11
	s_waitcnt_depctr 0xfff
	v_fma_f32 v13, -v11, v12, 1.0
	v_fmac_f32_e32 v12, v13, v12
	s_delay_alu instid0(VALU_DEP_1) | instskip(NEXT) | instid1(VALU_DEP_1)
	v_mul_f32_e32 v13, v14, v12
	v_fma_f32 v15, -v11, v13, v14
	s_delay_alu instid0(VALU_DEP_1) | instskip(NEXT) | instid1(VALU_DEP_1)
	v_fmac_f32_e32 v13, v15, v12
	v_fma_f32 v11, -v11, v13, v14
	s_delay_alu instid0(VALU_DEP_1) | instskip(NEXT) | instid1(VALU_DEP_1)
	v_div_fmas_f32 v11, v11, v12, v13
	v_div_fixup_f32 v5, v11, v7, v5
	v_mov_b32_e32 v11, 0x80
	s_delay_alu instid0(VALU_DEP_2) | instskip(SKIP_1) | instid1(VALU_DEP_2)
	v_minmax_f32 v12, v5, s7, 0xc3600000
	v_mov_b32_e32 v5, 0x80
	v_and_b32_e32 v13, 0x7fffffff, v12
	s_delay_alu instid0(VALU_DEP_1)
	v_cmpx_gt_u32_e32 0x43800000, v13
	s_cbranch_execz .LBB46_125
; %bb.120:                              ;   in Loop: Header=BB46_57 Depth=1
	v_cmp_lt_u32_e32 vcc_lo, 0x3bffffff, v13
	s_mov_b32 s14, 0
                                        ; implicit-def: $vgpr13
	s_and_saveexec_b32 s15, vcc_lo
	s_delay_alu instid0(SALU_CYCLE_1)
	s_xor_b32 s15, exec_lo, s15
	s_cbranch_execnz .LBB46_174
; %bb.121:                              ;   in Loop: Header=BB46_57 Depth=1
	s_or_saveexec_b32 s15, s15
                                        ; implicit-def: $sgpr16
	s_delay_alu instid0(SALU_CYCLE_1)
	s_xor_b32 exec_lo, exec_lo, s15
	s_cbranch_execnz .LBB46_175
.LBB46_122:                             ;   in Loop: Header=BB46_57 Depth=1
	s_or_b32 exec_lo, exec_lo, s15
	v_mov_b32_e32 v11, s16
	s_and_saveexec_b32 s15, s14
.LBB46_123:                             ;   in Loop: Header=BB46_57 Depth=1
	v_lshrrev_b32_e32 v11, 24, v12
	s_delay_alu instid0(VALU_DEP_1)
	v_and_or_b32 v11, 0x80, v11, v13
.LBB46_124:                             ;   in Loop: Header=BB46_57 Depth=1
	s_or_b32 exec_lo, exec_lo, s15
.LBB46_125:                             ;   in Loop: Header=BB46_57 Depth=1
	s_delay_alu instid0(SALU_CYCLE_1) | instskip(SKIP_3) | instid1(VALU_DEP_1)
	s_or_b32 exec_lo, exec_lo, s13
	v_lshrrev_b32_e32 v6, 16, v6
	v_fma_mixlo_f16 v10, v28, v10, 0
	s_mov_b32 s13, exec_lo
	v_mul_f16_e32 v6, v6, v10
	s_delay_alu instid0(VALU_DEP_1) | instskip(NEXT) | instid1(VALU_DEP_1)
	v_cvt_f32_f16_e32 v6, v6
	v_div_scale_f32 v10, null, v7, v7, v6
	s_delay_alu instid0(VALU_DEP_1) | instskip(SKIP_2) | instid1(VALU_DEP_1)
	v_rcp_f32_e32 v12, v10
	s_waitcnt_depctr 0xfff
	v_fma_f32 v13, -v10, v12, 1.0
	v_fmac_f32_e32 v12, v13, v12
	v_div_scale_f32 v13, vcc_lo, v6, v7, v6
	s_delay_alu instid0(VALU_DEP_1) | instskip(NEXT) | instid1(VALU_DEP_1)
	v_mul_f32_e32 v14, v13, v12
	v_fma_f32 v15, -v10, v14, v13
	s_delay_alu instid0(VALU_DEP_1) | instskip(NEXT) | instid1(VALU_DEP_1)
	v_fmac_f32_e32 v14, v15, v12
	v_fma_f32 v10, -v10, v14, v13
	s_delay_alu instid0(VALU_DEP_1) | instskip(NEXT) | instid1(VALU_DEP_1)
	v_div_fmas_f32 v10, v10, v12, v14
	v_div_fixup_f32 v6, v10, v7, v6
	s_delay_alu instid0(VALU_DEP_1) | instskip(NEXT) | instid1(VALU_DEP_1)
	v_minmax_f32 v6, v6, s7, 0xc3600000
	v_and_b32_e32 v7, 0x7fffffff, v6
	s_delay_alu instid0(VALU_DEP_1)
	v_cmpx_gt_u32_e32 0x43800000, v7
	s_cbranch_execz .LBB46_131
; %bb.126:                              ;   in Loop: Header=BB46_57 Depth=1
	v_cmp_lt_u32_e32 vcc_lo, 0x3bffffff, v7
	s_mov_b32 s14, 0
                                        ; implicit-def: $vgpr7
	s_and_saveexec_b32 s15, vcc_lo
	s_delay_alu instid0(SALU_CYCLE_1)
	s_xor_b32 s15, exec_lo, s15
	s_cbranch_execnz .LBB46_176
; %bb.127:                              ;   in Loop: Header=BB46_57 Depth=1
	s_or_saveexec_b32 s15, s15
                                        ; implicit-def: $sgpr16
	s_delay_alu instid0(SALU_CYCLE_1)
	s_xor_b32 exec_lo, exec_lo, s15
	s_cbranch_execnz .LBB46_177
.LBB46_128:                             ;   in Loop: Header=BB46_57 Depth=1
	s_or_b32 exec_lo, exec_lo, s15
	v_mov_b32_e32 v5, s16
	s_and_saveexec_b32 s15, s14
.LBB46_129:                             ;   in Loop: Header=BB46_57 Depth=1
	v_lshrrev_b32_e32 v5, 24, v6
	s_delay_alu instid0(VALU_DEP_1)
	v_and_or_b32 v5, 0x80, v5, v7
.LBB46_130:                             ;   in Loop: Header=BB46_57 Depth=1
	s_or_b32 exec_lo, exec_lo, s15
.LBB46_131:                             ;   in Loop: Header=BB46_57 Depth=1
	s_delay_alu instid0(SALU_CYCLE_1)
	s_or_b32 exec_lo, exec_lo, s13
	v_lshlrev_b32_e32 v6, 16, v11
	v_lshlrev_b32_e32 v7, 8, v8
	v_lshlrev_b64 v[3:4], 2, v[3:4]
	v_and_b32_e32 v8, 0xff, v9
	v_add_nc_u32_e32 v0, s4, v0
	v_perm_b32 v5, v5, v6, 0x4020c0c
	v_and_b32_e32 v6, 0xff00, v7
	s_mov_b32 s14, -1
	v_add_co_u32 v3, vcc_lo, s2, v3
	v_add_co_ci_u32_e32 v4, vcc_lo, s3, v4, vcc_lo
	s_delay_alu instid0(VALU_DEP_3)
	v_or3_b32 v5, v5, v6, v8
	s_mov_b32 s13, exec_lo
	global_store_b32 v[3:4], v5, off
	v_cmpx_gt_u32_e64 s8, v0
	s_cbranch_execz .LBB46_54
; %bb.132:                              ;   in Loop: Header=BB46_57 Depth=1
	v_lshlrev_b64 v[3:4], 3, v[0:1]
	s_mov_b32 s14, exec_lo
	s_delay_alu instid0(VALU_DEP_1) | instskip(NEXT) | instid1(VALU_DEP_2)
	v_add_co_u32 v5, vcc_lo, s28, v3
	v_add_co_ci_u32_e32 v6, vcc_lo, s29, v4, vcc_lo
	v_add_co_u32 v13, vcc_lo, s30, v3
	v_add_co_ci_u32_e32 v14, vcc_lo, s31, v4, vcc_lo
	v_add_co_u32 v3, vcc_lo, s10, v3
	global_load_b64 v[6:7], v[5:6], off
	global_load_b64 v[8:9], v[13:14], off
	v_add_co_ci_u32_e32 v4, vcc_lo, s11, v4, vcc_lo
	v_lshrrev_b32_e32 v5, 3, v0
	global_load_b64 v[3:4], v[3:4], off
	s_waitcnt vmcnt(2)
	v_cvt_f32_f16_e32 v10, v6
	s_waitcnt vmcnt(1)
	v_cvt_f32_f16_e32 v11, v8
	v_and_b32_e32 v5, 0x7fffffc, v5
	v_lshrrev_b32_e32 v6, 16, v6
	v_lshrrev_b32_e32 v8, 16, v8
	s_delay_alu instid0(VALU_DEP_4) | instskip(SKIP_4) | instid1(VALU_DEP_1)
	v_add_f32_e32 v12, v10, v11
	global_load_b32 v5, v5, s[0:1]
	v_cvt_f32_f16_e32 v6, v6
	v_fma_mixlo_f16 v10, v28, v12, 0
	s_waitcnt vmcnt(1)
	v_mul_f16_e32 v10, v3, v10
	s_delay_alu instid0(VALU_DEP_1) | instskip(SKIP_1) | instid1(VALU_DEP_1)
	v_cvt_f32_f16_e32 v10, v10
	s_waitcnt vmcnt(0)
	v_div_scale_f32 v11, null, v5, v5, v10
	v_div_scale_f32 v17, vcc_lo, v10, v5, v10
	s_delay_alu instid0(VALU_DEP_2) | instskip(SKIP_2) | instid1(VALU_DEP_1)
	v_rcp_f32_e32 v15, v11
	s_waitcnt_depctr 0xfff
	v_fma_f32 v16, -v11, v15, 1.0
	v_fmac_f32_e32 v15, v16, v15
	s_delay_alu instid0(VALU_DEP_1) | instskip(NEXT) | instid1(VALU_DEP_1)
	v_mul_f32_e32 v16, v17, v15
	v_fma_f32 v18, -v11, v16, v17
	s_delay_alu instid0(VALU_DEP_1) | instskip(SKIP_2) | instid1(VALU_DEP_3)
	v_fmac_f32_e32 v16, v18, v15
	v_lshrrev_b32_e32 v18, 16, v7
	v_cvt_f32_f16_e32 v7, v7
	v_fma_f32 v11, -v11, v16, v17
	v_lshrrev_b32_e32 v17, 16, v9
	v_cvt_f32_f16_e32 v9, v9
	s_delay_alu instid0(VALU_DEP_1)
	v_add_f32_e32 v9, v7, v9
	v_mov_b32_e32 v7, 0x80
	v_div_fmas_f32 v11, v11, v15, v16
	v_cvt_f32_f16_e32 v15, v18
	v_cvt_f32_f16_e32 v16, v17
	;; [unrolled: 1-line block ×3, first 2 shown]
	s_delay_alu instid0(VALU_DEP_4) | instskip(NEXT) | instid1(VALU_DEP_3)
	v_div_fixup_f32 v11, v11, v5, v10
	v_add_f32_e32 v8, v15, v16
	s_delay_alu instid0(VALU_DEP_3) | instskip(SKIP_1) | instid1(VALU_DEP_4)
	v_add_f32_e32 v10, v6, v17
	v_cvt_f16_f32_e32 v6, v12
	v_minmax_f32 v11, v11, s7, 0xc3600000
	v_cvt_f16_f32_e32 v15, v9
	v_cvt_f16_f32_e32 v16, v8
	;; [unrolled: 1-line block ×3, first 2 shown]
	s_delay_alu instid0(VALU_DEP_4) | instskip(NEXT) | instid1(VALU_DEP_3)
	v_and_b32_e32 v12, 0x7fffffff, v11
	v_pack_b32_f16 v16, v15, v16
	s_delay_alu instid0(VALU_DEP_3)
	v_pack_b32_f16 v15, v6, v17
	v_mov_b32_e32 v6, 0x80
	global_store_b64 v[13:14], v[15:16], off
	v_cmpx_gt_u32_e32 0x43800000, v12
	s_cbranch_execz .LBB46_138
; %bb.133:                              ;   in Loop: Header=BB46_57 Depth=1
	v_cmp_lt_u32_e32 vcc_lo, 0x3bffffff, v12
	s_mov_b32 s15, 0
                                        ; implicit-def: $vgpr12
	s_and_saveexec_b32 s16, vcc_lo
	s_delay_alu instid0(SALU_CYCLE_1)
	s_xor_b32 s16, exec_lo, s16
	s_cbranch_execnz .LBB46_178
; %bb.134:                              ;   in Loop: Header=BB46_57 Depth=1
	s_or_saveexec_b32 s16, s16
                                        ; implicit-def: $sgpr17
	s_delay_alu instid0(SALU_CYCLE_1)
	s_xor_b32 exec_lo, exec_lo, s16
	s_cbranch_execnz .LBB46_179
.LBB46_135:                             ;   in Loop: Header=BB46_57 Depth=1
	s_or_b32 exec_lo, exec_lo, s16
	v_mov_b32_e32 v6, s17
	s_and_saveexec_b32 s16, s15
.LBB46_136:                             ;   in Loop: Header=BB46_57 Depth=1
	v_lshrrev_b32_e32 v6, 24, v11
	s_delay_alu instid0(VALU_DEP_1)
	v_and_or_b32 v6, 0x80, v6, v12
.LBB46_137:                             ;   in Loop: Header=BB46_57 Depth=1
	s_or_b32 exec_lo, exec_lo, s16
.LBB46_138:                             ;   in Loop: Header=BB46_57 Depth=1
	s_delay_alu instid0(SALU_CYCLE_1) | instskip(SKIP_3) | instid1(VALU_DEP_1)
	s_or_b32 exec_lo, exec_lo, s14
	v_lshrrev_b32_e32 v3, 16, v3
	v_fma_mixlo_f16 v10, v28, v10, 0
	s_mov_b32 s14, exec_lo
	v_mul_f16_e32 v3, v3, v10
	s_delay_alu instid0(VALU_DEP_1) | instskip(NEXT) | instid1(VALU_DEP_1)
	v_cvt_f32_f16_e32 v3, v3
	v_div_scale_f32 v10, null, v5, v5, v3
	s_delay_alu instid0(VALU_DEP_1) | instskip(SKIP_2) | instid1(VALU_DEP_1)
	v_rcp_f32_e32 v11, v10
	s_waitcnt_depctr 0xfff
	v_fma_f32 v12, -v10, v11, 1.0
	v_fmac_f32_e32 v11, v12, v11
	v_div_scale_f32 v12, vcc_lo, v3, v5, v3
	s_delay_alu instid0(VALU_DEP_1) | instskip(NEXT) | instid1(VALU_DEP_1)
	v_mul_f32_e32 v13, v12, v11
	v_fma_f32 v14, -v10, v13, v12
	s_delay_alu instid0(VALU_DEP_1) | instskip(NEXT) | instid1(VALU_DEP_1)
	v_fmac_f32_e32 v13, v14, v11
	v_fma_f32 v10, -v10, v13, v12
	s_delay_alu instid0(VALU_DEP_1) | instskip(NEXT) | instid1(VALU_DEP_1)
	v_div_fmas_f32 v10, v10, v11, v13
	v_div_fixup_f32 v3, v10, v5, v3
	s_delay_alu instid0(VALU_DEP_1) | instskip(NEXT) | instid1(VALU_DEP_1)
	v_minmax_f32 v3, v3, s7, 0xc3600000
	v_and_b32_e32 v10, 0x7fffffff, v3
	s_delay_alu instid0(VALU_DEP_1)
	v_cmpx_gt_u32_e32 0x43800000, v10
	s_cbranch_execz .LBB46_144
; %bb.139:                              ;   in Loop: Header=BB46_57 Depth=1
	v_cmp_lt_u32_e32 vcc_lo, 0x3bffffff, v10
	s_mov_b32 s15, 0
                                        ; implicit-def: $vgpr10
	s_and_saveexec_b32 s16, vcc_lo
	s_delay_alu instid0(SALU_CYCLE_1)
	s_xor_b32 s16, exec_lo, s16
	s_cbranch_execnz .LBB46_180
; %bb.140:                              ;   in Loop: Header=BB46_57 Depth=1
	s_or_saveexec_b32 s16, s16
                                        ; implicit-def: $sgpr17
	s_delay_alu instid0(SALU_CYCLE_1)
	s_xor_b32 exec_lo, exec_lo, s16
	s_cbranch_execnz .LBB46_181
.LBB46_141:                             ;   in Loop: Header=BB46_57 Depth=1
	s_or_b32 exec_lo, exec_lo, s16
	v_mov_b32_e32 v7, s17
	s_and_saveexec_b32 s16, s15
.LBB46_142:                             ;   in Loop: Header=BB46_57 Depth=1
	v_lshrrev_b32_e32 v3, 24, v3
	s_delay_alu instid0(VALU_DEP_1)
	v_and_or_b32 v7, 0x80, v3, v10
.LBB46_143:                             ;   in Loop: Header=BB46_57 Depth=1
	s_or_b32 exec_lo, exec_lo, s16
.LBB46_144:                             ;   in Loop: Header=BB46_57 Depth=1
	s_delay_alu instid0(SALU_CYCLE_1) | instskip(SKIP_2) | instid1(VALU_DEP_1)
	s_or_b32 exec_lo, exec_lo, s14
	v_fma_mixlo_f16 v3, v28, v9, 0
	s_mov_b32 s14, exec_lo
	v_mul_f16_e32 v3, v4, v3
	s_delay_alu instid0(VALU_DEP_1) | instskip(NEXT) | instid1(VALU_DEP_1)
	v_cvt_f32_f16_e32 v3, v3
	v_div_scale_f32 v9, null, v5, v5, v3
	v_div_scale_f32 v12, vcc_lo, v3, v5, v3
	s_delay_alu instid0(VALU_DEP_2) | instskip(SKIP_2) | instid1(VALU_DEP_1)
	v_rcp_f32_e32 v10, v9
	s_waitcnt_depctr 0xfff
	v_fma_f32 v11, -v9, v10, 1.0
	v_fmac_f32_e32 v10, v11, v10
	s_delay_alu instid0(VALU_DEP_1) | instskip(NEXT) | instid1(VALU_DEP_1)
	v_mul_f32_e32 v11, v12, v10
	v_fma_f32 v13, -v9, v11, v12
	s_delay_alu instid0(VALU_DEP_1) | instskip(NEXT) | instid1(VALU_DEP_1)
	v_fmac_f32_e32 v11, v13, v10
	v_fma_f32 v9, -v9, v11, v12
	s_delay_alu instid0(VALU_DEP_1) | instskip(NEXT) | instid1(VALU_DEP_1)
	v_div_fmas_f32 v9, v9, v10, v11
	v_div_fixup_f32 v3, v9, v5, v3
	v_mov_b32_e32 v9, 0x80
	s_delay_alu instid0(VALU_DEP_2) | instskip(SKIP_1) | instid1(VALU_DEP_2)
	v_minmax_f32 v10, v3, s7, 0xc3600000
	v_mov_b32_e32 v3, 0x80
	v_and_b32_e32 v11, 0x7fffffff, v10
	s_delay_alu instid0(VALU_DEP_1)
	v_cmpx_gt_u32_e32 0x43800000, v11
	s_cbranch_execz .LBB46_150
; %bb.145:                              ;   in Loop: Header=BB46_57 Depth=1
	v_cmp_lt_u32_e32 vcc_lo, 0x3bffffff, v11
	s_mov_b32 s15, 0
                                        ; implicit-def: $vgpr11
	s_and_saveexec_b32 s16, vcc_lo
	s_delay_alu instid0(SALU_CYCLE_1)
	s_xor_b32 s16, exec_lo, s16
	s_cbranch_execnz .LBB46_182
; %bb.146:                              ;   in Loop: Header=BB46_57 Depth=1
	s_or_saveexec_b32 s16, s16
                                        ; implicit-def: $sgpr17
	s_delay_alu instid0(SALU_CYCLE_1)
	s_xor_b32 exec_lo, exec_lo, s16
	s_cbranch_execnz .LBB46_183
.LBB46_147:                             ;   in Loop: Header=BB46_57 Depth=1
	s_or_b32 exec_lo, exec_lo, s16
	v_mov_b32_e32 v9, s17
	s_and_saveexec_b32 s16, s15
.LBB46_148:                             ;   in Loop: Header=BB46_57 Depth=1
	v_lshrrev_b32_e32 v9, 24, v10
	s_delay_alu instid0(VALU_DEP_1)
	v_and_or_b32 v9, 0x80, v9, v11
.LBB46_149:                             ;   in Loop: Header=BB46_57 Depth=1
	s_or_b32 exec_lo, exec_lo, s16
.LBB46_150:                             ;   in Loop: Header=BB46_57 Depth=1
	s_delay_alu instid0(SALU_CYCLE_1) | instskip(SKIP_3) | instid1(VALU_DEP_1)
	s_or_b32 exec_lo, exec_lo, s14
	v_lshrrev_b32_e32 v4, 16, v4
	v_fma_mixlo_f16 v8, v28, v8, 0
	s_mov_b32 s14, exec_lo
	v_mul_f16_e32 v4, v4, v8
	s_delay_alu instid0(VALU_DEP_1) | instskip(NEXT) | instid1(VALU_DEP_1)
	v_cvt_f32_f16_e32 v4, v4
	v_div_scale_f32 v8, null, v5, v5, v4
	s_delay_alu instid0(VALU_DEP_1) | instskip(SKIP_2) | instid1(VALU_DEP_1)
	v_rcp_f32_e32 v10, v8
	s_waitcnt_depctr 0xfff
	v_fma_f32 v11, -v8, v10, 1.0
	v_fmac_f32_e32 v10, v11, v10
	v_div_scale_f32 v11, vcc_lo, v4, v5, v4
	s_delay_alu instid0(VALU_DEP_1) | instskip(NEXT) | instid1(VALU_DEP_1)
	v_mul_f32_e32 v12, v11, v10
	v_fma_f32 v13, -v8, v12, v11
	s_delay_alu instid0(VALU_DEP_1) | instskip(NEXT) | instid1(VALU_DEP_1)
	v_fmac_f32_e32 v12, v13, v10
	v_fma_f32 v8, -v8, v12, v11
	s_delay_alu instid0(VALU_DEP_1) | instskip(NEXT) | instid1(VALU_DEP_1)
	v_div_fmas_f32 v8, v8, v10, v12
	v_div_fixup_f32 v4, v8, v5, v4
	s_delay_alu instid0(VALU_DEP_1) | instskip(NEXT) | instid1(VALU_DEP_1)
	v_minmax_f32 v4, v4, s7, 0xc3600000
	v_and_b32_e32 v5, 0x7fffffff, v4
	s_delay_alu instid0(VALU_DEP_1)
	v_cmpx_gt_u32_e32 0x43800000, v5
	s_cbranch_execz .LBB46_53
; %bb.151:                              ;   in Loop: Header=BB46_57 Depth=1
	v_cmp_lt_u32_e32 vcc_lo, 0x3bffffff, v5
	s_mov_b32 s15, 0
                                        ; implicit-def: $vgpr5
	s_and_saveexec_b32 s16, vcc_lo
	s_delay_alu instid0(SALU_CYCLE_1)
	s_xor_b32 s16, exec_lo, s16
	s_cbranch_execnz .LBB46_184
; %bb.152:                              ;   in Loop: Header=BB46_57 Depth=1
	s_or_saveexec_b32 s16, s16
                                        ; implicit-def: $sgpr17
	s_delay_alu instid0(SALU_CYCLE_1)
	s_xor_b32 exec_lo, exec_lo, s16
	s_cbranch_execnz .LBB46_185
.LBB46_153:                             ;   in Loop: Header=BB46_57 Depth=1
	s_or_b32 exec_lo, exec_lo, s16
	v_mov_b32_e32 v3, s17
	s_and_saveexec_b32 s16, s15
	s_cbranch_execz .LBB46_52
	s_branch .LBB46_186
.LBB46_154:                             ;   in Loop: Header=BB46_57 Depth=1
	v_bfe_u32 v6, v10, 20, 1
	s_mov_b32 s12, exec_lo
	s_delay_alu instid0(VALU_DEP_1) | instskip(NEXT) | instid1(VALU_DEP_1)
	v_add3_u32 v6, v10, v6, 0x487ffff
	v_lshrrev_b32_e32 v11, 20, v6
	s_or_saveexec_b32 s13, s13
                                        ; implicit-def: $sgpr14
	s_delay_alu instid0(SALU_CYCLE_1)
	s_xor_b32 exec_lo, exec_lo, s13
	s_cbranch_execz .LBB46_60
.LBB46_155:                             ;   in Loop: Header=BB46_57 Depth=1
	v_add_f32_e64 v6, 0x46000000, |v10|
	s_and_not1_b32 s12, s12, exec_lo
	s_mov_b32 s14, 0
	s_delay_alu instid0(VALU_DEP_1) | instskip(NEXT) | instid1(VALU_DEP_1)
	v_and_b32_e32 v11, 0xff, v6
	v_cmp_ne_u32_e32 vcc_lo, 0, v11
	s_and_b32 s15, vcc_lo, exec_lo
	s_delay_alu instid0(SALU_CYCLE_1)
	s_or_b32 s12, s12, s15
	s_or_b32 exec_lo, exec_lo, s13
	v_mov_b32_e32 v6, s14
	s_and_saveexec_b32 s13, s12
	s_cbranch_execnz .LBB46_61
	s_branch .LBB46_62
.LBB46_156:                             ;   in Loop: Header=BB46_57 Depth=1
	v_bfe_u32 v5, v2, 20, 1
	s_mov_b32 s12, exec_lo
	s_delay_alu instid0(VALU_DEP_1) | instskip(NEXT) | instid1(VALU_DEP_1)
	v_add3_u32 v5, v2, v5, 0x487ffff
	v_lshrrev_b32_e32 v9, 20, v5
	s_or_saveexec_b32 s13, s13
                                        ; implicit-def: $sgpr14
	s_delay_alu instid0(SALU_CYCLE_1)
	s_xor_b32 exec_lo, exec_lo, s13
	s_cbranch_execz .LBB46_66
.LBB46_157:                             ;   in Loop: Header=BB46_57 Depth=1
	v_add_f32_e64 v5, 0x46000000, |v2|
	s_and_not1_b32 s12, s12, exec_lo
	s_mov_b32 s14, 0
	s_delay_alu instid0(VALU_DEP_1) | instskip(NEXT) | instid1(VALU_DEP_1)
	v_and_b32_e32 v9, 0xff, v5
	v_cmp_ne_u32_e32 vcc_lo, 0, v9
	s_and_b32 s15, vcc_lo, exec_lo
	s_delay_alu instid0(SALU_CYCLE_1)
	s_or_b32 s12, s12, s15
	s_or_b32 exec_lo, exec_lo, s13
	v_mov_b32_e32 v5, s14
	s_and_saveexec_b32 s13, s12
	s_cbranch_execnz .LBB46_67
	s_branch .LBB46_68
.LBB46_158:                             ;   in Loop: Header=BB46_57 Depth=1
	v_bfe_u32 v8, v9, 20, 1
	s_mov_b32 s12, exec_lo
	s_delay_alu instid0(VALU_DEP_1) | instskip(NEXT) | instid1(VALU_DEP_1)
	v_add3_u32 v8, v9, v8, 0x487ffff
	v_lshrrev_b32_e32 v10, 20, v8
	s_or_saveexec_b32 s13, s13
                                        ; implicit-def: $sgpr14
	s_delay_alu instid0(SALU_CYCLE_1)
	s_xor_b32 exec_lo, exec_lo, s13
	s_cbranch_execz .LBB46_72
.LBB46_159:                             ;   in Loop: Header=BB46_57 Depth=1
	v_add_f32_e64 v8, 0x46000000, |v9|
	s_and_not1_b32 s12, s12, exec_lo
	s_mov_b32 s14, 0
	s_delay_alu instid0(VALU_DEP_1) | instskip(NEXT) | instid1(VALU_DEP_1)
	v_and_b32_e32 v10, 0xff, v8
	v_cmp_ne_u32_e32 vcc_lo, 0, v10
	s_and_b32 s15, vcc_lo, exec_lo
	s_delay_alu instid0(SALU_CYCLE_1)
	s_or_b32 s12, s12, s15
	s_or_b32 exec_lo, exec_lo, s13
	v_mov_b32_e32 v8, s14
	s_and_saveexec_b32 s13, s12
	s_cbranch_execnz .LBB46_73
	s_branch .LBB46_74
.LBB46_160:                             ;   in Loop: Header=BB46_57 Depth=1
	v_bfe_u32 v2, v3, 20, 1
	s_mov_b32 s12, exec_lo
	s_delay_alu instid0(VALU_DEP_1) | instskip(NEXT) | instid1(VALU_DEP_1)
	v_add3_u32 v2, v3, v2, 0x487ffff
	v_lshrrev_b32_e32 v4, 20, v2
	s_or_saveexec_b32 s13, s13
                                        ; implicit-def: $sgpr14
	s_delay_alu instid0(SALU_CYCLE_1)
	s_xor_b32 exec_lo, exec_lo, s13
	s_cbranch_execz .LBB46_78
.LBB46_161:                             ;   in Loop: Header=BB46_57 Depth=1
	v_add_f32_e64 v2, 0x46000000, |v3|
	s_and_not1_b32 s12, s12, exec_lo
	s_mov_b32 s14, 0
	s_delay_alu instid0(VALU_DEP_1) | instskip(NEXT) | instid1(VALU_DEP_1)
	v_and_b32_e32 v4, 0xff, v2
	v_cmp_ne_u32_e32 vcc_lo, 0, v4
	s_and_b32 s15, vcc_lo, exec_lo
	s_delay_alu instid0(SALU_CYCLE_1)
	s_or_b32 s12, s12, s15
	s_or_b32 exec_lo, exec_lo, s13
	v_mov_b32_e32 v2, s14
	s_and_saveexec_b32 s13, s12
	s_cbranch_execnz .LBB46_79
	s_branch .LBB46_80
.LBB46_162:                             ;   in Loop: Header=BB46_57 Depth=1
	v_bfe_u32 v8, v12, 20, 1
	s_mov_b32 s13, exec_lo
	s_delay_alu instid0(VALU_DEP_1) | instskip(NEXT) | instid1(VALU_DEP_1)
	v_add3_u32 v8, v12, v8, 0x487ffff
	v_lshrrev_b32_e32 v13, 20, v8
	s_or_saveexec_b32 s14, s14
                                        ; implicit-def: $sgpr15
	s_delay_alu instid0(SALU_CYCLE_1)
	s_xor_b32 exec_lo, exec_lo, s14
	s_cbranch_execz .LBB46_85
.LBB46_163:                             ;   in Loop: Header=BB46_57 Depth=1
	v_add_f32_e64 v8, 0x46000000, |v12|
	s_and_not1_b32 s13, s13, exec_lo
	s_mov_b32 s15, 0
	s_delay_alu instid0(VALU_DEP_1) | instskip(NEXT) | instid1(VALU_DEP_1)
	v_and_b32_e32 v13, 0xff, v8
	v_cmp_ne_u32_e32 vcc_lo, 0, v13
	s_and_b32 s16, vcc_lo, exec_lo
	s_delay_alu instid0(SALU_CYCLE_1)
	s_or_b32 s13, s13, s16
	s_or_b32 exec_lo, exec_lo, s14
	v_mov_b32_e32 v8, s15
	s_and_saveexec_b32 s14, s13
	s_cbranch_execnz .LBB46_86
	s_branch .LBB46_87
.LBB46_164:                             ;   in Loop: Header=BB46_57 Depth=1
	v_bfe_u32 v7, v4, 20, 1
	s_mov_b32 s13, exec_lo
	s_delay_alu instid0(VALU_DEP_1) | instskip(NEXT) | instid1(VALU_DEP_1)
	v_add3_u32 v7, v4, v7, 0x487ffff
	v_lshrrev_b32_e32 v11, 20, v7
	s_or_saveexec_b32 s14, s14
                                        ; implicit-def: $sgpr15
	s_delay_alu instid0(SALU_CYCLE_1)
	s_xor_b32 exec_lo, exec_lo, s14
	s_cbranch_execz .LBB46_91
.LBB46_165:                             ;   in Loop: Header=BB46_57 Depth=1
	v_add_f32_e64 v7, 0x46000000, |v4|
	s_and_not1_b32 s13, s13, exec_lo
	s_mov_b32 s15, 0
	s_delay_alu instid0(VALU_DEP_1) | instskip(NEXT) | instid1(VALU_DEP_1)
	v_and_b32_e32 v11, 0xff, v7
	v_cmp_ne_u32_e32 vcc_lo, 0, v11
	s_and_b32 s16, vcc_lo, exec_lo
	s_delay_alu instid0(SALU_CYCLE_1)
	s_or_b32 s13, s13, s16
	s_or_b32 exec_lo, exec_lo, s14
	v_mov_b32_e32 v7, s15
	s_and_saveexec_b32 s14, s13
	s_cbranch_execnz .LBB46_92
	s_branch .LBB46_93
.LBB46_166:                             ;   in Loop: Header=BB46_57 Depth=1
	v_bfe_u32 v10, v11, 20, 1
	s_mov_b32 s13, exec_lo
	s_delay_alu instid0(VALU_DEP_1) | instskip(NEXT) | instid1(VALU_DEP_1)
	v_add3_u32 v10, v11, v10, 0x487ffff
	v_lshrrev_b32_e32 v12, 20, v10
	s_or_saveexec_b32 s14, s14
                                        ; implicit-def: $sgpr15
	s_delay_alu instid0(SALU_CYCLE_1)
	s_xor_b32 exec_lo, exec_lo, s14
	s_cbranch_execz .LBB46_97
.LBB46_167:                             ;   in Loop: Header=BB46_57 Depth=1
	v_add_f32_e64 v10, 0x46000000, |v11|
	s_and_not1_b32 s13, s13, exec_lo
	s_mov_b32 s15, 0
	s_delay_alu instid0(VALU_DEP_1) | instskip(NEXT) | instid1(VALU_DEP_1)
	v_and_b32_e32 v12, 0xff, v10
	v_cmp_ne_u32_e32 vcc_lo, 0, v12
	s_and_b32 s16, vcc_lo, exec_lo
	s_delay_alu instid0(SALU_CYCLE_1)
	s_or_b32 s13, s13, s16
	s_or_b32 exec_lo, exec_lo, s14
	v_mov_b32_e32 v10, s15
	s_and_saveexec_b32 s14, s13
	s_cbranch_execnz .LBB46_98
	s_branch .LBB46_99
.LBB46_168:                             ;   in Loop: Header=BB46_57 Depth=1
	v_bfe_u32 v4, v5, 20, 1
	s_mov_b32 s13, exec_lo
	s_delay_alu instid0(VALU_DEP_1) | instskip(NEXT) | instid1(VALU_DEP_1)
	v_add3_u32 v4, v5, v4, 0x487ffff
	v_lshrrev_b32_e32 v6, 20, v4
	s_or_saveexec_b32 s14, s14
                                        ; implicit-def: $sgpr15
	s_delay_alu instid0(SALU_CYCLE_1)
	s_xor_b32 exec_lo, exec_lo, s14
	s_cbranch_execz .LBB46_103
.LBB46_169:                             ;   in Loop: Header=BB46_57 Depth=1
	v_add_f32_e64 v4, 0x46000000, |v5|
	s_and_not1_b32 s13, s13, exec_lo
	s_mov_b32 s15, 0
	s_delay_alu instid0(VALU_DEP_1) | instskip(NEXT) | instid1(VALU_DEP_1)
	v_and_b32_e32 v6, 0xff, v4
	v_cmp_ne_u32_e32 vcc_lo, 0, v6
	s_and_b32 s16, vcc_lo, exec_lo
	s_delay_alu instid0(SALU_CYCLE_1)
	s_or_b32 s13, s13, s16
	s_or_b32 exec_lo, exec_lo, s14
	v_mov_b32_e32 v4, s15
	s_and_saveexec_b32 s14, s13
	s_cbranch_execnz .LBB46_104
	s_branch .LBB46_105
.LBB46_170:                             ;   in Loop: Header=BB46_57 Depth=1
	v_bfe_u32 v9, v13, 20, 1
	s_mov_b32 s14, exec_lo
	s_delay_alu instid0(VALU_DEP_1) | instskip(NEXT) | instid1(VALU_DEP_1)
	v_add3_u32 v9, v13, v9, 0x487ffff
	v_lshrrev_b32_e32 v14, 20, v9
	s_or_saveexec_b32 s15, s15
                                        ; implicit-def: $sgpr16
	s_delay_alu instid0(SALU_CYCLE_1)
	s_xor_b32 exec_lo, exec_lo, s15
	s_cbranch_execz .LBB46_110
.LBB46_171:                             ;   in Loop: Header=BB46_57 Depth=1
	v_add_f32_e64 v9, 0x46000000, |v13|
	s_and_not1_b32 s14, s14, exec_lo
	s_mov_b32 s16, 0
	s_delay_alu instid0(VALU_DEP_1) | instskip(NEXT) | instid1(VALU_DEP_1)
	v_and_b32_e32 v14, 0xff, v9
	v_cmp_ne_u32_e32 vcc_lo, 0, v14
	s_and_b32 s17, vcc_lo, exec_lo
	s_delay_alu instid0(SALU_CYCLE_1)
	s_or_b32 s14, s14, s17
	s_or_b32 exec_lo, exec_lo, s15
	v_mov_b32_e32 v9, s16
	s_and_saveexec_b32 s15, s14
	s_cbranch_execnz .LBB46_111
	s_branch .LBB46_112
.LBB46_172:                             ;   in Loop: Header=BB46_57 Depth=1
	v_bfe_u32 v8, v5, 20, 1
	s_mov_b32 s14, exec_lo
	s_delay_alu instid0(VALU_DEP_1) | instskip(NEXT) | instid1(VALU_DEP_1)
	v_add3_u32 v8, v5, v8, 0x487ffff
	v_lshrrev_b32_e32 v12, 20, v8
	s_or_saveexec_b32 s15, s15
                                        ; implicit-def: $sgpr16
	s_delay_alu instid0(SALU_CYCLE_1)
	s_xor_b32 exec_lo, exec_lo, s15
	s_cbranch_execz .LBB46_116
.LBB46_173:                             ;   in Loop: Header=BB46_57 Depth=1
	v_add_f32_e64 v8, 0x46000000, |v5|
	s_and_not1_b32 s14, s14, exec_lo
	s_mov_b32 s16, 0
	s_delay_alu instid0(VALU_DEP_1) | instskip(NEXT) | instid1(VALU_DEP_1)
	v_and_b32_e32 v12, 0xff, v8
	v_cmp_ne_u32_e32 vcc_lo, 0, v12
	s_and_b32 s17, vcc_lo, exec_lo
	s_delay_alu instid0(SALU_CYCLE_1)
	s_or_b32 s14, s14, s17
	s_or_b32 exec_lo, exec_lo, s15
	v_mov_b32_e32 v8, s16
	s_and_saveexec_b32 s15, s14
	s_cbranch_execnz .LBB46_117
	s_branch .LBB46_118
.LBB46_174:                             ;   in Loop: Header=BB46_57 Depth=1
	v_bfe_u32 v11, v12, 20, 1
	s_mov_b32 s14, exec_lo
	s_delay_alu instid0(VALU_DEP_1) | instskip(NEXT) | instid1(VALU_DEP_1)
	v_add3_u32 v11, v12, v11, 0x487ffff
	v_lshrrev_b32_e32 v13, 20, v11
	s_or_saveexec_b32 s15, s15
                                        ; implicit-def: $sgpr16
	s_delay_alu instid0(SALU_CYCLE_1)
	s_xor_b32 exec_lo, exec_lo, s15
	s_cbranch_execz .LBB46_122
.LBB46_175:                             ;   in Loop: Header=BB46_57 Depth=1
	v_add_f32_e64 v11, 0x46000000, |v12|
	s_and_not1_b32 s14, s14, exec_lo
	s_mov_b32 s16, 0
	s_delay_alu instid0(VALU_DEP_1) | instskip(NEXT) | instid1(VALU_DEP_1)
	v_and_b32_e32 v13, 0xff, v11
	v_cmp_ne_u32_e32 vcc_lo, 0, v13
	s_and_b32 s17, vcc_lo, exec_lo
	s_delay_alu instid0(SALU_CYCLE_1)
	s_or_b32 s14, s14, s17
	s_or_b32 exec_lo, exec_lo, s15
	v_mov_b32_e32 v11, s16
	s_and_saveexec_b32 s15, s14
	s_cbranch_execnz .LBB46_123
	s_branch .LBB46_124
.LBB46_176:                             ;   in Loop: Header=BB46_57 Depth=1
	v_bfe_u32 v5, v6, 20, 1
	s_mov_b32 s14, exec_lo
	s_delay_alu instid0(VALU_DEP_1) | instskip(NEXT) | instid1(VALU_DEP_1)
	v_add3_u32 v5, v6, v5, 0x487ffff
	v_lshrrev_b32_e32 v7, 20, v5
	s_or_saveexec_b32 s15, s15
                                        ; implicit-def: $sgpr16
	s_delay_alu instid0(SALU_CYCLE_1)
	s_xor_b32 exec_lo, exec_lo, s15
	s_cbranch_execz .LBB46_128
.LBB46_177:                             ;   in Loop: Header=BB46_57 Depth=1
	v_add_f32_e64 v5, 0x46000000, |v6|
	s_and_not1_b32 s14, s14, exec_lo
	s_mov_b32 s16, 0
	s_delay_alu instid0(VALU_DEP_1) | instskip(NEXT) | instid1(VALU_DEP_1)
	v_and_b32_e32 v7, 0xff, v5
	v_cmp_ne_u32_e32 vcc_lo, 0, v7
	s_and_b32 s17, vcc_lo, exec_lo
	s_delay_alu instid0(SALU_CYCLE_1)
	s_or_b32 s14, s14, s17
	s_or_b32 exec_lo, exec_lo, s15
	v_mov_b32_e32 v5, s16
	s_and_saveexec_b32 s15, s14
	s_cbranch_execnz .LBB46_129
	s_branch .LBB46_130
.LBB46_178:                             ;   in Loop: Header=BB46_57 Depth=1
	v_bfe_u32 v6, v11, 20, 1
	s_mov_b32 s15, exec_lo
	s_delay_alu instid0(VALU_DEP_1) | instskip(NEXT) | instid1(VALU_DEP_1)
	v_add3_u32 v6, v11, v6, 0x487ffff
	v_lshrrev_b32_e32 v12, 20, v6
	s_or_saveexec_b32 s16, s16
                                        ; implicit-def: $sgpr17
	s_delay_alu instid0(SALU_CYCLE_1)
	s_xor_b32 exec_lo, exec_lo, s16
	s_cbranch_execz .LBB46_135
.LBB46_179:                             ;   in Loop: Header=BB46_57 Depth=1
	v_add_f32_e64 v6, 0x46000000, |v11|
	s_and_not1_b32 s15, s15, exec_lo
	s_mov_b32 s17, 0
	s_delay_alu instid0(VALU_DEP_1) | instskip(NEXT) | instid1(VALU_DEP_1)
	v_and_b32_e32 v12, 0xff, v6
	v_cmp_ne_u32_e32 vcc_lo, 0, v12
	s_and_b32 s18, vcc_lo, exec_lo
	s_delay_alu instid0(SALU_CYCLE_1)
	s_or_b32 s15, s15, s18
	s_or_b32 exec_lo, exec_lo, s16
	v_mov_b32_e32 v6, s17
	s_and_saveexec_b32 s16, s15
	s_cbranch_execnz .LBB46_136
	s_branch .LBB46_137
.LBB46_180:                             ;   in Loop: Header=BB46_57 Depth=1
	v_bfe_u32 v7, v3, 20, 1
	s_mov_b32 s15, exec_lo
	s_delay_alu instid0(VALU_DEP_1) | instskip(NEXT) | instid1(VALU_DEP_1)
	v_add3_u32 v7, v3, v7, 0x487ffff
	v_lshrrev_b32_e32 v10, 20, v7
	s_or_saveexec_b32 s16, s16
                                        ; implicit-def: $sgpr17
	s_delay_alu instid0(SALU_CYCLE_1)
	s_xor_b32 exec_lo, exec_lo, s16
	s_cbranch_execz .LBB46_141
.LBB46_181:                             ;   in Loop: Header=BB46_57 Depth=1
	v_add_f32_e64 v7, 0x46000000, |v3|
	s_and_not1_b32 s15, s15, exec_lo
	s_mov_b32 s17, 0
	s_delay_alu instid0(VALU_DEP_1) | instskip(NEXT) | instid1(VALU_DEP_1)
	v_and_b32_e32 v10, 0xff, v7
	v_cmp_ne_u32_e32 vcc_lo, 0, v10
	s_and_b32 s18, vcc_lo, exec_lo
	s_delay_alu instid0(SALU_CYCLE_1)
	s_or_b32 s15, s15, s18
	s_or_b32 exec_lo, exec_lo, s16
	v_mov_b32_e32 v7, s17
	s_and_saveexec_b32 s16, s15
	s_cbranch_execnz .LBB46_142
	s_branch .LBB46_143
.LBB46_182:                             ;   in Loop: Header=BB46_57 Depth=1
	v_bfe_u32 v9, v10, 20, 1
	s_mov_b32 s15, exec_lo
	s_delay_alu instid0(VALU_DEP_1) | instskip(NEXT) | instid1(VALU_DEP_1)
	v_add3_u32 v9, v10, v9, 0x487ffff
	v_lshrrev_b32_e32 v11, 20, v9
	s_or_saveexec_b32 s16, s16
                                        ; implicit-def: $sgpr17
	s_delay_alu instid0(SALU_CYCLE_1)
	s_xor_b32 exec_lo, exec_lo, s16
	s_cbranch_execz .LBB46_147
.LBB46_183:                             ;   in Loop: Header=BB46_57 Depth=1
	v_add_f32_e64 v9, 0x46000000, |v10|
	s_and_not1_b32 s15, s15, exec_lo
	s_mov_b32 s17, 0
	s_delay_alu instid0(VALU_DEP_1) | instskip(NEXT) | instid1(VALU_DEP_1)
	v_and_b32_e32 v11, 0xff, v9
	v_cmp_ne_u32_e32 vcc_lo, 0, v11
	s_and_b32 s18, vcc_lo, exec_lo
	s_delay_alu instid0(SALU_CYCLE_1)
	s_or_b32 s15, s15, s18
	s_or_b32 exec_lo, exec_lo, s16
	v_mov_b32_e32 v9, s17
	s_and_saveexec_b32 s16, s15
	s_cbranch_execnz .LBB46_148
	s_branch .LBB46_149
.LBB46_184:                             ;   in Loop: Header=BB46_57 Depth=1
	v_bfe_u32 v3, v4, 20, 1
	s_mov_b32 s15, exec_lo
	s_delay_alu instid0(VALU_DEP_1) | instskip(NEXT) | instid1(VALU_DEP_1)
	v_add3_u32 v3, v4, v3, 0x487ffff
	v_lshrrev_b32_e32 v5, 20, v3
	s_or_saveexec_b32 s16, s16
                                        ; implicit-def: $sgpr17
	s_delay_alu instid0(SALU_CYCLE_1)
	s_xor_b32 exec_lo, exec_lo, s16
	s_cbranch_execz .LBB46_153
.LBB46_185:                             ;   in Loop: Header=BB46_57 Depth=1
	v_add_f32_e64 v3, 0x46000000, |v4|
	s_and_not1_b32 s15, s15, exec_lo
	s_mov_b32 s17, 0
	s_delay_alu instid0(VALU_DEP_1) | instskip(NEXT) | instid1(VALU_DEP_1)
	v_and_b32_e32 v5, 0xff, v3
	v_cmp_ne_u32_e32 vcc_lo, 0, v5
	s_and_b32 s18, vcc_lo, exec_lo
	s_delay_alu instid0(SALU_CYCLE_1)
	s_or_b32 s15, s15, s18
	s_or_b32 exec_lo, exec_lo, s16
	v_mov_b32_e32 v3, s17
	s_and_saveexec_b32 s16, s15
	s_cbranch_execz .LBB46_52
.LBB46_186:                             ;   in Loop: Header=BB46_57 Depth=1
	v_lshrrev_b32_e32 v3, 24, v4
	s_delay_alu instid0(VALU_DEP_1)
	v_and_or_b32 v3, 0x80, v3, v5
	s_branch .LBB46_52
.LBB46_187:
	s_nop 0
	s_sendmsg sendmsg(MSG_DEALLOC_VGPRS)
	s_endpgm
	.section	.rodata,"a",@progbits
	.p2align	6, 0x0
	.amdhsa_kernel _ZN4vllm31rms_norm_per_block_quant_kernelIN3c104HalfENS1_15Float8_e4m3fnuzELb1ELb0ELi128EEEvPT0_PfPKT_S9_PKffiiPS7_l
		.amdhsa_group_segment_fixed_size 4228
		.amdhsa_private_segment_fixed_size 0
		.amdhsa_kernarg_size 328
		.amdhsa_user_sgpr_count 15
		.amdhsa_user_sgpr_dispatch_ptr 0
		.amdhsa_user_sgpr_queue_ptr 0
		.amdhsa_user_sgpr_kernarg_segment_ptr 1
		.amdhsa_user_sgpr_dispatch_id 0
		.amdhsa_user_sgpr_private_segment_size 0
		.amdhsa_wavefront_size32 1
		.amdhsa_uses_dynamic_stack 0
		.amdhsa_enable_private_segment 0
		.amdhsa_system_sgpr_workgroup_id_x 1
		.amdhsa_system_sgpr_workgroup_id_y 0
		.amdhsa_system_sgpr_workgroup_id_z 0
		.amdhsa_system_sgpr_workgroup_info 0
		.amdhsa_system_vgpr_workitem_id 0
		.amdhsa_next_free_vgpr 35
		.amdhsa_next_free_sgpr 40
		.amdhsa_reserve_vcc 1
		.amdhsa_float_round_mode_32 0
		.amdhsa_float_round_mode_16_64 0
		.amdhsa_float_denorm_mode_32 3
		.amdhsa_float_denorm_mode_16_64 3
		.amdhsa_dx10_clamp 1
		.amdhsa_ieee_mode 1
		.amdhsa_fp16_overflow 0
		.amdhsa_workgroup_processor_mode 1
		.amdhsa_memory_ordered 1
		.amdhsa_forward_progress 0
		.amdhsa_shared_vgpr_count 0
		.amdhsa_exception_fp_ieee_invalid_op 0
		.amdhsa_exception_fp_denorm_src 0
		.amdhsa_exception_fp_ieee_div_zero 0
		.amdhsa_exception_fp_ieee_overflow 0
		.amdhsa_exception_fp_ieee_underflow 0
		.amdhsa_exception_fp_ieee_inexact 0
		.amdhsa_exception_int_div_zero 0
	.end_amdhsa_kernel
	.section	.text._ZN4vllm31rms_norm_per_block_quant_kernelIN3c104HalfENS1_15Float8_e4m3fnuzELb1ELb0ELi128EEEvPT0_PfPKT_S9_PKffiiPS7_l,"axG",@progbits,_ZN4vllm31rms_norm_per_block_quant_kernelIN3c104HalfENS1_15Float8_e4m3fnuzELb1ELb0ELi128EEEvPT0_PfPKT_S9_PKffiiPS7_l,comdat
.Lfunc_end46:
	.size	_ZN4vllm31rms_norm_per_block_quant_kernelIN3c104HalfENS1_15Float8_e4m3fnuzELb1ELb0ELi128EEEvPT0_PfPKT_S9_PKffiiPS7_l, .Lfunc_end46-_ZN4vllm31rms_norm_per_block_quant_kernelIN3c104HalfENS1_15Float8_e4m3fnuzELb1ELb0ELi128EEEvPT0_PfPKT_S9_PKffiiPS7_l
                                        ; -- End function
	.section	.AMDGPU.csdata,"",@progbits
; Kernel info:
; codeLenInByte = 12308
; NumSgprs: 42
; NumVgprs: 35
; ScratchSize: 0
; MemoryBound: 0
; FloatMode: 240
; IeeeMode: 1
; LDSByteSize: 4228 bytes/workgroup (compile time only)
; SGPRBlocks: 5
; VGPRBlocks: 4
; NumSGPRsForWavesPerEU: 42
; NumVGPRsForWavesPerEU: 35
; Occupancy: 16
; WaveLimiterHint : 0
; COMPUTE_PGM_RSRC2:SCRATCH_EN: 0
; COMPUTE_PGM_RSRC2:USER_SGPR: 15
; COMPUTE_PGM_RSRC2:TRAP_HANDLER: 0
; COMPUTE_PGM_RSRC2:TGID_X_EN: 1
; COMPUTE_PGM_RSRC2:TGID_Y_EN: 0
; COMPUTE_PGM_RSRC2:TGID_Z_EN: 0
; COMPUTE_PGM_RSRC2:TIDIG_COMP_CNT: 0
	.section	.text._ZN4vllm31rms_norm_per_block_quant_kernelIN3c104HalfEaLb1ELb0ELi128EEEvPT0_PfPKT_S8_PKffiiPS6_l,"axG",@progbits,_ZN4vllm31rms_norm_per_block_quant_kernelIN3c104HalfEaLb1ELb0ELi128EEEvPT0_PfPKT_S8_PKffiiPS6_l,comdat
	.protected	_ZN4vllm31rms_norm_per_block_quant_kernelIN3c104HalfEaLb1ELb0ELi128EEEvPT0_PfPKT_S8_PKffiiPS6_l ; -- Begin function _ZN4vllm31rms_norm_per_block_quant_kernelIN3c104HalfEaLb1ELb0ELi128EEEvPT0_PfPKT_S8_PKffiiPS6_l
	.globl	_ZN4vllm31rms_norm_per_block_quant_kernelIN3c104HalfEaLb1ELb0ELi128EEEvPT0_PfPKT_S8_PKffiiPS6_l
	.p2align	8
	.type	_ZN4vllm31rms_norm_per_block_quant_kernelIN3c104HalfEaLb1ELb0ELi128EEEvPT0_PfPKT_S8_PKffiiPS6_l,@function
_ZN4vllm31rms_norm_per_block_quant_kernelIN3c104HalfEaLb1ELb0ELi128EEEvPT0_PfPKT_S8_PKffiiPS6_l: ; @_ZN4vllm31rms_norm_per_block_quant_kernelIN3c104HalfEaLb1ELb0ELi128EEEvPT0_PfPKT_S8_PKffiiPS6_l
; %bb.0:
	s_clause 0x2
	s_load_b128 s[16:19], s[0:1], 0x28
	s_load_b256 s[4:11], s[0:1], 0x0
	s_load_b64 s[2:3], s[0:1], 0x38
	v_mov_b32_e32 v6, 0
	s_waitcnt lgkmcnt(0)
	s_ashr_i32 s12, s18, 31
	s_mul_hi_u32 s13, s18, s15
	s_mul_i32 s20, s18, s15
	s_mul_i32 s18, s12, s15
	s_ashr_i32 s19, s17, 31
	s_add_i32 s21, s13, s18
	s_mul_hi_u32 s14, s17, s15
	s_mul_i32 s13, s19, s15
	s_lshl_b64 s[20:21], s[20:21], 1
	s_mul_i32 s12, s17, s15
	s_add_i32 s13, s14, s13
	s_add_u32 s28, s8, s20
	s_addc_u32 s29, s9, s21
	s_lshl_b64 s[8:9], s[12:13], 1
	s_mov_b32 s18, s17
	s_add_u32 s30, s2, s8
	s_addc_u32 s31, s3, s9
	s_ashr_i32 s8, s17, 2
	s_add_u32 s20, s0, 0x48
	v_cmp_gt_u32_e64 s2, s8, v0
	s_mov_b32 s3, 0
	s_addc_u32 s21, s1, 0
	s_delay_alu instid0(VALU_DEP_1)
	s_and_saveexec_b32 s9, s2
	s_cbranch_execz .LBB47_10
; %bb.1:
	s_load_b32 s14, s[20:21], 0x0
	v_dual_mov_b32 v2, 0 :: v_dual_mov_b32 v1, v0
	s_waitcnt lgkmcnt(0)
	s_cmp_lt_u32 s15, s14
	s_cselect_b32 s14, 12, 18
	s_delay_alu instid0(SALU_CYCLE_1)
	s_add_u32 s22, s20, s14
	s_addc_u32 s23, s21, 0
                                        ; implicit-def: $sgpr14
	global_load_u16 v7, v2, s[22:23]
	s_waitcnt vmcnt(0)
	v_lshlrev_b32_e32 v9, 1, v7
	v_mul_lo_u32 v8, v7, 3
	v_add_nc_u32_e32 v10, v7, v7
	v_mov_b32_e32 v6, v2
	s_branch .LBB47_5
.LBB47_2:                               ;   in Loop: Header=BB47_5 Depth=1
	s_or_b32 exec_lo, exec_lo, s23
	s_delay_alu instid0(SALU_CYCLE_1)
	s_or_not1_b32 s23, s24, exec_lo
.LBB47_3:                               ;   in Loop: Header=BB47_5 Depth=1
	s_or_b32 exec_lo, exec_lo, s22
	s_delay_alu instid0(SALU_CYCLE_1) | instskip(SKIP_1) | instid1(SALU_CYCLE_1)
	s_and_not1_b32 s14, s14, exec_lo
	s_and_b32 s22, s23, exec_lo
	s_or_b32 s14, s14, s22
.LBB47_4:                               ;   in Loop: Header=BB47_5 Depth=1
	s_or_b32 exec_lo, exec_lo, s17
	s_delay_alu instid0(SALU_CYCLE_1) | instskip(NEXT) | instid1(SALU_CYCLE_1)
	s_and_b32 s17, exec_lo, s14
	s_or_b32 s3, s17, s3
	s_delay_alu instid0(SALU_CYCLE_1)
	s_and_not1_b32 exec_lo, exec_lo, s3
	s_cbranch_execz .LBB47_9
.LBB47_5:                               ; =>This Inner Loop Header: Depth=1
	v_lshlrev_b64 v[3:4], 3, v[1:2]
	s_or_b32 s14, s14, exec_lo
	s_mov_b32 s17, exec_lo
	s_delay_alu instid0(VALU_DEP_1) | instskip(NEXT) | instid1(VALU_DEP_2)
	v_add_co_u32 v11, vcc_lo, s28, v3
	v_add_co_ci_u32_e32 v12, vcc_lo, s29, v4, vcc_lo
	v_add_co_u32 v3, vcc_lo, s30, v3
	v_add_co_ci_u32_e32 v4, vcc_lo, s31, v4, vcc_lo
	global_load_b64 v[11:12], v[11:12], off
	global_load_b64 v[3:4], v[3:4], off
	s_waitcnt vmcnt(1)
	v_lshrrev_b32_e32 v5, 16, v11
	s_waitcnt vmcnt(0)
	v_lshrrev_b32_e32 v13, 16, v3
	v_cvt_f32_f16_e32 v11, v11
	v_cvt_f32_f16_e32 v3, v3
	v_lshrrev_b32_e32 v14, 16, v12
	v_cvt_f32_f16_e32 v5, v5
	v_cvt_f32_f16_e32 v13, v13
	s_delay_alu instid0(VALU_DEP_1) | instskip(SKIP_4) | instid1(VALU_DEP_4)
	v_add_f32_e32 v5, v5, v13
	v_add_f32_e32 v3, v11, v3
	v_cvt_f32_f16_e32 v11, v12
	v_lshrrev_b32_e32 v12, 16, v4
	v_cvt_f32_f16_e32 v4, v4
	v_fmac_f32_e32 v6, v3, v3
	v_cvt_f32_f16_e32 v3, v14
	s_delay_alu instid0(VALU_DEP_3) | instskip(SKIP_1) | instid1(VALU_DEP_1)
	v_add_f32_e32 v4, v11, v4
	v_cvt_f32_f16_e32 v11, v12
	v_dual_fmac_f32 v6, v5, v5 :: v_dual_add_f32 v5, v3, v11
	s_delay_alu instid0(VALU_DEP_1) | instskip(NEXT) | instid1(VALU_DEP_1)
	v_dual_fmac_f32 v6, v4, v4 :: v_dual_add_nc_u32 v3, v1, v7
	v_fmac_f32_e32 v6, v5, v5
	s_delay_alu instid0(VALU_DEP_2)
	v_cmpx_gt_u32_e64 s8, v3
	s_cbranch_execz .LBB47_4
; %bb.6:                                ;   in Loop: Header=BB47_5 Depth=1
	v_mov_b32_e32 v4, v2
	s_mov_b32 s23, -1
	s_mov_b32 s22, exec_lo
	s_delay_alu instid0(VALU_DEP_1) | instskip(NEXT) | instid1(VALU_DEP_1)
	v_lshlrev_b64 v[4:5], 3, v[3:4]
	v_add_co_u32 v11, vcc_lo, s28, v4
	s_delay_alu instid0(VALU_DEP_2)
	v_add_co_ci_u32_e32 v12, vcc_lo, s29, v5, vcc_lo
	v_add_co_u32 v4, vcc_lo, s30, v4
	v_add_co_ci_u32_e32 v5, vcc_lo, s31, v5, vcc_lo
	global_load_b64 v[11:12], v[11:12], off
	global_load_b64 v[4:5], v[4:5], off
	s_waitcnt vmcnt(1)
	v_lshrrev_b32_e32 v13, 16, v11
	v_cvt_f32_f16_e32 v11, v11
	s_waitcnt vmcnt(0)
	v_lshrrev_b32_e32 v14, 16, v4
	v_cvt_f32_f16_e32 v4, v4
	v_lshrrev_b32_e32 v15, 16, v12
	v_cvt_f32_f16_e32 v13, v13
	s_delay_alu instid0(VALU_DEP_4) | instskip(NEXT) | instid1(VALU_DEP_4)
	v_cvt_f32_f16_e32 v14, v14
	v_add_f32_e32 v4, v11, v4
	v_cvt_f32_f16_e32 v11, v12
	v_lshrrev_b32_e32 v12, 16, v5
	v_cvt_f32_f16_e32 v5, v5
	s_delay_alu instid0(VALU_DEP_4) | instskip(SKIP_1) | instid1(VALU_DEP_3)
	v_dual_add_f32 v13, v13, v14 :: v_dual_fmac_f32 v6, v4, v4
	v_cvt_f32_f16_e32 v4, v15
	v_add_f32_e32 v5, v11, v5
	v_cvt_f32_f16_e32 v11, v12
	s_delay_alu instid0(VALU_DEP_1) | instskip(NEXT) | instid1(VALU_DEP_1)
	v_dual_fmac_f32 v6, v13, v13 :: v_dual_add_f32 v11, v4, v11
	v_fmac_f32_e32 v6, v5, v5
	v_add_nc_u32_e32 v4, v9, v1
	s_delay_alu instid0(VALU_DEP_2) | instskip(NEXT) | instid1(VALU_DEP_2)
	v_fmac_f32_e32 v6, v11, v11
	v_cmpx_gt_u32_e64 s8, v4
	s_cbranch_execz .LBB47_3
; %bb.7:                                ;   in Loop: Header=BB47_5 Depth=1
	v_mov_b32_e32 v5, v2
	v_add_nc_u32_e32 v1, v8, v1
	s_mov_b32 s24, -1
	s_mov_b32 s23, exec_lo
	s_delay_alu instid0(VALU_DEP_2) | instskip(NEXT) | instid1(VALU_DEP_1)
	v_lshlrev_b64 v[4:5], 3, v[4:5]
	v_add_co_u32 v11, vcc_lo, s28, v4
	s_delay_alu instid0(VALU_DEP_2)
	v_add_co_ci_u32_e32 v12, vcc_lo, s29, v5, vcc_lo
	v_add_co_u32 v4, vcc_lo, s30, v4
	v_add_co_ci_u32_e32 v5, vcc_lo, s31, v5, vcc_lo
	global_load_b64 v[11:12], v[11:12], off
	global_load_b64 v[4:5], v[4:5], off
	s_waitcnt vmcnt(1)
	v_lshrrev_b32_e32 v13, 16, v11
	v_cvt_f32_f16_e32 v11, v11
	s_waitcnt vmcnt(0)
	v_lshrrev_b32_e32 v14, 16, v4
	v_cvt_f32_f16_e32 v4, v4
	v_lshrrev_b32_e32 v15, 16, v12
	v_cvt_f32_f16_e32 v13, v13
	s_delay_alu instid0(VALU_DEP_4) | instskip(NEXT) | instid1(VALU_DEP_4)
	v_cvt_f32_f16_e32 v14, v14
	v_add_f32_e32 v4, v11, v4
	v_cvt_f32_f16_e32 v11, v12
	v_lshrrev_b32_e32 v12, 16, v5
	v_cvt_f32_f16_e32 v5, v5
	s_delay_alu instid0(VALU_DEP_4) | instskip(SKIP_1) | instid1(VALU_DEP_3)
	v_dual_add_f32 v13, v13, v14 :: v_dual_fmac_f32 v6, v4, v4
	v_cvt_f32_f16_e32 v4, v15
	v_add_f32_e32 v5, v11, v5
	v_cvt_f32_f16_e32 v11, v12
	s_delay_alu instid0(VALU_DEP_4) | instskip(NEXT) | instid1(VALU_DEP_2)
	v_fmac_f32_e32 v6, v13, v13
	v_add_f32_e32 v4, v4, v11
	s_delay_alu instid0(VALU_DEP_2) | instskip(NEXT) | instid1(VALU_DEP_1)
	v_fmac_f32_e32 v6, v5, v5
	v_fmac_f32_e32 v6, v4, v4
	v_cmpx_gt_u32_e64 s8, v1
	s_xor_b32 s23, exec_lo, s23
	s_cbranch_execz .LBB47_2
; %bb.8:                                ;   in Loop: Header=BB47_5 Depth=1
	v_lshlrev_b64 v[4:5], 3, v[1:2]
	s_delay_alu instid0(VALU_DEP_1) | instskip(NEXT) | instid1(VALU_DEP_2)
	v_add_co_u32 v11, vcc_lo, s28, v4
	v_add_co_ci_u32_e32 v12, vcc_lo, s29, v5, vcc_lo
	v_add_co_u32 v4, vcc_lo, s30, v4
	v_add_co_ci_u32_e32 v5, vcc_lo, s31, v5, vcc_lo
	global_load_b64 v[11:12], v[11:12], off
	global_load_b64 v[4:5], v[4:5], off
	s_waitcnt vmcnt(1)
	v_lshrrev_b32_e32 v1, 16, v11
	v_cvt_f32_f16_e32 v11, v11
	s_waitcnt vmcnt(0)
	v_lshrrev_b32_e32 v13, 16, v4
	v_cvt_f32_f16_e32 v4, v4
	v_lshrrev_b32_e32 v14, 16, v12
	v_cvt_f32_f16_e32 v1, v1
	s_delay_alu instid0(VALU_DEP_4) | instskip(NEXT) | instid1(VALU_DEP_4)
	v_cvt_f32_f16_e32 v13, v13
	v_add_f32_e32 v4, v11, v4
	v_cvt_f32_f16_e32 v11, v12
	v_lshrrev_b32_e32 v12, 16, v5
	v_cvt_f32_f16_e32 v5, v5
	s_delay_alu instid0(VALU_DEP_4) | instskip(SKIP_1) | instid1(VALU_DEP_3)
	v_dual_add_f32 v1, v1, v13 :: v_dual_fmac_f32 v6, v4, v4
	v_cvt_f32_f16_e32 v4, v14
	v_add_f32_e32 v5, v11, v5
	v_cvt_f32_f16_e32 v11, v12
	s_delay_alu instid0(VALU_DEP_4) | instskip(SKIP_1) | instid1(VALU_DEP_2)
	v_fmac_f32_e32 v6, v1, v1
	v_add3_u32 v1, v10, v7, v3
	v_dual_add_f32 v3, v4, v11 :: v_dual_fmac_f32 v6, v5, v5
	s_delay_alu instid0(VALU_DEP_2) | instskip(NEXT) | instid1(VALU_DEP_2)
	v_cmp_le_u32_e32 vcc_lo, s8, v1
	v_fmac_f32_e32 v6, v3, v3
	s_or_not1_b32 s24, vcc_lo, exec_lo
	s_branch .LBB47_2
.LBB47_9:
	s_or_b32 exec_lo, exec_lo, s3
.LBB47_10:
	s_delay_alu instid0(SALU_CYCLE_1) | instskip(SKIP_3) | instid1(VALU_DEP_2)
	s_or_b32 exec_lo, exec_lo, s9
	v_mbcnt_lo_u32_b32 v1, -1, 0
	s_load_b32 s3, s[20:21], 0xc
	v_and_b32_e32 v7, 0x3e0, v0
	v_cmp_ne_u32_e32 vcc_lo, 31, v1
	v_add_nc_u32_e32 v3, 1, v1
	v_add_co_ci_u32_e32 v2, vcc_lo, 0, v1, vcc_lo
	v_cmp_gt_u32_e32 vcc_lo, 30, v1
	s_delay_alu instid0(VALU_DEP_2)
	v_lshlrev_b32_e32 v2, 2, v2
	v_cndmask_b32_e64 v5, 0, 1, vcc_lo
	ds_bpermute_b32 v4, v2, v6
	s_waitcnt lgkmcnt(0)
	s_and_b32 s33, s3, 0xffff
	v_lshlrev_b32_e32 v5, 1, v5
	v_sub_nc_u32_e64 v12, s33, v7 clamp
	s_mov_b32 s3, exec_lo
	s_delay_alu instid0(VALU_DEP_1) | instskip(SKIP_2) | instid1(VALU_DEP_2)
	v_cmp_lt_u32_e32 vcc_lo, v3, v12
	v_add_f32_e32 v7, v6, v4
	v_add_lshl_u32 v4, v5, v1, 2
	v_cndmask_b32_e32 v7, v6, v7, vcc_lo
	v_cmp_gt_u32_e32 vcc_lo, 28, v1
	v_cndmask_b32_e64 v5, 0, 1, vcc_lo
	s_delay_alu instid0(VALU_DEP_1) | instskip(SKIP_2) | instid1(VALU_DEP_1)
	v_lshlrev_b32_e32 v8, 2, v5
	ds_bpermute_b32 v6, v4, v7
	v_add_nc_u32_e32 v5, 2, v1
	v_cmp_lt_u32_e32 vcc_lo, v5, v12
	s_waitcnt lgkmcnt(0)
	v_add_f32_e32 v9, v7, v6
	v_add_lshl_u32 v6, v8, v1, 2
	s_delay_alu instid0(VALU_DEP_2) | instskip(SKIP_3) | instid1(VALU_DEP_1)
	v_cndmask_b32_e32 v9, v7, v9, vcc_lo
	v_cmp_gt_u32_e32 vcc_lo, 24, v1
	ds_bpermute_b32 v8, v6, v9
	v_cndmask_b32_e64 v7, 0, 1, vcc_lo
	v_lshlrev_b32_e32 v10, 3, v7
	v_add_nc_u32_e32 v7, 4, v1
	s_delay_alu instid0(VALU_DEP_1) | instskip(SKIP_3) | instid1(VALU_DEP_2)
	v_cmp_lt_u32_e32 vcc_lo, v7, v12
	s_waitcnt lgkmcnt(0)
	v_add_f32_e32 v11, v9, v8
	v_add_lshl_u32 v8, v10, v1, 2
	v_cndmask_b32_e32 v11, v9, v11, vcc_lo
	v_cmp_gt_u32_e32 vcc_lo, 16, v1
	ds_bpermute_b32 v10, v8, v11
	v_cndmask_b32_e64 v9, 0, 1, vcc_lo
	s_delay_alu instid0(VALU_DEP_1) | instskip(SKIP_1) | instid1(VALU_DEP_1)
	v_lshlrev_b32_e32 v13, 4, v9
	v_add_nc_u32_e32 v9, 8, v1
	v_cmp_lt_u32_e32 vcc_lo, v9, v12
	s_waitcnt lgkmcnt(0)
	v_add_f32_e32 v14, v11, v10
	v_add_lshl_u32 v10, v13, v1, 2
	s_delay_alu instid0(VALU_DEP_2)
	v_cndmask_b32_e32 v13, v11, v14, vcc_lo
	v_add_nc_u32_e32 v11, 16, v1
	ds_bpermute_b32 v14, v10, v13
	v_cmp_lt_u32_e32 vcc_lo, v11, v12
	s_waitcnt lgkmcnt(0)
	v_add_f32_e32 v14, v13, v14
	s_delay_alu instid0(VALU_DEP_1)
	v_cndmask_b32_e32 v12, v13, v14, vcc_lo
	v_cmpx_eq_u32_e32 0, v1
	s_cbranch_execz .LBB47_12
; %bb.11:
	v_lshrrev_b32_e32 v13, 3, v0
	s_delay_alu instid0(VALU_DEP_1)
	v_and_b32_e32 v13, 0x7c, v13
	ds_store_b32 v13, v12 offset:4096
.LBB47_12:
	s_or_b32 exec_lo, exec_lo, s3
	s_delay_alu instid0(SALU_CYCLE_1)
	s_mov_b32 s3, exec_lo
	s_waitcnt lgkmcnt(0)
	s_barrier
	buffer_gl0_inv
	v_cmpx_gt_u32_e32 32, v0
	s_cbranch_execz .LBB47_14
; %bb.13:
	v_lshlrev_b32_e32 v1, 2, v1
	s_add_i32 s9, s33, 31
	s_delay_alu instid0(SALU_CYCLE_1) | instskip(NEXT) | instid1(SALU_CYCLE_1)
	s_lshr_b32 s9, s9, 5
	v_cmp_gt_u32_e32 vcc_lo, s9, v3
	ds_load_b32 v1, v1 offset:4096
	s_waitcnt lgkmcnt(0)
	ds_bpermute_b32 v2, v2, v1
	s_waitcnt lgkmcnt(0)
	v_add_f32_e32 v2, v1, v2
	s_delay_alu instid0(VALU_DEP_1) | instskip(SKIP_4) | instid1(VALU_DEP_1)
	v_cndmask_b32_e32 v1, v1, v2, vcc_lo
	v_cmp_gt_u32_e32 vcc_lo, s9, v5
	ds_bpermute_b32 v2, v4, v1
	s_waitcnt lgkmcnt(0)
	v_add_f32_e32 v2, v1, v2
	v_cndmask_b32_e32 v1, v1, v2, vcc_lo
	v_cmp_gt_u32_e32 vcc_lo, s9, v7
	ds_bpermute_b32 v2, v6, v1
	s_waitcnt lgkmcnt(0)
	v_add_f32_e32 v2, v1, v2
	s_delay_alu instid0(VALU_DEP_1) | instskip(SKIP_4) | instid1(VALU_DEP_1)
	v_cndmask_b32_e32 v1, v1, v2, vcc_lo
	v_cmp_gt_u32_e32 vcc_lo, s9, v9
	ds_bpermute_b32 v2, v8, v1
	s_waitcnt lgkmcnt(0)
	v_add_f32_e32 v2, v1, v2
	v_cndmask_b32_e32 v1, v1, v2, vcc_lo
	v_cmp_gt_u32_e32 vcc_lo, s9, v11
	ds_bpermute_b32 v2, v10, v1
	s_waitcnt lgkmcnt(0)
	v_add_f32_e32 v2, v1, v2
	s_delay_alu instid0(VALU_DEP_1)
	v_cndmask_b32_e32 v12, v1, v2, vcc_lo
.LBB47_14:
	s_or_b32 exec_lo, exec_lo, s3
	s_delay_alu instid0(SALU_CYCLE_1)
	s_mov_b32 s3, exec_lo
	v_cmpx_eq_u32_e32 0, v0
	s_cbranch_execz .LBB47_16
; %bb.15:
	v_cvt_f32_i32_e32 v1, s18
	s_delay_alu instid0(VALU_DEP_1) | instskip(SKIP_1) | instid1(VALU_DEP_2)
	v_div_scale_f32 v2, null, v1, v1, v12
	v_div_scale_f32 v5, vcc_lo, v12, v1, v12
	v_rcp_f32_e32 v3, v2
	s_waitcnt_depctr 0xfff
	v_fma_f32 v4, -v2, v3, 1.0
	s_delay_alu instid0(VALU_DEP_1) | instskip(NEXT) | instid1(VALU_DEP_1)
	v_fmac_f32_e32 v3, v4, v3
	v_mul_f32_e32 v4, v5, v3
	s_delay_alu instid0(VALU_DEP_1) | instskip(NEXT) | instid1(VALU_DEP_1)
	v_fma_f32 v6, -v2, v4, v5
	v_fmac_f32_e32 v4, v6, v3
	s_delay_alu instid0(VALU_DEP_1) | instskip(NEXT) | instid1(VALU_DEP_1)
	v_fma_f32 v2, -v2, v4, v5
	v_div_fmas_f32 v2, v2, v3, v4
	s_delay_alu instid0(VALU_DEP_1) | instskip(NEXT) | instid1(VALU_DEP_1)
	v_div_fixup_f32 v1, v2, v1, v12
	v_add_f32_e32 v1, s16, v1
	s_delay_alu instid0(VALU_DEP_1) | instskip(SKIP_1) | instid1(VALU_DEP_2)
	v_mul_f32_e32 v2, 0x4b800000, v1
	v_cmp_gt_f32_e32 vcc_lo, 0x800000, v1
	v_cndmask_b32_e32 v1, v1, v2, vcc_lo
	s_delay_alu instid0(VALU_DEP_1) | instskip(SKIP_2) | instid1(VALU_DEP_1)
	v_rsq_f32_e32 v1, v1
	s_waitcnt_depctr 0xfff
	v_mul_f32_e32 v2, 0x45800000, v1
	v_dual_cndmask_b32 v1, v1, v2 :: v_dual_mov_b32 v2, 0
	ds_store_b32 v2, v1 offset:4224
.LBB47_16:
	s_or_b32 exec_lo, exec_lo, s3
	s_ashr_i32 s3, s18, 31
	s_waitcnt lgkmcnt(0)
	s_lshr_b32 s3, s3, 25
	s_barrier
	s_add_i32 s3, s18, s3
	buffer_gl0_inv
	s_ashr_i32 s16, s3, 7
	s_ashr_i32 s3, s3, 31
	s_abs_i32 s9, s16
	s_delay_alu instid0(SALU_CYCLE_1) | instskip(SKIP_1) | instid1(VALU_DEP_1)
	v_cvt_f32_u32_e32 v1, s9
	s_sub_i32 s17, 0, s9
	v_rcp_iflag_f32_e32 v1, v1
	s_waitcnt_depctr 0xfff
	v_mul_f32_e32 v1, 0x4f7ffffe, v1
	s_delay_alu instid0(VALU_DEP_1) | instskip(NEXT) | instid1(VALU_DEP_1)
	v_cvt_u32_f32_e32 v1, v1
	v_readfirstlane_b32 s14, v1
	s_delay_alu instid0(VALU_DEP_1) | instskip(NEXT) | instid1(SALU_CYCLE_1)
	s_mul_i32 s17, s17, s14
	s_mul_hi_u32 s17, s14, s17
	s_delay_alu instid0(SALU_CYCLE_1) | instskip(NEXT) | instid1(SALU_CYCLE_1)
	s_add_i32 s14, s14, s17
	s_mul_hi_u32 s14, s33, s14
	s_delay_alu instid0(SALU_CYCLE_1) | instskip(SKIP_2) | instid1(SALU_CYCLE_1)
	s_mul_i32 s17, s14, s9
	s_add_i32 s20, s14, 1
	s_sub_i32 s17, s33, s17
	s_sub_i32 s21, s17, s9
	s_cmp_ge_u32 s17, s9
	s_cselect_b32 s14, s20, s14
	s_cselect_b32 s17, s21, s17
	s_add_i32 s20, s14, 1
	s_cmp_ge_u32 s17, s9
	s_cselect_b32 s9, s20, s14
	s_delay_alu instid0(SALU_CYCLE_1) | instskip(NEXT) | instid1(SALU_CYCLE_1)
	s_xor_b32 s9, s9, s3
	s_sub_i32 s20, s9, s3
	s_delay_alu instid0(SALU_CYCLE_1) | instskip(SKIP_3) | instid1(VALU_DEP_1)
	s_abs_i32 s3, s20
	s_ashr_i32 s21, s20, 31
	v_cvt_f32_u32_e32 v1, s3
	s_sub_i32 s9, 0, s3
	v_rcp_iflag_f32_e32 v1, v1
	s_waitcnt_depctr 0xfff
	v_mul_f32_e32 v1, 0x4f7ffffe, v1
	s_delay_alu instid0(VALU_DEP_1) | instskip(NEXT) | instid1(VALU_DEP_1)
	v_cvt_u32_f32_e32 v1, v1
	v_mul_lo_u32 v2, s9, v1
	s_ashr_i32 s9, s8, 31
	s_delay_alu instid0(VALU_DEP_1) | instskip(NEXT) | instid1(VALU_DEP_1)
	v_mul_hi_u32 v2, v1, v2
	v_add_nc_u32_e32 v1, v1, v2
	s_delay_alu instid0(VALU_DEP_1) | instskip(NEXT) | instid1(VALU_DEP_1)
	v_mul_hi_u32 v1, v0, v1
	v_mul_lo_u32 v2, v1, s3
	v_add_nc_u32_e32 v3, 1, v1
	s_delay_alu instid0(VALU_DEP_2) | instskip(NEXT) | instid1(VALU_DEP_1)
	v_sub_nc_u32_e32 v2, v0, v2
	v_subrev_nc_u32_e32 v4, s3, v2
	v_cmp_le_u32_e32 vcc_lo, s3, v2
	s_delay_alu instid0(VALU_DEP_2) | instskip(NEXT) | instid1(VALU_DEP_1)
	v_dual_cndmask_b32 v1, v1, v3 :: v_dual_cndmask_b32 v2, v2, v4
	v_dual_mov_b32 v4, 0 :: v_dual_add_nc_u32 v3, 1, v1
	s_delay_alu instid0(VALU_DEP_2) | instskip(SKIP_2) | instid1(VALU_DEP_1)
	v_cmp_le_u32_e32 vcc_lo, s3, v2
	ds_load_b32 v28, v4 offset:4224
	v_cndmask_b32_e32 v1, v1, v3, vcc_lo
	v_xor_b32_e32 v1, s21, v1
	s_delay_alu instid0(VALU_DEP_1) | instskip(NEXT) | instid1(VALU_DEP_1)
	v_subrev_nc_u32_e32 v1, s21, v1
	v_ashrrev_i32_e32 v2, 31, v1
	v_mul_lo_u32 v3, v1, s20
	s_delay_alu instid0(VALU_DEP_2) | instskip(NEXT) | instid1(VALU_DEP_2)
	v_lshlrev_b64 v[7:8], 5, v[1:2]
	v_sub_nc_u32_e32 v3, v0, v3
	s_delay_alu instid0(VALU_DEP_2) | instskip(NEXT) | instid1(VALU_DEP_3)
	v_add_co_u32 v5, vcc_lo, v7, 32
	v_add_co_ci_u32_e32 v6, vcc_lo, 0, v8, vcc_lo
	s_delay_alu instid0(VALU_DEP_1) | instskip(SKIP_4) | instid1(VALU_DEP_3)
	v_cmp_gt_i64_e32 vcc_lo, s[8:9], v[5:6]
	v_cndmask_b32_e32 v6, s9, v6, vcc_lo
	v_cndmask_b32_e32 v5, s8, v5, vcc_lo
	v_add_co_u32 v7, vcc_lo, v7, v3
	v_add_co_ci_u32_e32 v8, vcc_lo, 0, v8, vcc_lo
	v_ashrrev_i32_e32 v10, 31, v5
	v_mov_b32_e32 v9, v5
	s_mov_b32 s9, exec_lo
	s_delay_alu instid0(VALU_DEP_1)
	v_cmpx_lt_i64_e64 v[7:8], v[9:10]
	s_cbranch_execz .LBB47_26
; %bb.17:
	v_lshlrev_b64 v[11:12], 8, v[1:2]
	v_lshlrev_b64 v[13:14], 3, v[3:4]
	v_mov_b32_e32 v4, 0
	s_lshl_b64 s[22:23], s[20:21], 5
	s_mul_hi_i32 s14, s20, 3
	s_mul_i32 s17, s20, 3
	s_lshl_b64 s[24:25], s[20:21], 1
	v_add_co_u32 v21, vcc_lo, v11, v13
	v_add_co_ci_u32_e32 v22, vcc_lo, v12, v14, vcc_lo
	v_dual_mov_b32 v12, v8 :: v_dual_mov_b32 v11, v7
	s_lshl_b64 s[26:27], s[20:21], 3
	s_mov_b32 s34, 0
                                        ; implicit-def: $sgpr35
	s_branch .LBB47_21
.LBB47_18:                              ;   in Loop: Header=BB47_21 Depth=1
	s_or_b32 exec_lo, exec_lo, s38
	s_delay_alu instid0(SALU_CYCLE_1)
	s_or_not1_b32 s3, s3, exec_lo
.LBB47_19:                              ;   in Loop: Header=BB47_21 Depth=1
	s_or_b32 exec_lo, exec_lo, s37
	s_delay_alu instid0(SALU_CYCLE_1) | instskip(SKIP_1) | instid1(SALU_CYCLE_1)
	s_and_not1_b32 s35, s35, exec_lo
	s_and_b32 s3, s3, exec_lo
	s_or_b32 s35, s35, s3
.LBB47_20:                              ;   in Loop: Header=BB47_21 Depth=1
	s_or_b32 exec_lo, exec_lo, s36
	s_delay_alu instid0(SALU_CYCLE_1) | instskip(NEXT) | instid1(SALU_CYCLE_1)
	s_and_b32 s3, exec_lo, s35
	s_or_b32 s34, s3, s34
	s_delay_alu instid0(SALU_CYCLE_1)
	s_and_not1_b32 exec_lo, exec_lo, s34
	s_cbranch_execz .LBB47_25
.LBB47_21:                              ; =>This Inner Loop Header: Depth=1
	v_add_co_u32 v15, vcc_lo, s28, v21
	v_add_co_ci_u32_e32 v16, vcc_lo, s29, v22, vcc_lo
	v_add_co_u32 v19, vcc_lo, s30, v21
	v_add_co_ci_u32_e32 v20, vcc_lo, s31, v22, vcc_lo
	v_add_co_u32 v17, vcc_lo, s10, v21
	global_load_b64 v[13:14], v[15:16], off
	global_load_b64 v[23:24], v[19:20], off
	v_add_co_ci_u32_e32 v18, vcc_lo, s11, v22, vcc_lo
	s_or_b32 s35, s35, exec_lo
	s_mov_b32 s36, exec_lo
	global_load_b64 v[25:26], v[17:18], off
	s_waitcnt vmcnt(2)
	v_lshrrev_b32_e32 v27, 16, v13
	s_waitcnt vmcnt(1)
	v_lshrrev_b32_e32 v30, 16, v23
	v_lshrrev_b32_e32 v29, 16, v14
	v_cvt_f32_f16_e32 v13, v13
	v_lshrrev_b32_e32 v31, 16, v24
	v_cvt_f32_f16_e32 v23, v23
	v_cvt_f32_f16_e32 v27, v27
	v_cvt_f32_f16_e32 v30, v30
	v_cvt_f32_f16_e32 v14, v14
	v_cvt_f32_f16_e32 v24, v24
	v_cvt_f32_f16_e32 v29, v29
	v_add_f32_e32 v13, v13, v23
	v_cvt_f32_f16_e32 v23, v31
	s_delay_alu instid0(VALU_DEP_4)
	v_dual_add_f32 v27, v27, v30 :: v_dual_add_f32 v14, v14, v24
	s_waitcnt vmcnt(0)
	v_lshrrev_b32_e32 v30, 16, v25
	s_waitcnt lgkmcnt(0)
	v_fma_mixlo_f16 v13, v28, v13, 0
	v_add_f32_e32 v23, v29, v23
	v_fma_mixlo_f16 v24, v28, v27, 0
	v_lshrrev_b32_e32 v27, 16, v26
	v_fma_mixlo_f16 v14, v28, v14, 0
	v_mul_f16_e32 v13, v25, v13
	v_fma_mixlo_f16 v23, v28, v23, 0
	v_mul_f16_e32 v24, v30, v24
	s_delay_alu instid0(VALU_DEP_4) | instskip(NEXT) | instid1(VALU_DEP_4)
	v_mul_f16_e32 v25, v26, v14
	v_cvt_f32_f16_e64 v26, |v13|
	s_delay_alu instid0(VALU_DEP_4) | instskip(NEXT) | instid1(VALU_DEP_4)
	v_mul_f16_e32 v23, v27, v23
	v_cvt_f32_f16_e64 v24, |v24|
	v_add_co_u32 v13, vcc_lo, v11, s20
	v_cvt_f32_f16_e64 v25, |v25|
	s_delay_alu instid0(VALU_DEP_4) | instskip(NEXT) | instid1(VALU_DEP_4)
	v_cvt_f32_f16_e64 v23, |v23|
	v_max3_f32 v4, v4, v26, v24
	v_add_co_ci_u32_e32 v14, vcc_lo, s21, v12, vcc_lo
	s_delay_alu instid0(VALU_DEP_2) | instskip(NEXT) | instid1(VALU_DEP_2)
	v_max3_f32 v4, v4, v25, v23
	v_cmpx_lt_i64_e64 v[13:14], v[9:10]
	s_cbranch_execz .LBB47_20
; %bb.22:                               ;   in Loop: Header=BB47_21 Depth=1
	v_add_co_u32 v15, vcc_lo, v15, s26
	v_add_co_ci_u32_e32 v16, vcc_lo, s27, v16, vcc_lo
	v_add_co_u32 v19, vcc_lo, v19, s26
	v_add_co_ci_u32_e32 v20, vcc_lo, s27, v20, vcc_lo
	v_add_co_u32 v17, vcc_lo, v17, s26
	global_load_b64 v[23:24], v[15:16], off
	global_load_b64 v[25:26], v[19:20], off
	v_add_co_ci_u32_e32 v18, vcc_lo, s27, v18, vcc_lo
	s_mov_b32 s3, -1
	s_mov_b32 s37, exec_lo
	global_load_b64 v[29:30], v[17:18], off
	s_waitcnt vmcnt(2)
	v_lshrrev_b32_e32 v27, 16, v23
	s_waitcnt vmcnt(1)
	v_lshrrev_b32_e32 v32, 16, v25
	v_lshrrev_b32_e32 v31, 16, v24
	v_cvt_f32_f16_e32 v23, v23
	v_lshrrev_b32_e32 v33, 16, v26
	v_cvt_f32_f16_e32 v25, v25
	v_cvt_f32_f16_e32 v27, v27
	;; [unrolled: 1-line block ×6, first 2 shown]
	v_add_f32_e32 v23, v23, v25
	v_cvt_f32_f16_e32 v25, v33
	s_delay_alu instid0(VALU_DEP_4)
	v_dual_add_f32 v27, v27, v32 :: v_dual_add_f32 v24, v24, v26
	s_waitcnt vmcnt(0)
	v_lshrrev_b32_e32 v32, 16, v29
	v_fma_mixlo_f16 v23, v28, v23, 0
	v_add_f32_e32 v25, v31, v25
	v_fma_mixlo_f16 v26, v28, v27, 0
	v_lshrrev_b32_e32 v27, 16, v30
	v_fma_mixlo_f16 v24, v28, v24, 0
	v_mul_f16_e32 v23, v29, v23
	v_fma_mixlo_f16 v25, v28, v25, 0
	v_mul_f16_e32 v26, v32, v26
	s_delay_alu instid0(VALU_DEP_4) | instskip(NEXT) | instid1(VALU_DEP_4)
	v_mul_f16_e32 v29, v30, v24
	v_cvt_f32_f16_e64 v30, |v23|
	s_delay_alu instid0(VALU_DEP_4) | instskip(NEXT) | instid1(VALU_DEP_4)
	v_mul_f16_e32 v25, v27, v25
	v_cvt_f32_f16_e64 v26, |v26|
	v_add_co_u32 v23, vcc_lo, s24, v11
	v_cvt_f32_f16_e64 v27, |v29|
	s_delay_alu instid0(VALU_DEP_4) | instskip(NEXT) | instid1(VALU_DEP_4)
	v_cvt_f32_f16_e64 v25, |v25|
	v_max3_f32 v4, v4, v30, v26
	v_add_co_ci_u32_e32 v24, vcc_lo, s25, v12, vcc_lo
	s_delay_alu instid0(VALU_DEP_2) | instskip(NEXT) | instid1(VALU_DEP_2)
	v_max3_f32 v4, v4, v27, v25
	v_cmpx_lt_i64_e64 v[23:24], v[9:10]
	s_cbranch_execz .LBB47_19
; %bb.23:                               ;   in Loop: Header=BB47_21 Depth=1
	v_add_co_u32 v15, vcc_lo, v15, s26
	v_add_co_ci_u32_e32 v16, vcc_lo, s27, v16, vcc_lo
	v_add_co_u32 v19, vcc_lo, v19, s26
	v_add_co_ci_u32_e32 v20, vcc_lo, s27, v20, vcc_lo
	v_add_co_u32 v17, vcc_lo, v17, s26
	global_load_b64 v[23:24], v[15:16], off
	global_load_b64 v[25:26], v[19:20], off
	v_add_co_ci_u32_e32 v18, vcc_lo, s27, v18, vcc_lo
	v_add_co_u32 v11, vcc_lo, s17, v11
	v_add_co_ci_u32_e32 v12, vcc_lo, s14, v12, vcc_lo
	global_load_b64 v[29:30], v[17:18], off
	v_cmp_lt_i64_e32 vcc_lo, v[11:12], v[9:10]
                                        ; implicit-def: $vgpr11_vgpr12
	s_waitcnt vmcnt(2)
	v_lshrrev_b32_e32 v27, 16, v23
	s_waitcnt vmcnt(1)
	v_lshrrev_b32_e32 v32, 16, v25
	v_lshrrev_b32_e32 v31, 16, v24
	v_cvt_f32_f16_e32 v23, v23
	v_lshrrev_b32_e32 v33, 16, v26
	v_cvt_f32_f16_e32 v25, v25
	v_cvt_f32_f16_e32 v27, v27
	;; [unrolled: 1-line block ×6, first 2 shown]
	v_add_f32_e32 v23, v23, v25
	v_cvt_f32_f16_e32 v25, v33
	s_delay_alu instid0(VALU_DEP_4)
	v_dual_add_f32 v27, v27, v32 :: v_dual_add_f32 v24, v24, v26
	s_waitcnt vmcnt(0)
	v_lshrrev_b32_e32 v32, 16, v29
	v_fma_mixlo_f16 v23, v28, v23, 0
	v_add_f32_e32 v25, v31, v25
	v_fma_mixlo_f16 v26, v28, v27, 0
	v_lshrrev_b32_e32 v27, 16, v30
	v_fma_mixlo_f16 v24, v28, v24, 0
	v_mul_f16_e32 v23, v29, v23
	v_fma_mixlo_f16 v25, v28, v25, 0
	v_mul_f16_e32 v26, v32, v26
	s_delay_alu instid0(VALU_DEP_4) | instskip(NEXT) | instid1(VALU_DEP_4)
	v_mul_f16_e32 v24, v30, v24
	v_cvt_f32_f16_e64 v23, |v23|
	s_delay_alu instid0(VALU_DEP_4) | instskip(NEXT) | instid1(VALU_DEP_4)
	v_mul_f16_e32 v25, v27, v25
	v_cvt_f32_f16_e64 v26, |v26|
	s_delay_alu instid0(VALU_DEP_4) | instskip(NEXT) | instid1(VALU_DEP_2)
	v_cvt_f32_f16_e64 v24, |v24|
	v_max3_f32 v4, v4, v23, v26
	s_delay_alu instid0(VALU_DEP_4) | instskip(NEXT) | instid1(VALU_DEP_1)
	v_cvt_f32_f16_e64 v23, |v25|
	v_max3_f32 v4, v4, v24, v23
	s_and_saveexec_b32 s38, vcc_lo
	s_delay_alu instid0(SALU_CYCLE_1)
	s_xor_b32 s38, exec_lo, s38
	s_cbranch_execz .LBB47_18
; %bb.24:                               ;   in Loop: Header=BB47_21 Depth=1
	v_add_co_u32 v11, vcc_lo, v15, s26
	v_add_co_ci_u32_e32 v12, vcc_lo, s27, v16, vcc_lo
	v_add_co_u32 v15, vcc_lo, v19, s26
	v_add_co_ci_u32_e32 v16, vcc_lo, s27, v20, vcc_lo
	v_add_co_u32 v17, vcc_lo, v17, s26
	global_load_b64 v[11:12], v[11:12], off
	global_load_b64 v[15:16], v[15:16], off
	v_add_co_ci_u32_e32 v18, vcc_lo, s27, v18, vcc_lo
	s_add_u32 s3, s20, s20
	s_addc_u32 s39, s21, s21
	s_add_u32 s3, s3, s20
	global_load_b64 v[17:18], v[17:18], off
	s_addc_u32 s39, s39, s21
	s_waitcnt vmcnt(2)
	v_lshrrev_b32_e32 v19, 16, v11
	s_waitcnt vmcnt(1)
	v_lshrrev_b32_e32 v23, 16, v15
	v_lshrrev_b32_e32 v20, 16, v12
	v_cvt_f32_f16_e32 v11, v11
	v_lshrrev_b32_e32 v24, 16, v16
	v_cvt_f32_f16_e32 v15, v15
	v_cvt_f32_f16_e32 v19, v19
	v_cvt_f32_f16_e32 v23, v23
	v_cvt_f32_f16_e32 v12, v12
	v_cvt_f32_f16_e32 v16, v16
	v_cvt_f32_f16_e32 v20, v20
	v_add_f32_e32 v11, v11, v15
	v_cvt_f32_f16_e32 v15, v24
	s_delay_alu instid0(VALU_DEP_4)
	v_dual_add_f32 v19, v19, v23 :: v_dual_add_f32 v12, v12, v16
	s_waitcnt vmcnt(0)
	v_lshrrev_b32_e32 v23, 16, v17
	v_fma_mixlo_f16 v11, v28, v11, 0
	v_add_f32_e32 v15, v20, v15
	v_fma_mixlo_f16 v16, v28, v19, 0
	v_lshrrev_b32_e32 v19, 16, v18
	v_fma_mixlo_f16 v12, v28, v12, 0
	v_mul_f16_e32 v11, v17, v11
	v_fma_mixlo_f16 v15, v28, v15, 0
	v_mul_f16_e32 v16, v23, v16
	s_delay_alu instid0(VALU_DEP_4) | instskip(NEXT) | instid1(VALU_DEP_4)
	v_mul_f16_e32 v17, v18, v12
	v_cvt_f32_f16_e64 v18, |v11|
	s_delay_alu instid0(VALU_DEP_4) | instskip(NEXT) | instid1(VALU_DEP_4)
	v_mul_f16_e32 v15, v19, v15
	v_cvt_f32_f16_e64 v16, |v16|
	v_add_co_u32 v11, vcc_lo, s3, v13
	v_add_co_ci_u32_e32 v12, vcc_lo, s39, v14, vcc_lo
	v_cvt_f32_f16_e64 v13, |v17|
	v_cvt_f32_f16_e64 v14, |v15|
	v_max3_f32 v4, v4, v18, v16
	s_delay_alu instid0(VALU_DEP_4) | instskip(SKIP_1) | instid1(VALU_DEP_1)
	v_cmp_ge_i64_e32 vcc_lo, v[11:12], v[9:10]
	v_add_co_u32 v21, s3, v21, s22
	v_add_co_ci_u32_e64 v22, s3, s23, v22, s3
	s_delay_alu instid0(VALU_DEP_4)
	v_max3_f32 v4, v4, v13, v14
	s_or_not1_b32 s3, vcc_lo, exec_lo
	s_branch .LBB47_18
.LBB47_25:
	s_or_b32 exec_lo, exec_lo, s34
.LBB47_26:
	s_delay_alu instid0(SALU_CYCLE_1)
	s_or_b32 exec_lo, exec_lo, s9
	s_lshr_b32 s9, s33, 5
	v_lshlrev_b32_e32 v29, 2, v0
	v_cvt_f32_u32_e32 v9, s9
	s_sub_i32 s14, 0, s9
	s_add_i32 s17, s16, s9
	s_delay_alu instid0(SALU_CYCLE_1) | instskip(NEXT) | instid1(VALU_DEP_1)
	s_add_i32 s22, s17, -1
	v_rcp_iflag_f32_e32 v9, v9
	s_abs_i32 s23, s22
	s_ashr_i32 s17, s16, 31
	s_ashr_i32 s22, s22, 31
	ds_store_b32 v29, v4
	s_waitcnt lgkmcnt(0)
	s_barrier
	buffer_gl0_inv
	v_mul_f32_e32 v9, 0x4f7ffffe, v9
	s_delay_alu instid0(VALU_DEP_1) | instskip(NEXT) | instid1(VALU_DEP_1)
	v_cvt_u32_f32_e32 v9, v9
	v_readfirstlane_b32 s3, v9
	s_delay_alu instid0(VALU_DEP_1) | instskip(NEXT) | instid1(SALU_CYCLE_1)
	s_mul_i32 s14, s14, s3
	s_mul_hi_u32 s14, s3, s14
	s_delay_alu instid0(SALU_CYCLE_1) | instskip(NEXT) | instid1(SALU_CYCLE_1)
	s_add_i32 s3, s3, s14
	s_mul_hi_u32 s3, s23, s3
	s_delay_alu instid0(SALU_CYCLE_1) | instskip(NEXT) | instid1(SALU_CYCLE_1)
	s_mul_i32 s14, s3, s9
	s_sub_i32 s14, s23, s14
	s_add_i32 s23, s3, 1
	s_sub_i32 s24, s14, s9
	s_cmp_ge_u32 s14, s9
	s_cselect_b32 s3, s23, s3
	s_cselect_b32 s14, s24, s14
	s_add_i32 s23, s3, 1
	s_cmp_ge_u32 s14, s9
	s_cselect_b32 s3, s23, s3
	s_delay_alu instid0(SALU_CYCLE_1) | instskip(NEXT) | instid1(SALU_CYCLE_1)
	s_xor_b32 s3, s3, s22
	s_sub_i32 s22, s3, s22
	s_delay_alu instid0(SALU_CYCLE_1) | instskip(NEXT) | instid1(SALU_CYCLE_1)
	s_ashr_i32 s23, s22, 31
	v_cmp_lt_i64_e64 s3, s[22:23], 1
	s_delay_alu instid0(VALU_DEP_1)
	s_and_b32 vcc_lo, exec_lo, s3
	s_cbranch_vccnz .LBB47_46
; %bb.27:
	v_lshrrev_b32_e32 v9, 5, v0
	v_and_b32_e32 v4, 31, v0
	s_mov_b64 s[24:25], 0
	s_mov_b64 s[26:27], src_shared_base
	s_delay_alu instid0(VALU_DEP_2) | instskip(NEXT) | instid1(VALU_DEP_2)
	v_mul_lo_u32 v19, s20, v9
	v_add_co_u32 v11, s3, v4, 16
	s_delay_alu instid0(VALU_DEP_1) | instskip(SKIP_1) | instid1(VALU_DEP_1)
	v_add_co_ci_u32_e64 v12, null, 0, 0, s3
	v_add_co_u32 v13, s3, v4, 8
	v_add_co_ci_u32_e64 v14, null, 0, 0, s3
	v_add_co_u32 v15, s3, v4, 4
	v_dual_mov_b32 v10, 0 :: v_dual_lshlrev_b32 v21, 2, v19
	v_lshlrev_b32_e32 v22, 2, v4
	v_add_co_ci_u32_e64 v16, null, 0, 0, s3
	v_add_co_u32 v17, s3, v4, 2
	s_delay_alu instid0(VALU_DEP_1) | instskip(SKIP_1) | instid1(VALU_DEP_1)
	v_add_co_ci_u32_e64 v18, null, 0, 0, s3
	v_add_co_u32 v19, s3, v4, 1
	v_add_co_ci_u32_e64 v20, null, 0, 0, s3
	v_add3_u32 v30, v21, v22, 0x80
	s_mul_i32 s3, s20, s9
	s_delay_alu instid0(SALU_CYCLE_1)
	s_lshl_b32 s14, s3, 2
	s_branch .LBB47_30
.LBB47_28:                              ;   in Loop: Header=BB47_30 Depth=1
	s_or_b32 exec_lo, exec_lo, s3
	v_mov_b32_e32 v22, s27
	flat_load_b32 v21, v[21:22] glc dlc
	s_waitcnt vmcnt(0)
.LBB47_29:                              ;   in Loop: Header=BB47_30 Depth=1
	s_or_b32 exec_lo, exec_lo, s26
	s_add_u32 s24, s24, 1
	v_add_nc_u32_e32 v30, s14, v30
	s_addc_u32 s25, s25, 0
	s_delay_alu instid0(SALU_CYCLE_1)
	s_cmp_eq_u64 s[24:25], s[22:23]
	s_cbranch_scc1 .LBB47_46
.LBB47_30:                              ; =>This Loop Header: Depth=1
                                        ;     Child Loop BB47_33 Depth 2
	s_waitcnt lgkmcnt(0)
	v_mad_u64_u32 v[21:22], null, s24, s9, v[9:10]
	s_mov_b32 s26, exec_lo
	s_delay_alu instid0(VALU_DEP_1) | instskip(NEXT) | instid1(VALU_DEP_1)
	v_mad_u64_u32 v[23:24], null, s25, s9, v[22:23]
	v_mov_b32_e32 v22, v23
	s_delay_alu instid0(VALU_DEP_1)
	v_cmpx_gt_i64_e64 s[16:17], v[21:22]
	s_cbranch_execz .LBB47_29
; %bb.31:                               ;   in Loop: Header=BB47_30 Depth=1
	v_mul_lo_u32 v24, v22, s20
	v_mul_lo_u32 v25, v21, s21
	v_mad_u64_u32 v[22:23], null, v21, s20, 0
	s_delay_alu instid0(VALU_DEP_1) | instskip(NEXT) | instid1(VALU_DEP_2)
	v_add3_u32 v23, v23, v25, v24
	v_add_co_u32 v24, vcc_lo, v22, s20
	v_add_co_u32 v31, s3, v22, v4
	s_delay_alu instid0(VALU_DEP_3) | instskip(SKIP_2) | instid1(VALU_DEP_2)
	v_add_co_ci_u32_e32 v25, vcc_lo, s21, v23, vcc_lo
	v_add_co_ci_u32_e64 v21, s3, 0, v23, s3
	s_mov_b32 s3, exec_lo
	v_cmp_gt_i64_e32 vcc_lo, s[18:19], v[24:25]
	v_cndmask_b32_e32 v25, s19, v25, vcc_lo
	v_cndmask_b32_e32 v24, s18, v24, vcc_lo
	v_add_co_u32 v26, vcc_lo, v31, 32
	v_add_co_ci_u32_e32 v27, vcc_lo, 0, v21, vcc_lo
	v_lshlrev_b32_e32 v21, 2, v31
	s_delay_alu instid0(VALU_DEP_2)
	v_cmpx_lt_i64_e64 v[26:27], v[24:25]
	s_cbranch_execz .LBB47_34
; %bb.32:                               ;   in Loop: Header=BB47_30 Depth=1
	ds_load_b32 v33, v21
	v_mov_b32_e32 v32, v30
	s_mov_b32 s34, 0
.LBB47_33:                              ;   Parent Loop BB47_30 Depth=1
                                        ; =>  This Inner Loop Header: Depth=2
	ds_load_b32 v34, v32
	v_add_co_u32 v26, vcc_lo, v26, 32
	v_add_co_ci_u32_e32 v27, vcc_lo, 0, v27, vcc_lo
	s_waitcnt lgkmcnt(1)
	v_dual_max_f32 v33, v33, v33 :: v_dual_add_nc_u32 v32, 0x80, v32
	s_delay_alu instid0(VALU_DEP_2) | instskip(SKIP_3) | instid1(VALU_DEP_1)
	v_cmp_ge_i64_e32 vcc_lo, v[26:27], v[24:25]
	s_or_b32 s34, vcc_lo, s34
	s_waitcnt lgkmcnt(0)
	v_max_f32_e32 v34, v34, v34
	v_max_f32_e32 v33, v33, v34
	ds_store_b32 v21, v33
	s_and_not1_b32 exec_lo, exec_lo, s34
	s_cbranch_execnz .LBB47_33
.LBB47_34:                              ;   in Loop: Header=BB47_30 Depth=1
	s_or_b32 exec_lo, exec_lo, s3
	v_sub_co_u32 v22, vcc_lo, v24, v22
	v_sub_co_ci_u32_e32 v23, vcc_lo, v25, v23, vcc_lo
	s_mov_b32 s3, exec_lo
	s_delay_alu instid0(VALU_DEP_1) | instskip(SKIP_1) | instid1(VALU_DEP_1)
	v_cmp_gt_i64_e32 vcc_lo, 32, v[22:23]
	v_dual_cndmask_b32 v24, 0, v23 :: v_dual_cndmask_b32 v23, 32, v22
	v_cmpx_lt_i64_e64 v[11:12], v[23:24]
	s_cbranch_execz .LBB47_36
; %bb.35:                               ;   in Loop: Header=BB47_30 Depth=1
	v_dual_mov_b32 v22, s27 :: v_dual_add_nc_u32 v25, 64, v21
	v_mov_b32_e32 v26, s27
	flat_load_b32 v27, v[21:22] glc dlc
	s_waitcnt vmcnt(0)
	flat_load_b32 v25, v[25:26] glc dlc
	s_waitcnt vmcnt(0) lgkmcnt(0)
	v_dual_max_f32 v26, v27, v27 :: v_dual_max_f32 v25, v25, v25
	s_delay_alu instid0(VALU_DEP_1)
	v_max_f32_e32 v25, v26, v25
	flat_store_b32 v[21:22], v25 dlc
	s_waitcnt_vscnt null, 0x0
.LBB47_36:                              ;   in Loop: Header=BB47_30 Depth=1
	s_or_b32 exec_lo, exec_lo, s3
	s_delay_alu instid0(SALU_CYCLE_1)
	s_mov_b32 s3, exec_lo
	v_cmpx_lt_i64_e64 v[13:14], v[23:24]
	s_cbranch_execz .LBB47_38
; %bb.37:                               ;   in Loop: Header=BB47_30 Depth=1
	v_dual_mov_b32 v22, s27 :: v_dual_add_nc_u32 v25, 32, v21
	v_mov_b32_e32 v26, s27
	flat_load_b32 v27, v[21:22] glc dlc
	s_waitcnt vmcnt(0)
	flat_load_b32 v25, v[25:26] glc dlc
	s_waitcnt vmcnt(0) lgkmcnt(0)
	v_dual_max_f32 v26, v27, v27 :: v_dual_max_f32 v25, v25, v25
	s_delay_alu instid0(VALU_DEP_1)
	v_max_f32_e32 v25, v26, v25
	flat_store_b32 v[21:22], v25 dlc
	s_waitcnt_vscnt null, 0x0
.LBB47_38:                              ;   in Loop: Header=BB47_30 Depth=1
	s_or_b32 exec_lo, exec_lo, s3
	s_delay_alu instid0(SALU_CYCLE_1)
	s_mov_b32 s3, exec_lo
	v_cmpx_ge_i64_e64 v[15:16], v[23:24]
	s_xor_b32 s3, exec_lo, s3
; %bb.39:                               ;   in Loop: Header=BB47_30 Depth=1
                                        ; implicit-def: $vgpr21
; %bb.40:                               ;   in Loop: Header=BB47_30 Depth=1
	s_delay_alu instid0(SALU_CYCLE_1)
	s_and_not1_saveexec_b32 s3, s3
	s_cbranch_execz .LBB47_42
; %bb.41:                               ;   in Loop: Header=BB47_30 Depth=1
	v_dual_mov_b32 v22, s27 :: v_dual_add_nc_u32 v25, 16, v21
	v_mov_b32_e32 v26, s27
	flat_load_b32 v27, v[21:22] glc dlc
	s_waitcnt vmcnt(0)
	flat_load_b32 v25, v[25:26] glc dlc
	s_waitcnt vmcnt(0) lgkmcnt(0)
	v_dual_max_f32 v26, v27, v27 :: v_dual_max_f32 v25, v25, v25
	s_delay_alu instid0(VALU_DEP_1)
	v_max_f32_e32 v25, v26, v25
	flat_store_b32 v[21:22], v25 dlc
	s_waitcnt_vscnt null, 0x0
.LBB47_42:                              ;   in Loop: Header=BB47_30 Depth=1
	s_or_b32 exec_lo, exec_lo, s3
	v_lshlrev_b32_e32 v21, 2, v31
	s_mov_b32 s3, exec_lo
	v_cmpx_lt_i64_e64 v[17:18], v[23:24]
	s_cbranch_execz .LBB47_44
; %bb.43:                               ;   in Loop: Header=BB47_30 Depth=1
	s_delay_alu instid0(VALU_DEP_2)
	v_dual_mov_b32 v22, s27 :: v_dual_add_nc_u32 v25, 8, v21
	v_mov_b32_e32 v26, s27
	flat_load_b32 v27, v[21:22] glc dlc
	s_waitcnt vmcnt(0)
	flat_load_b32 v25, v[25:26] glc dlc
	s_waitcnt vmcnt(0) lgkmcnt(0)
	v_dual_max_f32 v26, v27, v27 :: v_dual_max_f32 v25, v25, v25
	s_delay_alu instid0(VALU_DEP_1)
	v_max_f32_e32 v25, v26, v25
	flat_store_b32 v[21:22], v25 dlc
	s_waitcnt_vscnt null, 0x0
.LBB47_44:                              ;   in Loop: Header=BB47_30 Depth=1
	s_or_b32 exec_lo, exec_lo, s3
	s_delay_alu instid0(SALU_CYCLE_1)
	s_mov_b32 s3, exec_lo
	v_cmpx_lt_i64_e64 v[19:20], v[23:24]
	s_cbranch_execz .LBB47_28
; %bb.45:                               ;   in Loop: Header=BB47_30 Depth=1
	v_dual_mov_b32 v22, s27 :: v_dual_add_nc_u32 v23, 4, v21
	v_mov_b32_e32 v24, s27
	flat_load_b32 v25, v[21:22] glc dlc
	s_waitcnt vmcnt(0)
	flat_load_b32 v23, v[23:24] glc dlc
	s_waitcnt vmcnt(0) lgkmcnt(0)
	v_dual_max_f32 v24, v25, v25 :: v_dual_max_f32 v23, v23, v23
	s_delay_alu instid0(VALU_DEP_1)
	v_max_f32_e32 v23, v24, v23
	flat_store_b32 v[21:22], v23 dlc
	s_waitcnt_vscnt null, 0x0
	s_branch .LBB47_28
.LBB47_46:
	v_cmp_lt_i64_e32 vcc_lo, v[7:8], v[5:6]
	v_cmp_eq_u32_e64 s3, 0, v3
	s_mul_i32 s9, s17, s15
	s_mul_hi_u32 s17, s16, s15
	s_mul_i32 s14, s16, s15
	s_waitcnt lgkmcnt(0)
	s_and_b32 s18, s3, vcc_lo
	s_barrier
	buffer_gl0_inv
	s_and_saveexec_b32 s3, s18
	s_cbranch_execz .LBB47_50
; %bb.47:
	s_load_b64 s[0:1], s[0:1], 0x20
	ds_load_b32 v3, v29
	s_waitcnt lgkmcnt(0)
	s_cmp_eq_u64 s[0:1], 0
	s_cbranch_scc1 .LBB47_49
; %bb.48:
	s_load_b32 s0, s[0:1], 0x0
	v_max_f32_e32 v3, v3, v3
	s_waitcnt lgkmcnt(0)
	v_max_f32_e64 v4, s0, s0
	s_delay_alu instid0(VALU_DEP_1)
	v_min_f32_e32 v3, v3, v4
.LBB47_49:
	s_delay_alu instid0(VALU_DEP_1) | instskip(SKIP_2) | instid1(VALU_DEP_2)
	v_div_scale_f32 v4, null, 0x42fe0000, 0x42fe0000, v3
	v_div_scale_f32 v7, vcc_lo, v3, 0x42fe0000, v3
	s_add_i32 s15, s17, s9
	v_rcp_f32_e32 v5, v4
	v_lshlrev_b64 v[1:2], 2, v[1:2]
	s_lshl_b64 s[0:1], s[14:15], 2
	s_delay_alu instid0(SALU_CYCLE_1) | instskip(SKIP_3) | instid1(VALU_DEP_1)
	s_add_u32 s0, s6, s0
	s_addc_u32 s1, s7, s1
	s_waitcnt_depctr 0xfff
	v_fma_f32 v6, -v4, v5, 1.0
	v_fmac_f32_e32 v5, v6, v5
	s_delay_alu instid0(VALU_DEP_1) | instskip(NEXT) | instid1(VALU_DEP_1)
	v_mul_f32_e32 v6, v7, v5
	v_fma_f32 v8, -v4, v6, v7
	s_delay_alu instid0(VALU_DEP_1) | instskip(NEXT) | instid1(VALU_DEP_1)
	v_fmac_f32_e32 v6, v8, v5
	v_fma_f32 v4, -v4, v6, v7
	s_delay_alu instid0(VALU_DEP_1) | instskip(SKIP_2) | instid1(VALU_DEP_3)
	v_div_fmas_f32 v4, v4, v5, v6
	v_add_co_u32 v1, vcc_lo, s0, v1
	v_add_co_ci_u32_e32 v2, vcc_lo, s1, v2, vcc_lo
	v_div_fixup_f32 v3, v4, 0x42fe0000, v3
	s_delay_alu instid0(VALU_DEP_1)
	v_max_f32_e32 v3, 0x34000000, v3
	global_store_b32 v[1:2], v3, off
.LBB47_50:
	s_or_b32 exec_lo, exec_lo, s3
	s_waitcnt_vscnt null, 0x0
	s_barrier
	buffer_gl0_inv
	s_and_saveexec_b32 s0, s2
	s_cbranch_execz .LBB47_59
; %bb.51:
	s_add_u32 s2, s4, s12
	s_addc_u32 s3, s5, s13
	s_add_i32 s15, s17, s9
	v_mov_b32_e32 v1, 0
	s_lshl_b64 s[0:1], s[14:15], 2
	s_mul_i32 s4, s33, 3
	s_add_u32 s0, s6, s0
	s_addc_u32 s1, s7, s1
	s_lshl_b32 s5, s33, 1
	s_mov_b32 s6, 0
	s_add_i32 s7, s33, s33
                                        ; implicit-def: $sgpr9
	s_branch .LBB47_55
.LBB47_52:                              ;   in Loop: Header=BB47_55 Depth=1
	s_or_b32 exec_lo, exec_lo, s14
	s_delay_alu instid0(SALU_CYCLE_1)
	s_or_not1_b32 s14, s15, exec_lo
.LBB47_53:                              ;   in Loop: Header=BB47_55 Depth=1
	s_or_b32 exec_lo, exec_lo, s13
	s_delay_alu instid0(SALU_CYCLE_1) | instskip(SKIP_1) | instid1(SALU_CYCLE_1)
	s_and_not1_b32 s9, s9, exec_lo
	s_and_b32 s13, s14, exec_lo
	s_or_b32 s9, s9, s13
.LBB47_54:                              ;   in Loop: Header=BB47_55 Depth=1
	s_or_b32 exec_lo, exec_lo, s12
	s_delay_alu instid0(SALU_CYCLE_1) | instskip(NEXT) | instid1(SALU_CYCLE_1)
	s_and_b32 s12, exec_lo, s9
	s_or_b32 s6, s12, s6
	s_delay_alu instid0(SALU_CYCLE_1)
	s_and_not1_b32 exec_lo, exec_lo, s6
	s_cbranch_execz .LBB47_59
.LBB47_55:                              ; =>This Inner Loop Header: Depth=1
	v_lshrrev_b32_e32 v2, 3, v0
	v_lshlrev_b64 v[10:11], 2, v[0:1]
	s_or_b32 s9, s9, exec_lo
	s_mov_b32 s12, exec_lo
	s_delay_alu instid0(VALU_DEP_2)
	v_and_b32_e32 v4, 0x7fffffc, v2
	v_lshlrev_b64 v[2:3], 3, v[0:1]
	global_load_b32 v12, v4, s[0:1]
	v_add_co_u32 v4, vcc_lo, s28, v2
	v_add_co_ci_u32_e32 v5, vcc_lo, s29, v3, vcc_lo
	v_add_co_u32 v6, vcc_lo, s10, v2
	v_add_co_ci_u32_e32 v7, vcc_lo, s11, v3, vcc_lo
	;; [unrolled: 2-line block ×3, first 2 shown]
	global_load_b64 v[2:3], v[6:7], off
	global_load_b64 v[4:5], v[4:5], off
	;; [unrolled: 1-line block ×3, first 2 shown]
	s_waitcnt vmcnt(3)
	v_div_scale_f32 v13, null, v12, v12, 1.0
	v_div_scale_f32 v15, vcc_lo, 1.0, v12, 1.0
	s_delay_alu instid0(VALU_DEP_2)
	v_rcp_f32_e32 v14, v13
	s_waitcnt vmcnt(2)
	v_lshrrev_b32_e32 v18, 16, v3
	s_waitcnt vmcnt(1)
	v_cvt_f32_f16_e32 v19, v4
	s_waitcnt_depctr 0xfff
	v_fma_f32 v17, -v13, v14, 1.0
	v_lshrrev_b32_e32 v4, 16, v4
	s_waitcnt vmcnt(0)
	v_cvt_f32_f16_e32 v20, v6
	v_lshrrev_b32_e32 v6, 16, v6
	v_cvt_f32_f16_e32 v21, v7
	v_fmac_f32_e32 v14, v17, v14
	v_cvt_f32_f16_e32 v17, v5
	v_add_f32_e32 v19, v19, v20
	v_lshrrev_b32_e32 v5, 16, v5
	v_lshrrev_b32_e32 v7, 16, v7
	v_cvt_f32_f16_e32 v4, v4
	v_cvt_f32_f16_e32 v6, v6
	v_add_f32_e32 v17, v17, v21
	v_cvt_f32_f16_e32 v5, v5
	v_cvt_f32_f16_e32 v7, v7
	v_mul_f32_e32 v22, v15, v14
	v_add_f32_e32 v4, v4, v6
	v_fma_mixlo_f16 v6, v28, v17, 0
	v_lshrrev_b32_e32 v16, 16, v2
	v_add_f32_e32 v5, v5, v7
	v_fma_f32 v23, -v13, v22, v15
	v_fma_mixlo_f16 v7, v28, v19, 0
	v_mul_f16_e32 v3, v3, v6
	v_fma_mixlo_f16 v20, v28, v4, 0
	v_fma_mixlo_f16 v6, v28, v5, 0
	v_cvt_f16_f32_e32 v5, v5
	v_mul_f16_e32 v2, v2, v7
	v_cvt_f32_f16_e32 v3, v3
	v_fmac_f32_e32 v22, v23, v14
	v_mul_f16_e32 v7, v16, v20
	v_mul_f16_e32 v6, v18, v6
	v_cvt_f32_f16_e32 v2, v2
	s_delay_alu instid0(VALU_DEP_4) | instskip(NEXT) | instid1(VALU_DEP_4)
	v_fma_f32 v13, -v13, v22, v15
	v_cvt_f32_f16_e32 v7, v7
	s_delay_alu instid0(VALU_DEP_4) | instskip(NEXT) | instid1(VALU_DEP_3)
	v_cvt_f32_f16_e32 v6, v6
	v_div_fmas_f32 v13, v13, v14, v22
	v_cvt_f16_f32_e32 v14, v17
	s_delay_alu instid0(VALU_DEP_2) | instskip(SKIP_1) | instid1(VALU_DEP_2)
	v_div_fixup_f32 v12, v13, v12, 1.0
	v_cvt_f16_f32_e32 v13, v19
	v_mul_f32_e32 v3, v12, v3
	v_mul_f32_e32 v2, v12, v2
	;; [unrolled: 1-line block ×4, first 2 shown]
	v_cvt_f16_f32_e32 v12, v4
	v_rndne_f32_e32 v3, v3
	v_rndne_f32_e32 v2, v2
	;; [unrolled: 1-line block ×3, first 2 shown]
	s_delay_alu instid0(VALU_DEP_3) | instskip(SKIP_1) | instid1(VALU_DEP_4)
	v_cmp_nlt_f32_e32 vcc_lo, 0x42fe0000, v3
	v_cndmask_b32_e32 v7, 0x42fe0000, v3, vcc_lo
	v_cmp_nlt_f32_e32 vcc_lo, 0x42fe0000, v2
	v_cndmask_b32_e32 v15, 0x42fe0000, v2, vcc_lo
	;; [unrolled: 2-line block ×3, first 2 shown]
	v_cmp_ngt_f32_e32 vcc_lo, 0xc3000000, v3
	v_cndmask_b32_e32 v3, 0xc3000000, v7, vcc_lo
	s_delay_alu instid0(VALU_DEP_1) | instskip(NEXT) | instid1(VALU_DEP_1)
	v_cvt_i32_f32_e32 v3, v3
	v_and_b32_e32 v3, 0xff, v3
	v_rndne_f32_e32 v6, v6
	s_delay_alu instid0(VALU_DEP_1)
	v_cmp_nlt_f32_e32 vcc_lo, 0x42fe0000, v6
	v_cndmask_b32_e32 v7, 0x42fe0000, v6, vcc_lo
	v_cmp_ngt_f32_e32 vcc_lo, 0xc3000000, v4
	v_cndmask_b32_e32 v4, 0xc3000000, v16, vcc_lo
	v_cmp_ngt_f32_e32 vcc_lo, 0xc3000000, v2
	v_cndmask_b32_e32 v2, 0xc3000000, v15, vcc_lo
	v_lshlrev_b32_e32 v15, 16, v3
	v_cmp_ngt_f32_e32 vcc_lo, 0xc3000000, v6
	v_cvt_i32_f32_e32 v4, v4
	v_pack_b32_f16 v3, v13, v12
	v_cvt_i32_f32_e32 v2, v2
	v_cndmask_b32_e32 v6, 0xc3000000, v7, vcc_lo
	s_delay_alu instid0(VALU_DEP_4) | instskip(SKIP_1) | instid1(VALU_DEP_4)
	v_and_b32_e32 v7, 0xff, v4
	v_pack_b32_f16 v4, v14, v5
	v_and_b32_e32 v12, 0xff, v2
	v_add_co_u32 v5, vcc_lo, s2, v10
	v_cvt_i32_f32_e32 v6, v6
	v_lshlrev_b32_e32 v7, 8, v7
	v_add_nc_u32_e32 v2, s33, v0
	global_store_b64 v[8:9], v[3:4], off
	v_lshl_or_b32 v13, v6, 24, v15
	v_add_co_ci_u32_e32 v6, vcc_lo, s3, v11, vcc_lo
	s_delay_alu instid0(VALU_DEP_2)
	v_or3_b32 v7, v13, v7, v12
	global_store_b32 v[5:6], v7, off
	v_cmpx_gt_u32_e64 s8, v2
	s_cbranch_execz .LBB47_54
; %bb.56:                               ;   in Loop: Header=BB47_55 Depth=1
	v_lshrrev_b32_e32 v4, 3, v2
	v_mov_b32_e32 v3, v1
	s_mov_b32 s14, -1
	s_mov_b32 s13, exec_lo
	s_delay_alu instid0(VALU_DEP_2) | instskip(NEXT) | instid1(VALU_DEP_2)
	v_and_b32_e32 v6, 0x7fffffc, v4
	v_lshlrev_b64 v[4:5], 3, v[2:3]
	v_lshlrev_b64 v[12:13], 2, v[2:3]
	global_load_b32 v14, v6, s[0:1]
	v_add_co_u32 v6, vcc_lo, s28, v4
	v_add_co_ci_u32_e32 v7, vcc_lo, s29, v5, vcc_lo
	v_add_co_u32 v8, vcc_lo, s10, v4
	v_add_co_ci_u32_e32 v9, vcc_lo, s11, v5, vcc_lo
	;; [unrolled: 2-line block ×3, first 2 shown]
	global_load_b64 v[8:9], v[8:9], off
	global_load_b64 v[6:7], v[6:7], off
	global_load_b64 v[10:11], v[4:5], off
	s_waitcnt vmcnt(3)
	v_div_scale_f32 v15, null, v14, v14, 1.0
	v_div_scale_f32 v3, vcc_lo, 1.0, v14, 1.0
	s_delay_alu instid0(VALU_DEP_2)
	v_rcp_f32_e32 v16, v15
	s_waitcnt vmcnt(2)
	v_lshrrev_b32_e32 v17, 16, v8
	s_waitcnt vmcnt(1)
	v_cvt_f32_f16_e32 v20, v6
	s_waitcnt_depctr 0xfff
	v_fma_f32 v18, -v15, v16, 1.0
	s_waitcnt vmcnt(0)
	v_cvt_f32_f16_e32 v22, v11
	v_lshrrev_b32_e32 v11, 16, v11
	v_lshrrev_b32_e32 v6, 16, v6
	v_cvt_f32_f16_e32 v21, v10
	v_lshrrev_b32_e32 v10, 16, v10
	v_lshrrev_b32_e32 v19, 16, v9
	v_cvt_f32_f16_e32 v11, v11
	v_fmac_f32_e32 v16, v18, v16
	v_cvt_f32_f16_e32 v18, v7
	v_lshrrev_b32_e32 v7, 16, v7
	v_cvt_f32_f16_e32 v6, v6
	v_cvt_f32_f16_e32 v10, v10
	s_delay_alu instid0(VALU_DEP_4) | instskip(NEXT) | instid1(VALU_DEP_4)
	v_add_f32_e32 v18, v18, v22
	v_cvt_f32_f16_e32 v7, v7
	s_delay_alu instid0(VALU_DEP_1) | instskip(SKIP_1) | instid1(VALU_DEP_1)
	v_add_f32_e32 v7, v7, v11
	v_mul_f32_e32 v23, v3, v16
	v_fma_f32 v24, -v15, v23, v3
	v_add_f32_e32 v6, v6, v10
	v_fma_mixlo_f16 v10, v28, v18, 0
	s_delay_alu instid0(VALU_DEP_3) | instskip(NEXT) | instid1(VALU_DEP_2)
	v_fmac_f32_e32 v23, v24, v16
	v_mul_f16_e32 v9, v9, v10
	v_fma_mixlo_f16 v10, v28, v7, 0
	v_cvt_f16_f32_e32 v7, v7
	s_delay_alu instid0(VALU_DEP_4) | instskip(SKIP_3) | instid1(VALU_DEP_4)
	v_fma_f32 v3, -v15, v23, v3
	v_cvt_f16_f32_e32 v15, v18
	v_cvt_f32_f16_e32 v9, v9
	v_mul_f16_e32 v10, v19, v10
	v_div_fmas_f32 v3, v3, v16, v23
	s_delay_alu instid0(VALU_DEP_4) | instskip(NEXT) | instid1(VALU_DEP_3)
	v_pack_b32_f16 v7, v15, v7
	v_cvt_f32_f16_e32 v10, v10
	s_delay_alu instid0(VALU_DEP_3) | instskip(SKIP_3) | instid1(VALU_DEP_3)
	v_div_fixup_f32 v3, v3, v14, 1.0
	v_add_f32_e32 v20, v20, v21
	v_fma_mixlo_f16 v21, v28, v6, 0
	v_cvt_f16_f32_e32 v6, v6
	v_fma_mixlo_f16 v11, v28, v20, 0
	s_delay_alu instid0(VALU_DEP_1) | instskip(NEXT) | instid1(VALU_DEP_4)
	v_mul_f16_e32 v8, v8, v11
	v_mul_f16_e32 v11, v17, v21
	s_delay_alu instid0(VALU_DEP_2) | instskip(NEXT) | instid1(VALU_DEP_2)
	v_cvt_f32_f16_e32 v8, v8
	v_cvt_f32_f16_e32 v11, v11
	s_delay_alu instid0(VALU_DEP_2) | instskip(NEXT) | instid1(VALU_DEP_2)
	v_mul_f32_e32 v8, v3, v8
	v_mul_f32_e32 v11, v3, v11
	v_cvt_f16_f32_e32 v14, v20
	s_delay_alu instid0(VALU_DEP_3) | instskip(SKIP_4) | instid1(VALU_DEP_4)
	v_rndne_f32_e32 v8, v8
	v_mul_f32_e32 v9, v3, v9
	v_mul_f32_e32 v3, v3, v10
	v_rndne_f32_e32 v10, v11
	v_pack_b32_f16 v6, v14, v6
	v_rndne_f32_e32 v9, v9
	s_delay_alu instid0(VALU_DEP_4)
	v_rndne_f32_e32 v3, v3
	global_store_b64 v[4:5], v[6:7], off
	v_cmp_nlt_f32_e32 vcc_lo, 0x42fe0000, v9
	v_cndmask_b32_e32 v11, 0x42fe0000, v9, vcc_lo
	v_cmp_nlt_f32_e32 vcc_lo, 0x42fe0000, v8
	v_cndmask_b32_e32 v16, 0x42fe0000, v8, vcc_lo
	;; [unrolled: 2-line block ×3, first 2 shown]
	v_cmp_ngt_f32_e32 vcc_lo, 0xc3000000, v9
	v_cndmask_b32_e32 v9, 0xc3000000, v11, vcc_lo
	v_cmp_nlt_f32_e32 vcc_lo, 0x42fe0000, v3
	v_cndmask_b32_e32 v11, 0x42fe0000, v3, vcc_lo
	v_cmp_ngt_f32_e32 vcc_lo, 0xc3000000, v10
	v_cndmask_b32_e32 v10, 0xc3000000, v17, vcc_lo
	v_cmp_ngt_f32_e32 vcc_lo, 0xc3000000, v8
	s_delay_alu instid0(VALU_DEP_2) | instskip(NEXT) | instid1(VALU_DEP_1)
	v_cvt_i32_f32_e32 v10, v10
	v_and_b32_e32 v10, 0xff, v10
	s_delay_alu instid0(VALU_DEP_1) | instskip(SKIP_1) | instid1(VALU_DEP_1)
	v_lshlrev_b32_e32 v10, 8, v10
	v_cvt_i32_f32_e32 v9, v9
	v_and_b32_e32 v9, 0xff, v9
	v_cndmask_b32_e32 v8, 0xc3000000, v16, vcc_lo
	v_cmp_ngt_f32_e32 vcc_lo, 0xc3000000, v3
	s_delay_alu instid0(VALU_DEP_3) | instskip(NEXT) | instid1(VALU_DEP_3)
	v_lshlrev_b32_e32 v9, 16, v9
	v_cvt_i32_f32_e32 v8, v8
	v_cndmask_b32_e32 v3, 0xc3000000, v11, vcc_lo
	s_delay_alu instid0(VALU_DEP_2) | instskip(NEXT) | instid1(VALU_DEP_2)
	v_and_b32_e32 v11, 0xff, v8
	v_cvt_i32_f32_e32 v3, v3
	v_add_co_u32 v8, vcc_lo, s2, v12
	s_delay_alu instid0(VALU_DEP_2) | instskip(SKIP_2) | instid1(VALU_DEP_3)
	v_lshl_or_b32 v14, v3, 24, v9
	v_add_nc_u32_e32 v3, s5, v0
	v_add_co_ci_u32_e32 v9, vcc_lo, s3, v13, vcc_lo
	v_or3_b32 v10, v14, v10, v11
	global_store_b32 v[8:9], v10, off
	v_cmpx_gt_u32_e64 s8, v3
	s_cbranch_execz .LBB47_53
; %bb.57:                               ;   in Loop: Header=BB47_55 Depth=1
	v_lshrrev_b32_e32 v5, 3, v3
	v_mov_b32_e32 v4, v1
	v_add_nc_u32_e32 v0, s4, v0
	s_mov_b32 s15, -1
	s_mov_b32 s14, exec_lo
	v_and_b32_e32 v7, 0x7fffffc, v5
	v_lshlrev_b64 v[5:6], 3, v[3:4]
	v_lshlrev_b64 v[3:4], 2, v[3:4]
	global_load_b32 v13, v7, s[0:1]
	v_add_co_u32 v7, vcc_lo, s28, v5
	v_add_co_ci_u32_e32 v8, vcc_lo, s29, v6, vcc_lo
	v_add_co_u32 v9, vcc_lo, s10, v5
	v_add_co_ci_u32_e32 v10, vcc_lo, s11, v6, vcc_lo
	;; [unrolled: 2-line block ×3, first 2 shown]
	global_load_b64 v[9:10], v[9:10], off
	global_load_b64 v[7:8], v[7:8], off
	;; [unrolled: 1-line block ×3, first 2 shown]
	s_waitcnt vmcnt(3)
	v_div_scale_f32 v14, null, v13, v13, 1.0
	v_div_scale_f32 v16, vcc_lo, 1.0, v13, 1.0
	s_delay_alu instid0(VALU_DEP_2)
	v_rcp_f32_e32 v15, v14
	s_waitcnt vmcnt(2)
	v_lshrrev_b32_e32 v19, 16, v10
	s_waitcnt vmcnt(1)
	v_cvt_f32_f16_e32 v20, v7
	s_waitcnt_depctr 0xfff
	v_fma_f32 v18, -v14, v15, 1.0
	v_lshrrev_b32_e32 v7, 16, v7
	s_waitcnt vmcnt(0)
	v_cvt_f32_f16_e32 v21, v11
	v_lshrrev_b32_e32 v11, 16, v11
	v_cvt_f32_f16_e32 v22, v12
	v_fmac_f32_e32 v15, v18, v15
	v_cvt_f32_f16_e32 v18, v8
	v_add_f32_e32 v20, v20, v21
	v_lshrrev_b32_e32 v8, 16, v8
	v_lshrrev_b32_e32 v12, 16, v12
	s_delay_alu instid0(VALU_DEP_4)
	v_dual_mul_f32 v23, v16, v15 :: v_dual_add_f32 v18, v18, v22
	v_cvt_f32_f16_e32 v7, v7
	v_cvt_f32_f16_e32 v11, v11
	;; [unrolled: 1-line block ×4, first 2 shown]
	v_fma_f32 v24, -v14, v23, v16
	v_lshrrev_b32_e32 v17, 16, v9
	v_add_f32_e32 v7, v7, v11
	v_fma_mixlo_f16 v11, v28, v18, 0
	v_add_f32_e32 v8, v8, v12
	v_fma_mixlo_f16 v12, v28, v20, 0
	s_delay_alu instid0(VALU_DEP_4) | instskip(NEXT) | instid1(VALU_DEP_4)
	v_fma_mixlo_f16 v21, v28, v7, 0
	v_mul_f16_e32 v10, v10, v11
	s_delay_alu instid0(VALU_DEP_4) | instskip(NEXT) | instid1(VALU_DEP_4)
	v_fma_mixlo_f16 v11, v28, v8, 0
	v_mul_f16_e32 v9, v9, v12
	v_cvt_f16_f32_e32 v7, v7
	v_mul_f16_e32 v12, v17, v21
	v_cvt_f32_f16_e32 v10, v10
	v_fmac_f32_e32 v23, v24, v15
	v_cvt_f32_f16_e32 v9, v9
	v_mul_f16_e32 v11, v19, v11
	v_cvt_f32_f16_e32 v12, v12
	v_cvt_f16_f32_e32 v8, v8
	v_fma_f32 v14, -v14, v23, v16
	s_delay_alu instid0(VALU_DEP_4) | instskip(NEXT) | instid1(VALU_DEP_2)
	v_cvt_f32_f16_e32 v11, v11
	v_div_fmas_f32 v14, v14, v15, v23
	v_cvt_f16_f32_e32 v15, v18
	s_delay_alu instid0(VALU_DEP_2) | instskip(SKIP_1) | instid1(VALU_DEP_3)
	v_div_fixup_f32 v13, v14, v13, 1.0
	v_cvt_f16_f32_e32 v14, v20
	v_pack_b32_f16 v8, v15, v8
	s_delay_alu instid0(VALU_DEP_3) | instskip(SKIP_1) | instid1(VALU_DEP_4)
	v_mul_f32_e32 v10, v13, v10
	v_mul_f32_e32 v9, v13, v9
	v_pack_b32_f16 v7, v14, v7
	s_delay_alu instid0(VALU_DEP_3) | instskip(NEXT) | instid1(VALU_DEP_3)
	v_rndne_f32_e32 v10, v10
	v_rndne_f32_e32 v9, v9
	v_mul_f32_e32 v11, v13, v11
	global_store_b64 v[5:6], v[7:8], off
	v_cmp_nlt_f32_e32 vcc_lo, 0x42fe0000, v10
	v_dual_mul_f32 v12, v13, v12 :: v_dual_cndmask_b32 v13, 0x42fe0000, v10
	s_delay_alu instid0(VALU_DEP_1) | instskip(SKIP_2) | instid1(VALU_DEP_3)
	v_rndne_f32_e32 v12, v12
	v_cmp_nlt_f32_e32 vcc_lo, 0x42fe0000, v9
	v_cndmask_b32_e32 v16, 0x42fe0000, v9, vcc_lo
	v_cmp_nlt_f32_e32 vcc_lo, 0x42fe0000, v12
	v_rndne_f32_e32 v11, v11
	v_cndmask_b32_e32 v17, 0x42fe0000, v12, vcc_lo
	v_cmp_ngt_f32_e32 vcc_lo, 0xc3000000, v10
	v_cndmask_b32_e32 v10, 0xc3000000, v13, vcc_lo
	s_delay_alu instid0(VALU_DEP_4) | instskip(NEXT) | instid1(VALU_DEP_2)
	v_cmp_nlt_f32_e32 vcc_lo, 0x42fe0000, v11
	v_cvt_i32_f32_e32 v10, v10
	v_cndmask_b32_e32 v13, 0x42fe0000, v11, vcc_lo
	v_cmp_ngt_f32_e32 vcc_lo, 0xc3000000, v12
	s_delay_alu instid0(VALU_DEP_3) | instskip(NEXT) | instid1(VALU_DEP_1)
	v_and_b32_e32 v10, 0xff, v10
	v_lshlrev_b32_e32 v10, 16, v10
	v_cndmask_b32_e32 v12, 0xc3000000, v17, vcc_lo
	v_cmp_ngt_f32_e32 vcc_lo, 0xc3000000, v9
	s_delay_alu instid0(VALU_DEP_2) | instskip(SKIP_2) | instid1(VALU_DEP_3)
	v_cvt_i32_f32_e32 v12, v12
	v_cndmask_b32_e32 v9, 0xc3000000, v16, vcc_lo
	v_cmp_ngt_f32_e32 vcc_lo, 0xc3000000, v11
	v_and_b32_e32 v12, 0xff, v12
	s_delay_alu instid0(VALU_DEP_3) | instskip(NEXT) | instid1(VALU_DEP_2)
	v_cvt_i32_f32_e32 v9, v9
	v_dual_cndmask_b32 v11, 0xc3000000, v13 :: v_dual_lshlrev_b32 v12, 8, v12
	s_delay_alu instid0(VALU_DEP_2) | instskip(SKIP_2) | instid1(VALU_DEP_4)
	v_and_b32_e32 v9, 0xff, v9
	v_add_co_u32 v3, vcc_lo, s2, v3
	v_add_co_ci_u32_e32 v4, vcc_lo, s3, v4, vcc_lo
	v_cvt_i32_f32_e32 v11, v11
	s_delay_alu instid0(VALU_DEP_1) | instskip(NEXT) | instid1(VALU_DEP_1)
	v_lshl_or_b32 v10, v11, 24, v10
	v_or3_b32 v9, v10, v12, v9
	global_store_b32 v[3:4], v9, off
	v_cmpx_gt_u32_e64 s8, v0
	s_cbranch_execz .LBB47_52
; %bb.58:                               ;   in Loop: Header=BB47_55 Depth=1
	v_lshrrev_b32_e32 v3, 3, v0
	v_lshlrev_b64 v[11:12], 2, v[0:1]
	s_delay_alu instid0(VALU_DEP_2)
	v_and_b32_e32 v5, 0x7fffffc, v3
	v_lshlrev_b64 v[3:4], 3, v[0:1]
	v_add3_u32 v0, s7, s33, v2
	global_load_b32 v13, v5, s[0:1]
	v_add_co_u32 v5, vcc_lo, s28, v3
	v_add_co_ci_u32_e32 v6, vcc_lo, s29, v4, vcc_lo
	v_add_co_u32 v7, vcc_lo, s10, v3
	v_add_co_ci_u32_e32 v8, vcc_lo, s11, v4, vcc_lo
	;; [unrolled: 2-line block ×3, first 2 shown]
	global_load_b64 v[7:8], v[7:8], off
	global_load_b64 v[5:6], v[5:6], off
	;; [unrolled: 1-line block ×3, first 2 shown]
	s_waitcnt vmcnt(3)
	v_div_scale_f32 v14, null, v13, v13, 1.0
	v_div_scale_f32 v2, vcc_lo, 1.0, v13, 1.0
	s_delay_alu instid0(VALU_DEP_2)
	v_rcp_f32_e32 v15, v14
	s_waitcnt vmcnt(2)
	v_lshrrev_b32_e32 v18, 16, v8
	s_waitcnt vmcnt(1)
	v_cvt_f32_f16_e32 v19, v5
	s_waitcnt_depctr 0xfff
	v_fma_f32 v17, -v14, v15, 1.0
	v_lshrrev_b32_e32 v5, 16, v5
	s_waitcnt vmcnt(0)
	v_cvt_f32_f16_e32 v20, v9
	v_lshrrev_b32_e32 v9, 16, v9
	v_cvt_f32_f16_e32 v21, v10
	v_fmac_f32_e32 v15, v17, v15
	v_cvt_f32_f16_e32 v17, v6
	v_cvt_f32_f16_e32 v5, v5
	;; [unrolled: 1-line block ×3, first 2 shown]
	v_lshrrev_b32_e32 v6, 16, v6
	s_delay_alu instid0(VALU_DEP_4) | instskip(SKIP_2) | instid1(VALU_DEP_4)
	v_dual_mul_f32 v22, v2, v15 :: v_dual_add_f32 v17, v17, v21
	v_lshrrev_b32_e32 v10, 16, v10
	v_lshrrev_b32_e32 v16, 16, v7
	v_cvt_f32_f16_e32 v6, v6
	s_delay_alu instid0(VALU_DEP_4) | instskip(SKIP_3) | instid1(VALU_DEP_4)
	v_fma_f32 v23, -v14, v22, v2
	v_add_f32_e32 v5, v5, v9
	v_fma_mixlo_f16 v9, v28, v17, 0
	v_cvt_f32_f16_e32 v10, v10
	v_fmac_f32_e32 v22, v23, v15
	s_delay_alu instid0(VALU_DEP_3) | instskip(NEXT) | instid1(VALU_DEP_3)
	v_mul_f16_e32 v8, v8, v9
	v_add_f32_e32 v6, v6, v10
	s_delay_alu instid0(VALU_DEP_3) | instskip(SKIP_1) | instid1(VALU_DEP_4)
	v_fma_f32 v2, -v14, v22, v2
	v_cvt_f16_f32_e32 v14, v17
	v_cvt_f32_f16_e32 v8, v8
	s_delay_alu instid0(VALU_DEP_4) | instskip(SKIP_2) | instid1(VALU_DEP_3)
	v_fma_mixlo_f16 v9, v28, v6, 0
	v_cvt_f16_f32_e32 v6, v6
	v_div_fmas_f32 v2, v2, v15, v22
	v_mul_f16_e32 v9, v18, v9
	s_delay_alu instid0(VALU_DEP_3) | instskip(NEXT) | instid1(VALU_DEP_3)
	v_pack_b32_f16 v6, v14, v6
	v_div_fixup_f32 v2, v2, v13, 1.0
	v_add_f32_e32 v19, v19, v20
	v_fma_mixlo_f16 v20, v28, v5, 0
	v_cvt_f32_f16_e32 v9, v9
	v_cvt_f16_f32_e32 v5, v5
	v_mul_f32_e32 v8, v2, v8
	v_fma_mixlo_f16 v10, v28, v19, 0
	s_delay_alu instid0(VALU_DEP_2) | instskip(NEXT) | instid1(VALU_DEP_2)
	v_rndne_f32_e32 v8, v8
	v_mul_f16_e32 v7, v7, v10
	v_mul_f16_e32 v10, v16, v20
	s_delay_alu instid0(VALU_DEP_3) | instskip(NEXT) | instid1(VALU_DEP_3)
	v_cmp_nlt_f32_e32 vcc_lo, 0x42fe0000, v8
	v_cvt_f32_f16_e32 v7, v7
	s_delay_alu instid0(VALU_DEP_3) | instskip(NEXT) | instid1(VALU_DEP_2)
	v_cvt_f32_f16_e32 v10, v10
	v_mul_f32_e32 v7, v2, v7
	s_delay_alu instid0(VALU_DEP_2) | instskip(SKIP_2) | instid1(VALU_DEP_3)
	v_mul_f32_e32 v10, v2, v10
	v_mul_f32_e32 v2, v2, v9
	v_cvt_f16_f32_e32 v13, v19
	v_rndne_f32_e32 v9, v10
	v_cndmask_b32_e32 v10, 0x42fe0000, v8, vcc_lo
	v_rndne_f32_e32 v7, v7
	s_delay_alu instid0(VALU_DEP_4) | instskip(NEXT) | instid1(VALU_DEP_2)
	v_pack_b32_f16 v5, v13, v5
	v_cmp_nlt_f32_e32 vcc_lo, 0x42fe0000, v7
	global_store_b64 v[3:4], v[5:6], off
	v_cndmask_b32_e32 v15, 0x42fe0000, v7, vcc_lo
	v_cmp_nlt_f32_e32 vcc_lo, 0x42fe0000, v9
	v_rndne_f32_e32 v2, v2
	v_cndmask_b32_e32 v16, 0x42fe0000, v9, vcc_lo
	v_cmp_ngt_f32_e32 vcc_lo, 0xc3000000, v8
	v_cndmask_b32_e32 v8, 0xc3000000, v10, vcc_lo
	s_delay_alu instid0(VALU_DEP_4) | instskip(SKIP_4) | instid1(VALU_DEP_2)
	v_cmp_nlt_f32_e32 vcc_lo, 0x42fe0000, v2
	v_cndmask_b32_e32 v10, 0x42fe0000, v2, vcc_lo
	v_cmp_ngt_f32_e32 vcc_lo, 0xc3000000, v9
	v_cndmask_b32_e32 v9, 0xc3000000, v16, vcc_lo
	v_cmp_ngt_f32_e32 vcc_lo, 0xc3000000, v7
	v_cvt_i32_f32_e32 v9, v9
	s_delay_alu instid0(VALU_DEP_1) | instskip(NEXT) | instid1(VALU_DEP_1)
	v_and_b32_e32 v9, 0xff, v9
	v_lshlrev_b32_e32 v9, 8, v9
	v_cvt_i32_f32_e32 v8, v8
	s_delay_alu instid0(VALU_DEP_1) | instskip(SKIP_2) | instid1(VALU_DEP_3)
	v_and_b32_e32 v8, 0xff, v8
	v_cndmask_b32_e32 v7, 0xc3000000, v15, vcc_lo
	v_cmp_ngt_f32_e32 vcc_lo, 0xc3000000, v2
	v_lshlrev_b32_e32 v8, 16, v8
	s_delay_alu instid0(VALU_DEP_3) | instskip(SKIP_1) | instid1(VALU_DEP_2)
	v_cvt_i32_f32_e32 v7, v7
	v_cndmask_b32_e32 v2, 0xc3000000, v10, vcc_lo
	v_and_b32_e32 v10, 0xff, v7
	s_delay_alu instid0(VALU_DEP_2) | instskip(SKIP_1) | instid1(VALU_DEP_2)
	v_cvt_i32_f32_e32 v2, v2
	v_add_co_u32 v7, vcc_lo, s2, v11
	v_lshl_or_b32 v2, v2, 24, v8
	v_add_co_ci_u32_e32 v8, vcc_lo, s3, v12, vcc_lo
	v_cmp_le_u32_e32 vcc_lo, s8, v0
	s_delay_alu instid0(VALU_DEP_3)
	v_or3_b32 v2, v2, v9, v10
	s_or_not1_b32 s15, vcc_lo, exec_lo
	global_store_b32 v[7:8], v2, off
	s_branch .LBB47_52
.LBB47_59:
	s_nop 0
	s_sendmsg sendmsg(MSG_DEALLOC_VGPRS)
	s_endpgm
	.section	.rodata,"a",@progbits
	.p2align	6, 0x0
	.amdhsa_kernel _ZN4vllm31rms_norm_per_block_quant_kernelIN3c104HalfEaLb1ELb0ELi128EEEvPT0_PfPKT_S8_PKffiiPS6_l
		.amdhsa_group_segment_fixed_size 4228
		.amdhsa_private_segment_fixed_size 0
		.amdhsa_kernarg_size 328
		.amdhsa_user_sgpr_count 15
		.amdhsa_user_sgpr_dispatch_ptr 0
		.amdhsa_user_sgpr_queue_ptr 0
		.amdhsa_user_sgpr_kernarg_segment_ptr 1
		.amdhsa_user_sgpr_dispatch_id 0
		.amdhsa_user_sgpr_private_segment_size 0
		.amdhsa_wavefront_size32 1
		.amdhsa_uses_dynamic_stack 0
		.amdhsa_enable_private_segment 0
		.amdhsa_system_sgpr_workgroup_id_x 1
		.amdhsa_system_sgpr_workgroup_id_y 0
		.amdhsa_system_sgpr_workgroup_id_z 0
		.amdhsa_system_sgpr_workgroup_info 0
		.amdhsa_system_vgpr_workitem_id 0
		.amdhsa_next_free_vgpr 35
		.amdhsa_next_free_sgpr 40
		.amdhsa_reserve_vcc 1
		.amdhsa_float_round_mode_32 0
		.amdhsa_float_round_mode_16_64 0
		.amdhsa_float_denorm_mode_32 3
		.amdhsa_float_denorm_mode_16_64 3
		.amdhsa_dx10_clamp 1
		.amdhsa_ieee_mode 1
		.amdhsa_fp16_overflow 0
		.amdhsa_workgroup_processor_mode 1
		.amdhsa_memory_ordered 1
		.amdhsa_forward_progress 0
		.amdhsa_shared_vgpr_count 0
		.amdhsa_exception_fp_ieee_invalid_op 0
		.amdhsa_exception_fp_denorm_src 0
		.amdhsa_exception_fp_ieee_div_zero 0
		.amdhsa_exception_fp_ieee_overflow 0
		.amdhsa_exception_fp_ieee_underflow 0
		.amdhsa_exception_fp_ieee_inexact 0
		.amdhsa_exception_int_div_zero 0
	.end_amdhsa_kernel
	.section	.text._ZN4vllm31rms_norm_per_block_quant_kernelIN3c104HalfEaLb1ELb0ELi128EEEvPT0_PfPKT_S8_PKffiiPS6_l,"axG",@progbits,_ZN4vllm31rms_norm_per_block_quant_kernelIN3c104HalfEaLb1ELb0ELi128EEEvPT0_PfPKT_S8_PKffiiPS6_l,comdat
.Lfunc_end47:
	.size	_ZN4vllm31rms_norm_per_block_quant_kernelIN3c104HalfEaLb1ELb0ELi128EEEvPT0_PfPKT_S8_PKffiiPS6_l, .Lfunc_end47-_ZN4vllm31rms_norm_per_block_quant_kernelIN3c104HalfEaLb1ELb0ELi128EEEvPT0_PfPKT_S8_PKffiiPS6_l
                                        ; -- End function
	.section	.AMDGPU.csdata,"",@progbits
; Kernel info:
; codeLenInByte = 7872
; NumSgprs: 42
; NumVgprs: 35
; ScratchSize: 0
; MemoryBound: 0
; FloatMode: 240
; IeeeMode: 1
; LDSByteSize: 4228 bytes/workgroup (compile time only)
; SGPRBlocks: 5
; VGPRBlocks: 4
; NumSGPRsForWavesPerEU: 42
; NumVGPRsForWavesPerEU: 35
; Occupancy: 16
; WaveLimiterHint : 0
; COMPUTE_PGM_RSRC2:SCRATCH_EN: 0
; COMPUTE_PGM_RSRC2:USER_SGPR: 15
; COMPUTE_PGM_RSRC2:TRAP_HANDLER: 0
; COMPUTE_PGM_RSRC2:TGID_X_EN: 1
; COMPUTE_PGM_RSRC2:TGID_Y_EN: 0
; COMPUTE_PGM_RSRC2:TGID_Z_EN: 0
; COMPUTE_PGM_RSRC2:TIDIG_COMP_CNT: 0
	.section	.text._ZN4vllm31rms_norm_per_block_quant_kernelIN3c104HalfENS1_13Float8_e4m3fnELb0ELb1ELi128EEEvPT0_PfPKT_S9_PKffiiPS7_l,"axG",@progbits,_ZN4vllm31rms_norm_per_block_quant_kernelIN3c104HalfENS1_13Float8_e4m3fnELb0ELb1ELi128EEEvPT0_PfPKT_S9_PKffiiPS7_l,comdat
	.protected	_ZN4vllm31rms_norm_per_block_quant_kernelIN3c104HalfENS1_13Float8_e4m3fnELb0ELb1ELi128EEEvPT0_PfPKT_S9_PKffiiPS7_l ; -- Begin function _ZN4vllm31rms_norm_per_block_quant_kernelIN3c104HalfENS1_13Float8_e4m3fnELb0ELb1ELi128EEEvPT0_PfPKT_S9_PKffiiPS7_l
	.globl	_ZN4vllm31rms_norm_per_block_quant_kernelIN3c104HalfENS1_13Float8_e4m3fnELb0ELb1ELi128EEEvPT0_PfPKT_S9_PKffiiPS7_l
	.p2align	8
	.type	_ZN4vllm31rms_norm_per_block_quant_kernelIN3c104HalfENS1_13Float8_e4m3fnELb0ELb1ELi128EEEvPT0_PfPKT_S9_PKffiiPS7_l,@function
_ZN4vllm31rms_norm_per_block_quant_kernelIN3c104HalfENS1_13Float8_e4m3fnELb0ELb1ELi128EEEvPT0_PfPKT_S9_PKffiiPS7_l: ; @_ZN4vllm31rms_norm_per_block_quant_kernelIN3c104HalfENS1_13Float8_e4m3fnELb0ELb1ELi128EEEvPT0_PfPKT_S9_PKffiiPS7_l
; %bb.0:
	s_mov_b32 s16, s15
	s_clause 0x2
	s_load_b128 s[12:15], s[0:1], 0x28
	s_load_b256 s[4:11], s[0:1], 0x0
	s_load_b32 s29, s[0:1], 0x48
	v_mov_b32_e32 v6, 0
	s_mov_b32 s17, 0
	s_waitcnt lgkmcnt(0)
	s_ashr_i32 s2, s14, 31
	s_mul_hi_u32 s3, s14, s16
	s_mul_i32 s15, s2, s16
	s_mul_i32 s2, s14, s16
	s_add_i32 s3, s3, s15
	s_mov_b32 s14, s13
	s_lshl_b64 s[2:3], s[2:3], 1
	s_delay_alu instid0(SALU_CYCLE_1)
	s_add_u32 s26, s8, s2
	s_addc_u32 s27, s9, s3
	s_ashr_i32 s8, s13, 2
	s_add_u32 s18, s0, 0x48
	v_cmp_gt_u32_e64 s2, s8, v0
	s_addc_u32 s19, s1, 0
	s_delay_alu instid0(VALU_DEP_1)
	s_and_saveexec_b32 s3, s2
	s_cbranch_execz .LBB48_10
; %bb.1:
	s_cmp_lt_u32 s16, s29
	v_mov_b32_e32 v2, 0
	s_cselect_b32 s9, 12, 18
                                        ; implicit-def: $sgpr15
	v_mov_b32_e32 v1, v0
	s_add_u32 s20, s18, s9
	s_addc_u32 s21, s19, 0
	s_mov_b32 s9, s17
	global_load_u16 v7, v2, s[20:21]
	s_waitcnt vmcnt(0)
	v_lshlrev_b32_e32 v9, 1, v7
	v_mul_lo_u32 v8, v7, 3
	v_add_nc_u32_e32 v10, v7, v7
	v_mov_b32_e32 v6, v2
	s_branch .LBB48_5
.LBB48_2:                               ;   in Loop: Header=BB48_5 Depth=1
	s_or_b32 exec_lo, exec_lo, s22
	s_delay_alu instid0(SALU_CYCLE_1)
	s_or_not1_b32 s22, s23, exec_lo
.LBB48_3:                               ;   in Loop: Header=BB48_5 Depth=1
	s_or_b32 exec_lo, exec_lo, s21
	s_delay_alu instid0(SALU_CYCLE_1) | instskip(SKIP_1) | instid1(SALU_CYCLE_1)
	s_and_not1_b32 s15, s15, exec_lo
	s_and_b32 s21, s22, exec_lo
	s_or_b32 s15, s15, s21
.LBB48_4:                               ;   in Loop: Header=BB48_5 Depth=1
	s_or_b32 exec_lo, exec_lo, s20
	s_delay_alu instid0(SALU_CYCLE_1) | instskip(NEXT) | instid1(SALU_CYCLE_1)
	s_and_b32 s20, exec_lo, s15
	s_or_b32 s9, s20, s9
	s_delay_alu instid0(SALU_CYCLE_1)
	s_and_not1_b32 exec_lo, exec_lo, s9
	s_cbranch_execz .LBB48_9
.LBB48_5:                               ; =>This Inner Loop Header: Depth=1
	v_lshlrev_b64 v[3:4], 3, v[1:2]
	s_or_b32 s15, s15, exec_lo
	s_mov_b32 s20, exec_lo
	s_delay_alu instid0(VALU_DEP_1) | instskip(NEXT) | instid1(VALU_DEP_2)
	v_add_co_u32 v3, vcc_lo, s26, v3
	v_add_co_ci_u32_e32 v4, vcc_lo, s27, v4, vcc_lo
	global_load_b64 v[3:4], v[3:4], off
	s_waitcnt vmcnt(0)
	v_fma_mix_f32 v5, v3, v3, v6 op_sel_hi:[1,1,0]
	s_delay_alu instid0(VALU_DEP_1) | instskip(NEXT) | instid1(VALU_DEP_1)
	v_fma_mix_f32 v3, v3, v3, v5 op_sel:[1,1,0] op_sel_hi:[1,1,0]
	v_fma_mix_f32 v5, v4, v4, v3 op_sel_hi:[1,1,0]
	v_add_nc_u32_e32 v3, v1, v7
	s_delay_alu instid0(VALU_DEP_2) | instskip(NEXT) | instid1(VALU_DEP_2)
	v_fma_mix_f32 v6, v4, v4, v5 op_sel:[1,1,0] op_sel_hi:[1,1,0]
	v_cmpx_gt_u32_e64 s8, v3
	s_cbranch_execz .LBB48_4
; %bb.6:                                ;   in Loop: Header=BB48_5 Depth=1
	v_mov_b32_e32 v4, v2
	s_mov_b32 s22, -1
	s_mov_b32 s21, exec_lo
	s_delay_alu instid0(VALU_DEP_1) | instskip(NEXT) | instid1(VALU_DEP_1)
	v_lshlrev_b64 v[4:5], 3, v[3:4]
	v_add_co_u32 v4, vcc_lo, s26, v4
	s_delay_alu instid0(VALU_DEP_2) | instskip(SKIP_3) | instid1(VALU_DEP_1)
	v_add_co_ci_u32_e32 v5, vcc_lo, s27, v5, vcc_lo
	global_load_b64 v[4:5], v[4:5], off
	s_waitcnt vmcnt(0)
	v_fma_mix_f32 v6, v4, v4, v6 op_sel_hi:[1,1,0]
	v_fma_mix_f32 v4, v4, v4, v6 op_sel:[1,1,0] op_sel_hi:[1,1,0]
	s_delay_alu instid0(VALU_DEP_1) | instskip(SKIP_1) | instid1(VALU_DEP_2)
	v_fma_mix_f32 v6, v5, v5, v4 op_sel_hi:[1,1,0]
	v_add_nc_u32_e32 v4, v9, v1
	v_fma_mix_f32 v6, v5, v5, v6 op_sel:[1,1,0] op_sel_hi:[1,1,0]
	s_delay_alu instid0(VALU_DEP_2)
	v_cmpx_gt_u32_e64 s8, v4
	s_cbranch_execz .LBB48_3
; %bb.7:                                ;   in Loop: Header=BB48_5 Depth=1
	v_mov_b32_e32 v5, v2
	v_add_nc_u32_e32 v1, v8, v1
	s_mov_b32 s23, -1
	s_mov_b32 s22, exec_lo
	s_delay_alu instid0(VALU_DEP_2) | instskip(NEXT) | instid1(VALU_DEP_1)
	v_lshlrev_b64 v[4:5], 3, v[4:5]
	v_add_co_u32 v4, vcc_lo, s26, v4
	s_delay_alu instid0(VALU_DEP_2) | instskip(SKIP_3) | instid1(VALU_DEP_1)
	v_add_co_ci_u32_e32 v5, vcc_lo, s27, v5, vcc_lo
	global_load_b64 v[4:5], v[4:5], off
	s_waitcnt vmcnt(0)
	v_fma_mix_f32 v6, v4, v4, v6 op_sel_hi:[1,1,0]
	v_fma_mix_f32 v4, v4, v4, v6 op_sel:[1,1,0] op_sel_hi:[1,1,0]
	s_delay_alu instid0(VALU_DEP_1) | instskip(NEXT) | instid1(VALU_DEP_1)
	v_fma_mix_f32 v4, v5, v5, v4 op_sel_hi:[1,1,0]
	v_fma_mix_f32 v6, v5, v5, v4 op_sel:[1,1,0] op_sel_hi:[1,1,0]
	v_cmpx_gt_u32_e64 s8, v1
	s_xor_b32 s22, exec_lo, s22
	s_cbranch_execz .LBB48_2
; %bb.8:                                ;   in Loop: Header=BB48_5 Depth=1
	v_lshlrev_b64 v[4:5], 3, v[1:2]
	s_delay_alu instid0(VALU_DEP_1) | instskip(NEXT) | instid1(VALU_DEP_2)
	v_add_co_u32 v4, vcc_lo, s26, v4
	v_add_co_ci_u32_e32 v5, vcc_lo, s27, v5, vcc_lo
	global_load_b64 v[4:5], v[4:5], off
	s_waitcnt vmcnt(0)
	v_fma_mix_f32 v1, v4, v4, v6 op_sel_hi:[1,1,0]
	s_delay_alu instid0(VALU_DEP_1) | instskip(SKIP_1) | instid1(VALU_DEP_2)
	v_fma_mix_f32 v4, v4, v4, v1 op_sel:[1,1,0] op_sel_hi:[1,1,0]
	v_add3_u32 v1, v10, v7, v3
	v_fma_mix_f32 v3, v5, v5, v4 op_sel_hi:[1,1,0]
	s_delay_alu instid0(VALU_DEP_2) | instskip(NEXT) | instid1(VALU_DEP_2)
	v_cmp_le_u32_e32 vcc_lo, s8, v1
	v_fma_mix_f32 v6, v5, v5, v3 op_sel:[1,1,0] op_sel_hi:[1,1,0]
	s_or_not1_b32 s23, vcc_lo, exec_lo
	s_branch .LBB48_2
.LBB48_9:
	s_or_b32 exec_lo, exec_lo, s9
.LBB48_10:
	s_delay_alu instid0(SALU_CYCLE_1) | instskip(SKIP_4) | instid1(VALU_DEP_2)
	s_or_b32 exec_lo, exec_lo, s3
	v_mbcnt_lo_u32_b32 v1, -1, 0
	s_load_b32 s3, s[18:19], 0xc
	v_and_b32_e32 v7, 0x3e0, v0
	s_mov_b32 s9, exec_lo
	v_cmp_ne_u32_e32 vcc_lo, 31, v1
	v_add_nc_u32_e32 v3, 1, v1
	v_add_co_ci_u32_e32 v2, vcc_lo, 0, v1, vcc_lo
	v_cmp_gt_u32_e32 vcc_lo, 30, v1
	s_delay_alu instid0(VALU_DEP_2)
	v_lshlrev_b32_e32 v2, 2, v2
	v_cndmask_b32_e64 v5, 0, 1, vcc_lo
	ds_bpermute_b32 v4, v2, v6
	s_waitcnt lgkmcnt(0)
	s_and_b32 s3, s3, 0xffff
	v_lshlrev_b32_e32 v5, 1, v5
	v_sub_nc_u32_e64 v12, s3, v7 clamp
	s_delay_alu instid0(VALU_DEP_1) | instskip(SKIP_1) | instid1(VALU_DEP_4)
	v_cmp_lt_u32_e32 vcc_lo, v3, v12
	v_add_f32_e32 v7, v6, v4
	v_add_lshl_u32 v4, v5, v1, 2
	s_delay_alu instid0(VALU_DEP_2) | instskip(SKIP_2) | instid1(VALU_DEP_1)
	v_cndmask_b32_e32 v7, v6, v7, vcc_lo
	v_cmp_gt_u32_e32 vcc_lo, 28, v1
	v_cndmask_b32_e64 v5, 0, 1, vcc_lo
	v_lshlrev_b32_e32 v8, 2, v5
	ds_bpermute_b32 v6, v4, v7
	v_add_nc_u32_e32 v5, 2, v1
	s_delay_alu instid0(VALU_DEP_1) | instskip(SKIP_3) | instid1(VALU_DEP_2)
	v_cmp_lt_u32_e32 vcc_lo, v5, v12
	s_waitcnt lgkmcnt(0)
	v_add_f32_e32 v9, v7, v6
	v_add_lshl_u32 v6, v8, v1, 2
	v_cndmask_b32_e32 v9, v7, v9, vcc_lo
	v_cmp_gt_u32_e32 vcc_lo, 24, v1
	ds_bpermute_b32 v8, v6, v9
	v_cndmask_b32_e64 v7, 0, 1, vcc_lo
	s_delay_alu instid0(VALU_DEP_1) | instskip(SKIP_1) | instid1(VALU_DEP_1)
	v_lshlrev_b32_e32 v10, 3, v7
	v_add_nc_u32_e32 v7, 4, v1
	v_cmp_lt_u32_e32 vcc_lo, v7, v12
	s_waitcnt lgkmcnt(0)
	v_add_f32_e32 v11, v9, v8
	v_add_lshl_u32 v8, v10, v1, 2
	s_delay_alu instid0(VALU_DEP_2) | instskip(SKIP_3) | instid1(VALU_DEP_1)
	v_cndmask_b32_e32 v11, v9, v11, vcc_lo
	v_cmp_gt_u32_e32 vcc_lo, 16, v1
	ds_bpermute_b32 v10, v8, v11
	v_cndmask_b32_e64 v9, 0, 1, vcc_lo
	v_lshlrev_b32_e32 v13, 4, v9
	v_add_nc_u32_e32 v9, 8, v1
	s_delay_alu instid0(VALU_DEP_1) | instskip(SKIP_3) | instid1(VALU_DEP_2)
	v_cmp_lt_u32_e32 vcc_lo, v9, v12
	s_waitcnt lgkmcnt(0)
	v_add_f32_e32 v14, v11, v10
	v_add_lshl_u32 v10, v13, v1, 2
	v_cndmask_b32_e32 v13, v11, v14, vcc_lo
	v_add_nc_u32_e32 v11, 16, v1
	ds_bpermute_b32 v14, v10, v13
	v_cmp_lt_u32_e32 vcc_lo, v11, v12
	s_waitcnt lgkmcnt(0)
	v_add_f32_e32 v14, v13, v14
	s_delay_alu instid0(VALU_DEP_1)
	v_cndmask_b32_e32 v12, v13, v14, vcc_lo
	v_cmpx_eq_u32_e32 0, v1
	s_cbranch_execz .LBB48_12
; %bb.11:
	v_lshrrev_b32_e32 v13, 3, v0
	s_delay_alu instid0(VALU_DEP_1)
	v_and_b32_e32 v13, 0x7c, v13
	ds_store_b32 v13, v12 offset:4096
.LBB48_12:
	s_or_b32 exec_lo, exec_lo, s9
	s_delay_alu instid0(SALU_CYCLE_1)
	s_mov_b32 s9, exec_lo
	s_waitcnt lgkmcnt(0)
	s_barrier
	buffer_gl0_inv
	v_cmpx_gt_u32_e32 32, v0
	s_cbranch_execz .LBB48_14
; %bb.13:
	v_lshlrev_b32_e32 v1, 2, v1
	s_add_i32 s3, s3, 31
	s_delay_alu instid0(SALU_CYCLE_1) | instskip(NEXT) | instid1(SALU_CYCLE_1)
	s_lshr_b32 s3, s3, 5
	v_cmp_gt_u32_e32 vcc_lo, s3, v3
	ds_load_b32 v1, v1 offset:4096
	s_waitcnt lgkmcnt(0)
	ds_bpermute_b32 v2, v2, v1
	s_waitcnt lgkmcnt(0)
	v_add_f32_e32 v2, v1, v2
	s_delay_alu instid0(VALU_DEP_1) | instskip(SKIP_4) | instid1(VALU_DEP_1)
	v_cndmask_b32_e32 v1, v1, v2, vcc_lo
	v_cmp_gt_u32_e32 vcc_lo, s3, v5
	ds_bpermute_b32 v2, v4, v1
	s_waitcnt lgkmcnt(0)
	v_add_f32_e32 v2, v1, v2
	v_cndmask_b32_e32 v1, v1, v2, vcc_lo
	v_cmp_gt_u32_e32 vcc_lo, s3, v7
	ds_bpermute_b32 v2, v6, v1
	s_waitcnt lgkmcnt(0)
	v_add_f32_e32 v2, v1, v2
	s_delay_alu instid0(VALU_DEP_1) | instskip(SKIP_4) | instid1(VALU_DEP_1)
	v_cndmask_b32_e32 v1, v1, v2, vcc_lo
	v_cmp_gt_u32_e32 vcc_lo, s3, v9
	ds_bpermute_b32 v2, v8, v1
	s_waitcnt lgkmcnt(0)
	v_add_f32_e32 v2, v1, v2
	v_cndmask_b32_e32 v1, v1, v2, vcc_lo
	v_cmp_gt_u32_e32 vcc_lo, s3, v11
	ds_bpermute_b32 v2, v10, v1
	s_waitcnt lgkmcnt(0)
	v_add_f32_e32 v2, v1, v2
	s_delay_alu instid0(VALU_DEP_1)
	v_cndmask_b32_e32 v12, v1, v2, vcc_lo
.LBB48_14:
	s_or_b32 exec_lo, exec_lo, s9
	s_delay_alu instid0(SALU_CYCLE_1)
	s_mov_b32 s3, exec_lo
	v_cmpx_eq_u32_e32 0, v0
	s_cbranch_execz .LBB48_16
; %bb.15:
	v_cvt_f32_i32_e32 v1, s13
	s_delay_alu instid0(VALU_DEP_1) | instskip(SKIP_1) | instid1(VALU_DEP_2)
	v_div_scale_f32 v2, null, v1, v1, v12
	v_div_scale_f32 v5, vcc_lo, v12, v1, v12
	v_rcp_f32_e32 v3, v2
	s_waitcnt_depctr 0xfff
	v_fma_f32 v4, -v2, v3, 1.0
	s_delay_alu instid0(VALU_DEP_1) | instskip(NEXT) | instid1(VALU_DEP_1)
	v_fmac_f32_e32 v3, v4, v3
	v_mul_f32_e32 v4, v5, v3
	s_delay_alu instid0(VALU_DEP_1) | instskip(NEXT) | instid1(VALU_DEP_1)
	v_fma_f32 v6, -v2, v4, v5
	v_fmac_f32_e32 v4, v6, v3
	s_delay_alu instid0(VALU_DEP_1) | instskip(NEXT) | instid1(VALU_DEP_1)
	v_fma_f32 v2, -v2, v4, v5
	v_div_fmas_f32 v2, v2, v3, v4
	s_delay_alu instid0(VALU_DEP_1) | instskip(NEXT) | instid1(VALU_DEP_1)
	v_div_fixup_f32 v1, v2, v1, v12
	v_add_f32_e32 v1, s12, v1
	s_delay_alu instid0(VALU_DEP_1) | instskip(SKIP_1) | instid1(VALU_DEP_2)
	v_mul_f32_e32 v2, 0x4b800000, v1
	v_cmp_gt_f32_e32 vcc_lo, 0x800000, v1
	v_cndmask_b32_e32 v1, v1, v2, vcc_lo
	s_delay_alu instid0(VALU_DEP_1) | instskip(SKIP_2) | instid1(VALU_DEP_1)
	v_rsq_f32_e32 v1, v1
	s_waitcnt_depctr 0xfff
	v_mul_f32_e32 v2, 0x45800000, v1
	v_dual_cndmask_b32 v1, v1, v2 :: v_dual_mov_b32 v2, 0
	ds_store_b32 v2, v1 offset:4224
.LBB48_16:
	s_or_b32 exec_lo, exec_lo, s3
	s_ashr_i32 s15, s13, 31
	v_mov_b32_e32 v4, 0
	s_lshr_b32 s3, s15, 25
	s_waitcnt lgkmcnt(0)
	s_add_i32 s3, s13, s3
	s_barrier
	s_ashr_i32 s12, s3, 7
	s_cmp_lt_u32 s16, s29
	buffer_gl0_inv
	s_cselect_b32 s9, 12, 18
	ds_load_b32 v28, v4 offset:4224
	s_add_u32 s18, s18, s9
	s_addc_u32 s19, s19, 0
	s_abs_i32 s9, s12
	global_load_u16 v1, v4, s[18:19]
	v_cvt_f32_u32_e32 v2, s9
	s_sub_i32 s18, 0, s9
	s_ashr_i32 s3, s3, 31
	s_delay_alu instid0(VALU_DEP_1) | instskip(SKIP_2) | instid1(VALU_DEP_1)
	v_rcp_iflag_f32_e32 v2, v2
	s_waitcnt_depctr 0xfff
	v_mul_f32_e32 v2, 0x4f7ffffe, v2
	v_cvt_u32_f32_e32 v2, v2
	s_delay_alu instid0(VALU_DEP_1) | instskip(NEXT) | instid1(VALU_DEP_1)
	v_readfirstlane_b32 s13, v2
	s_mul_i32 s18, s18, s13
	s_delay_alu instid0(SALU_CYCLE_1) | instskip(NEXT) | instid1(SALU_CYCLE_1)
	s_mul_hi_u32 s18, s13, s18
	s_add_i32 s13, s13, s18
	s_waitcnt vmcnt(0)
	v_readfirstlane_b32 s28, v1
	s_delay_alu instid0(VALU_DEP_1) | instskip(NEXT) | instid1(SALU_CYCLE_1)
	s_mul_hi_u32 s13, s28, s13
	s_mul_i32 s18, s13, s9
	s_add_i32 s19, s13, 1
	s_sub_i32 s18, s28, s18
	s_delay_alu instid0(SALU_CYCLE_1)
	s_sub_i32 s20, s18, s9
	s_cmp_ge_u32 s18, s9
	s_cselect_b32 s13, s19, s13
	s_cselect_b32 s18, s20, s18
	s_add_i32 s19, s13, 1
	s_cmp_ge_u32 s18, s9
	s_cselect_b32 s9, s19, s13
	s_delay_alu instid0(SALU_CYCLE_1) | instskip(NEXT) | instid1(SALU_CYCLE_1)
	s_xor_b32 s9, s9, s3
	s_sub_i32 s18, s9, s3
	s_delay_alu instid0(SALU_CYCLE_1) | instskip(SKIP_3) | instid1(VALU_DEP_1)
	s_abs_i32 s3, s18
	s_ashr_i32 s19, s18, 31
	v_cvt_f32_u32_e32 v1, s3
	s_sub_i32 s9, 0, s3
	v_rcp_iflag_f32_e32 v1, v1
	s_waitcnt_depctr 0xfff
	v_mul_f32_e32 v1, 0x4f7ffffe, v1
	s_delay_alu instid0(VALU_DEP_1) | instskip(NEXT) | instid1(VALU_DEP_1)
	v_cvt_u32_f32_e32 v1, v1
	v_mul_lo_u32 v2, s9, v1
	s_ashr_i32 s9, s8, 31
	s_delay_alu instid0(VALU_DEP_1) | instskip(NEXT) | instid1(VALU_DEP_1)
	v_mul_hi_u32 v2, v1, v2
	v_add_nc_u32_e32 v1, v1, v2
	s_delay_alu instid0(VALU_DEP_1) | instskip(NEXT) | instid1(VALU_DEP_1)
	v_mul_hi_u32 v1, v0, v1
	v_mul_lo_u32 v2, v1, s3
	v_add_nc_u32_e32 v3, 1, v1
	s_delay_alu instid0(VALU_DEP_2) | instskip(NEXT) | instid1(VALU_DEP_1)
	v_sub_nc_u32_e32 v2, v0, v2
	v_subrev_nc_u32_e32 v5, s3, v2
	v_cmp_le_u32_e32 vcc_lo, s3, v2
	s_delay_alu instid0(VALU_DEP_2) | instskip(NEXT) | instid1(VALU_DEP_1)
	v_dual_cndmask_b32 v2, v2, v5 :: v_dual_cndmask_b32 v1, v1, v3
	v_cmp_le_u32_e32 vcc_lo, s3, v2
	s_delay_alu instid0(VALU_DEP_2) | instskip(NEXT) | instid1(VALU_DEP_1)
	v_add_nc_u32_e32 v3, 1, v1
	v_cndmask_b32_e32 v1, v1, v3, vcc_lo
	s_delay_alu instid0(VALU_DEP_1) | instskip(NEXT) | instid1(VALU_DEP_1)
	v_xor_b32_e32 v1, s19, v1
	v_subrev_nc_u32_e32 v1, s19, v1
	s_delay_alu instid0(VALU_DEP_1) | instskip(SKIP_1) | instid1(VALU_DEP_2)
	v_ashrrev_i32_e32 v2, 31, v1
	v_mul_lo_u32 v3, v1, s18
	v_lshlrev_b64 v[7:8], 5, v[1:2]
	s_delay_alu instid0(VALU_DEP_2) | instskip(NEXT) | instid1(VALU_DEP_2)
	v_sub_nc_u32_e32 v3, v0, v3
	v_add_co_u32 v5, vcc_lo, v7, 32
	s_delay_alu instid0(VALU_DEP_3) | instskip(NEXT) | instid1(VALU_DEP_1)
	v_add_co_ci_u32_e32 v6, vcc_lo, 0, v8, vcc_lo
	v_cmp_gt_i64_e32 vcc_lo, s[8:9], v[5:6]
	v_cndmask_b32_e32 v6, s9, v6, vcc_lo
	v_cndmask_b32_e32 v5, s8, v5, vcc_lo
	v_add_co_u32 v7, vcc_lo, v7, v3
	v_add_co_ci_u32_e32 v8, vcc_lo, 0, v8, vcc_lo
	s_delay_alu instid0(VALU_DEP_3) | instskip(SKIP_2) | instid1(VALU_DEP_1)
	v_ashrrev_i32_e32 v10, 31, v5
	v_mov_b32_e32 v9, v5
	s_mov_b32 s9, exec_lo
	v_cmpx_lt_i64_e64 v[7:8], v[9:10]
	s_cbranch_execz .LBB48_26
; %bb.17:
	v_lshlrev_b64 v[11:12], 8, v[1:2]
	v_lshlrev_b64 v[13:14], 3, v[3:4]
	v_mov_b32_e32 v4, 0
	s_lshl_b64 s[20:21], s[18:19], 5
	s_mul_hi_i32 s13, s18, 3
	s_mul_i32 s30, s18, 3
	s_lshl_b64 s[22:23], s[18:19], 1
	v_add_co_u32 v19, vcc_lo, v11, v13
	v_add_co_ci_u32_e32 v20, vcc_lo, v12, v14, vcc_lo
	v_dual_mov_b32 v12, v8 :: v_dual_mov_b32 v11, v7
	s_lshl_b64 s[24:25], s[18:19], 3
	s_mov_b32 s31, 0
                                        ; implicit-def: $sgpr33
	s_branch .LBB48_21
.LBB48_18:                              ;   in Loop: Header=BB48_21 Depth=1
	s_or_b32 exec_lo, exec_lo, s36
	s_delay_alu instid0(SALU_CYCLE_1)
	s_or_not1_b32 s3, s3, exec_lo
.LBB48_19:                              ;   in Loop: Header=BB48_21 Depth=1
	s_or_b32 exec_lo, exec_lo, s35
	s_delay_alu instid0(SALU_CYCLE_1) | instskip(SKIP_1) | instid1(SALU_CYCLE_1)
	s_and_not1_b32 s33, s33, exec_lo
	s_and_b32 s3, s3, exec_lo
	s_or_b32 s33, s33, s3
.LBB48_20:                              ;   in Loop: Header=BB48_21 Depth=1
	s_or_b32 exec_lo, exec_lo, s34
	s_delay_alu instid0(SALU_CYCLE_1) | instskip(NEXT) | instid1(SALU_CYCLE_1)
	s_and_b32 s3, exec_lo, s33
	s_or_b32 s31, s3, s31
	s_delay_alu instid0(SALU_CYCLE_1)
	s_and_not1_b32 exec_lo, exec_lo, s31
	s_cbranch_execz .LBB48_25
.LBB48_21:                              ; =>This Inner Loop Header: Depth=1
	v_add_co_u32 v17, vcc_lo, s10, v19
	v_add_co_ci_u32_e32 v18, vcc_lo, s11, v20, vcc_lo
	v_add_co_u32 v15, vcc_lo, s26, v19
	v_add_co_ci_u32_e32 v16, vcc_lo, s27, v20, vcc_lo
	s_or_b32 s33, s33, exec_lo
	global_load_b64 v[13:14], v[17:18], off
	global_load_b64 v[21:22], v[15:16], off
	s_mov_b32 s34, exec_lo
	s_waitcnt vmcnt(1)
	v_lshrrev_b32_e32 v23, 16, v13
	s_waitcnt vmcnt(0) lgkmcnt(0)
	v_fma_mixlo_f16 v24, v28, v21, 0 op_sel_hi:[0,1,0]
	v_fma_mixlo_f16 v21, v28, v21, 0 op_sel:[0,1,0] op_sel_hi:[0,1,0]
	v_lshrrev_b32_e32 v25, 16, v14
	v_fma_mixlo_f16 v26, v28, v22, 0 op_sel_hi:[0,1,0]
	v_fma_mixlo_f16 v22, v28, v22, 0 op_sel:[0,1,0] op_sel_hi:[0,1,0]
	v_mul_f16_e32 v13, v13, v24
	v_mul_f16_e32 v21, v23, v21
	s_delay_alu instid0(VALU_DEP_4) | instskip(NEXT) | instid1(VALU_DEP_4)
	v_mul_f16_e32 v23, v14, v26
	v_mul_f16_e32 v22, v25, v22
	s_delay_alu instid0(VALU_DEP_4) | instskip(NEXT) | instid1(VALU_DEP_4)
	v_cvt_f32_f16_e64 v24, |v13|
	v_cvt_f32_f16_e64 v21, |v21|
	v_add_co_u32 v13, vcc_lo, v11, s18
	v_cvt_f32_f16_e64 v23, |v23|
	v_add_co_ci_u32_e32 v14, vcc_lo, s19, v12, vcc_lo
	s_delay_alu instid0(VALU_DEP_4) | instskip(SKIP_1) | instid1(VALU_DEP_1)
	v_max3_f32 v4, v4, v24, v21
	v_cvt_f32_f16_e64 v21, |v22|
	v_max3_f32 v4, v4, v23, v21
	s_delay_alu instid0(VALU_DEP_4)
	v_cmpx_lt_i64_e64 v[13:14], v[9:10]
	s_cbranch_execz .LBB48_20
; %bb.22:                               ;   in Loop: Header=BB48_21 Depth=1
	v_add_co_u32 v17, vcc_lo, v17, s24
	v_add_co_ci_u32_e32 v18, vcc_lo, s25, v18, vcc_lo
	v_add_co_u32 v15, vcc_lo, v15, s24
	v_add_co_ci_u32_e32 v16, vcc_lo, s25, v16, vcc_lo
	s_mov_b32 s3, -1
	global_load_b64 v[21:22], v[17:18], off
	global_load_b64 v[23:24], v[15:16], off
	s_mov_b32 s35, exec_lo
	s_waitcnt vmcnt(1)
	v_lshrrev_b32_e32 v25, 16, v21
	s_waitcnt vmcnt(0)
	v_fma_mixlo_f16 v26, v28, v23, 0 op_sel_hi:[0,1,0]
	v_fma_mixlo_f16 v23, v28, v23, 0 op_sel:[0,1,0] op_sel_hi:[0,1,0]
	v_lshrrev_b32_e32 v27, 16, v22
	v_fma_mixlo_f16 v29, v28, v24, 0 op_sel_hi:[0,1,0]
	v_fma_mixlo_f16 v24, v28, v24, 0 op_sel:[0,1,0] op_sel_hi:[0,1,0]
	v_mul_f16_e32 v21, v21, v26
	v_mul_f16_e32 v23, v25, v23
	s_delay_alu instid0(VALU_DEP_4) | instskip(NEXT) | instid1(VALU_DEP_4)
	v_mul_f16_e32 v25, v22, v29
	v_mul_f16_e32 v24, v27, v24
	s_delay_alu instid0(VALU_DEP_4) | instskip(NEXT) | instid1(VALU_DEP_4)
	v_cvt_f32_f16_e64 v26, |v21|
	v_cvt_f32_f16_e64 v23, |v23|
	v_add_co_u32 v21, vcc_lo, s22, v11
	v_cvt_f32_f16_e64 v25, |v25|
	v_add_co_ci_u32_e32 v22, vcc_lo, s23, v12, vcc_lo
	s_delay_alu instid0(VALU_DEP_4) | instskip(SKIP_1) | instid1(VALU_DEP_1)
	v_max3_f32 v4, v4, v26, v23
	v_cvt_f32_f16_e64 v23, |v24|
	v_max3_f32 v4, v4, v25, v23
	s_delay_alu instid0(VALU_DEP_4)
	v_cmpx_lt_i64_e64 v[21:22], v[9:10]
	s_cbranch_execz .LBB48_19
; %bb.23:                               ;   in Loop: Header=BB48_21 Depth=1
	v_add_co_u32 v17, vcc_lo, v17, s24
	v_add_co_ci_u32_e32 v18, vcc_lo, s25, v18, vcc_lo
	v_add_co_u32 v15, vcc_lo, v15, s24
	v_add_co_ci_u32_e32 v16, vcc_lo, s25, v16, vcc_lo
	v_add_co_u32 v11, vcc_lo, s30, v11
	global_load_b64 v[21:22], v[17:18], off
	global_load_b64 v[23:24], v[15:16], off
	v_add_co_ci_u32_e32 v12, vcc_lo, s13, v12, vcc_lo
	s_delay_alu instid0(VALU_DEP_1)
	v_cmp_lt_i64_e32 vcc_lo, v[11:12], v[9:10]
                                        ; implicit-def: $vgpr11_vgpr12
	s_waitcnt vmcnt(1)
	v_lshrrev_b32_e32 v25, 16, v21
	s_waitcnt vmcnt(0)
	v_fma_mixlo_f16 v26, v28, v23, 0 op_sel_hi:[0,1,0]
	v_fma_mixlo_f16 v23, v28, v23, 0 op_sel:[0,1,0] op_sel_hi:[0,1,0]
	v_lshrrev_b32_e32 v27, 16, v22
	v_fma_mixlo_f16 v29, v28, v24, 0 op_sel_hi:[0,1,0]
	v_fma_mixlo_f16 v24, v28, v24, 0 op_sel:[0,1,0] op_sel_hi:[0,1,0]
	v_mul_f16_e32 v21, v21, v26
	v_mul_f16_e32 v23, v25, v23
	s_delay_alu instid0(VALU_DEP_4) | instskip(NEXT) | instid1(VALU_DEP_4)
	v_mul_f16_e32 v22, v22, v29
	v_mul_f16_e32 v24, v27, v24
	s_delay_alu instid0(VALU_DEP_4) | instskip(NEXT) | instid1(VALU_DEP_4)
	v_cvt_f32_f16_e64 v21, |v21|
	v_cvt_f32_f16_e64 v23, |v23|
	s_delay_alu instid0(VALU_DEP_4) | instskip(NEXT) | instid1(VALU_DEP_2)
	v_cvt_f32_f16_e64 v22, |v22|
	v_max3_f32 v4, v4, v21, v23
	v_cvt_f32_f16_e64 v21, |v24|
	s_delay_alu instid0(VALU_DEP_1) | instskip(SKIP_1) | instid1(SALU_CYCLE_1)
	v_max3_f32 v4, v4, v22, v21
	s_and_saveexec_b32 s36, vcc_lo
	s_xor_b32 s36, exec_lo, s36
	s_cbranch_execz .LBB48_18
; %bb.24:                               ;   in Loop: Header=BB48_21 Depth=1
	v_add_co_u32 v11, vcc_lo, v17, s24
	v_add_co_ci_u32_e32 v12, vcc_lo, s25, v18, vcc_lo
	v_add_co_u32 v15, vcc_lo, v15, s24
	v_add_co_ci_u32_e32 v16, vcc_lo, s25, v16, vcc_lo
	s_add_u32 s3, s18, s18
	global_load_b64 v[11:12], v[11:12], off
	global_load_b64 v[15:16], v[15:16], off
	s_addc_u32 s37, s19, s19
	s_add_u32 s3, s3, s18
	s_addc_u32 s37, s37, s19
	s_waitcnt vmcnt(1)
	v_lshrrev_b32_e32 v17, 16, v11
	s_waitcnt vmcnt(0)
	v_fma_mixlo_f16 v18, v28, v15, 0 op_sel_hi:[0,1,0]
	v_fma_mixlo_f16 v15, v28, v15, 0 op_sel:[0,1,0] op_sel_hi:[0,1,0]
	v_lshrrev_b32_e32 v21, 16, v12
	v_fma_mixlo_f16 v22, v28, v16, 0 op_sel_hi:[0,1,0]
	v_fma_mixlo_f16 v16, v28, v16, 0 op_sel:[0,1,0] op_sel_hi:[0,1,0]
	v_mul_f16_e32 v11, v11, v18
	v_mul_f16_e32 v15, v17, v15
	s_delay_alu instid0(VALU_DEP_4) | instskip(NEXT) | instid1(VALU_DEP_4)
	v_mul_f16_e32 v17, v12, v22
	v_mul_f16_e32 v16, v21, v16
	s_delay_alu instid0(VALU_DEP_4) | instskip(NEXT) | instid1(VALU_DEP_4)
	v_cvt_f32_f16_e64 v18, |v11|
	v_cvt_f32_f16_e64 v15, |v15|
	v_add_co_u32 v11, vcc_lo, s3, v13
	v_add_co_ci_u32_e32 v12, vcc_lo, s37, v14, vcc_lo
	v_cvt_f32_f16_e64 v13, |v17|
	v_cvt_f32_f16_e64 v14, |v16|
	v_max3_f32 v4, v4, v18, v15
	s_delay_alu instid0(VALU_DEP_4) | instskip(SKIP_1) | instid1(VALU_DEP_1)
	v_cmp_ge_i64_e32 vcc_lo, v[11:12], v[9:10]
	v_add_co_u32 v19, s3, v19, s20
	v_add_co_ci_u32_e64 v20, s3, s21, v20, s3
	s_delay_alu instid0(VALU_DEP_4)
	v_max3_f32 v4, v4, v13, v14
	s_or_not1_b32 s3, vcc_lo, exec_lo
	s_branch .LBB48_18
.LBB48_25:
	s_or_b32 exec_lo, exec_lo, s31
.LBB48_26:
	s_delay_alu instid0(SALU_CYCLE_1)
	s_or_b32 exec_lo, exec_lo, s9
	s_lshr_b32 s9, s28, 5
	v_lshlrev_b32_e32 v29, 2, v0
	v_cvt_f32_u32_e32 v9, s9
	s_sub_i32 s13, 0, s9
	s_add_i32 s20, s12, s9
	s_delay_alu instid0(SALU_CYCLE_1) | instskip(NEXT) | instid1(VALU_DEP_1)
	s_add_i32 s20, s20, -1
	v_rcp_iflag_f32_e32 v9, v9
	s_abs_i32 s21, s20
	s_ashr_i32 s20, s20, 31
	ds_store_b32 v29, v4
	s_waitcnt lgkmcnt(0)
	s_barrier
	buffer_gl0_inv
	v_mul_f32_e32 v9, 0x4f7ffffe, v9
	s_delay_alu instid0(VALU_DEP_1) | instskip(NEXT) | instid1(VALU_DEP_1)
	v_cvt_u32_f32_e32 v9, v9
	v_readfirstlane_b32 s3, v9
	s_delay_alu instid0(VALU_DEP_1) | instskip(NEXT) | instid1(SALU_CYCLE_1)
	s_mul_i32 s13, s13, s3
	s_mul_hi_u32 s13, s3, s13
	s_delay_alu instid0(SALU_CYCLE_1) | instskip(NEXT) | instid1(SALU_CYCLE_1)
	s_add_i32 s3, s3, s13
	s_mul_hi_u32 s3, s21, s3
	s_delay_alu instid0(SALU_CYCLE_1) | instskip(NEXT) | instid1(SALU_CYCLE_1)
	s_mul_i32 s13, s3, s9
	s_sub_i32 s13, s21, s13
	s_add_i32 s21, s3, 1
	s_sub_i32 s22, s13, s9
	s_cmp_ge_u32 s13, s9
	s_cselect_b32 s3, s21, s3
	s_cselect_b32 s13, s22, s13
	s_add_i32 s21, s3, 1
	s_cmp_ge_u32 s13, s9
	s_cselect_b32 s3, s21, s3
	s_delay_alu instid0(SALU_CYCLE_1) | instskip(NEXT) | instid1(SALU_CYCLE_1)
	s_xor_b32 s3, s3, s20
	s_sub_i32 s20, s3, s20
	s_delay_alu instid0(SALU_CYCLE_1) | instskip(NEXT) | instid1(SALU_CYCLE_1)
	s_ashr_i32 s21, s20, 31
	v_cmp_lt_i64_e64 s3, s[20:21], 1
	s_delay_alu instid0(VALU_DEP_1)
	s_and_b32 vcc_lo, exec_lo, s3
	s_cbranch_vccnz .LBB48_46
; %bb.27:
	v_lshrrev_b32_e32 v9, 5, v0
	v_and_b32_e32 v4, 31, v0
	s_ashr_i32 s13, s12, 31
	s_mov_b64 s[22:23], 0
	s_mov_b64 s[24:25], src_shared_base
	v_mul_lo_u32 v19, s18, v9
	v_add_co_u32 v11, s3, v4, 16
	s_delay_alu instid0(VALU_DEP_1) | instskip(SKIP_1) | instid1(VALU_DEP_1)
	v_add_co_ci_u32_e64 v12, null, 0, 0, s3
	v_add_co_u32 v13, s3, v4, 8
	v_add_co_ci_u32_e64 v14, null, 0, 0, s3
	v_add_co_u32 v15, s3, v4, 4
	v_dual_mov_b32 v10, 0 :: v_dual_lshlrev_b32 v21, 2, v19
	v_lshlrev_b32_e32 v22, 2, v4
	v_add_co_ci_u32_e64 v16, null, 0, 0, s3
	v_add_co_u32 v17, s3, v4, 2
	s_delay_alu instid0(VALU_DEP_1) | instskip(SKIP_1) | instid1(VALU_DEP_1)
	v_add_co_ci_u32_e64 v18, null, 0, 0, s3
	v_add_co_u32 v19, s3, v4, 1
	v_add_co_ci_u32_e64 v20, null, 0, 0, s3
	v_add3_u32 v30, v21, v22, 0x80
	s_mul_i32 s3, s18, s9
	s_delay_alu instid0(SALU_CYCLE_1)
	s_lshl_b32 s30, s3, 2
	s_branch .LBB48_30
.LBB48_28:                              ;   in Loop: Header=BB48_30 Depth=1
	s_or_b32 exec_lo, exec_lo, s3
	v_mov_b32_e32 v22, s25
	flat_load_b32 v21, v[21:22] glc dlc
	s_waitcnt vmcnt(0)
.LBB48_29:                              ;   in Loop: Header=BB48_30 Depth=1
	s_or_b32 exec_lo, exec_lo, s24
	s_add_u32 s22, s22, 1
	v_add_nc_u32_e32 v30, s30, v30
	s_addc_u32 s23, s23, 0
	s_delay_alu instid0(SALU_CYCLE_1)
	s_cmp_eq_u64 s[22:23], s[20:21]
	s_cbranch_scc1 .LBB48_46
.LBB48_30:                              ; =>This Loop Header: Depth=1
                                        ;     Child Loop BB48_33 Depth 2
	s_waitcnt lgkmcnt(0)
	v_mad_u64_u32 v[21:22], null, s22, s9, v[9:10]
	s_mov_b32 s24, exec_lo
	s_delay_alu instid0(VALU_DEP_1) | instskip(NEXT) | instid1(VALU_DEP_1)
	v_mad_u64_u32 v[23:24], null, s23, s9, v[22:23]
	v_mov_b32_e32 v22, v23
	s_delay_alu instid0(VALU_DEP_1)
	v_cmpx_gt_i64_e64 s[12:13], v[21:22]
	s_cbranch_execz .LBB48_29
; %bb.31:                               ;   in Loop: Header=BB48_30 Depth=1
	v_mul_lo_u32 v24, v22, s18
	v_mul_lo_u32 v25, v21, s19
	v_mad_u64_u32 v[22:23], null, v21, s18, 0
	s_delay_alu instid0(VALU_DEP_1) | instskip(NEXT) | instid1(VALU_DEP_2)
	v_add3_u32 v23, v23, v25, v24
	v_add_co_u32 v24, vcc_lo, v22, s18
	v_add_co_u32 v31, s3, v22, v4
	s_delay_alu instid0(VALU_DEP_3) | instskip(SKIP_2) | instid1(VALU_DEP_2)
	v_add_co_ci_u32_e32 v25, vcc_lo, s19, v23, vcc_lo
	v_add_co_ci_u32_e64 v21, s3, 0, v23, s3
	s_mov_b32 s3, exec_lo
	v_cmp_gt_i64_e32 vcc_lo, s[14:15], v[24:25]
	v_cndmask_b32_e32 v25, s15, v25, vcc_lo
	v_cndmask_b32_e32 v24, s14, v24, vcc_lo
	v_add_co_u32 v26, vcc_lo, v31, 32
	v_add_co_ci_u32_e32 v27, vcc_lo, 0, v21, vcc_lo
	v_lshlrev_b32_e32 v21, 2, v31
	s_delay_alu instid0(VALU_DEP_2)
	v_cmpx_lt_i64_e64 v[26:27], v[24:25]
	s_cbranch_execz .LBB48_34
; %bb.32:                               ;   in Loop: Header=BB48_30 Depth=1
	ds_load_b32 v33, v21
	v_mov_b32_e32 v32, v30
	s_mov_b32 s31, 0
.LBB48_33:                              ;   Parent Loop BB48_30 Depth=1
                                        ; =>  This Inner Loop Header: Depth=2
	ds_load_b32 v34, v32
	v_add_co_u32 v26, vcc_lo, v26, 32
	v_add_co_ci_u32_e32 v27, vcc_lo, 0, v27, vcc_lo
	s_waitcnt lgkmcnt(1)
	v_dual_max_f32 v33, v33, v33 :: v_dual_add_nc_u32 v32, 0x80, v32
	s_delay_alu instid0(VALU_DEP_2) | instskip(SKIP_3) | instid1(VALU_DEP_1)
	v_cmp_ge_i64_e32 vcc_lo, v[26:27], v[24:25]
	s_or_b32 s31, vcc_lo, s31
	s_waitcnt lgkmcnt(0)
	v_max_f32_e32 v34, v34, v34
	v_max_f32_e32 v33, v33, v34
	ds_store_b32 v21, v33
	s_and_not1_b32 exec_lo, exec_lo, s31
	s_cbranch_execnz .LBB48_33
.LBB48_34:                              ;   in Loop: Header=BB48_30 Depth=1
	s_or_b32 exec_lo, exec_lo, s3
	v_sub_co_u32 v22, vcc_lo, v24, v22
	v_sub_co_ci_u32_e32 v23, vcc_lo, v25, v23, vcc_lo
	s_mov_b32 s3, exec_lo
	s_delay_alu instid0(VALU_DEP_1) | instskip(SKIP_1) | instid1(VALU_DEP_1)
	v_cmp_gt_i64_e32 vcc_lo, 32, v[22:23]
	v_dual_cndmask_b32 v24, 0, v23 :: v_dual_cndmask_b32 v23, 32, v22
	v_cmpx_lt_i64_e64 v[11:12], v[23:24]
	s_cbranch_execz .LBB48_36
; %bb.35:                               ;   in Loop: Header=BB48_30 Depth=1
	v_dual_mov_b32 v22, s25 :: v_dual_add_nc_u32 v25, 64, v21
	v_mov_b32_e32 v26, s25
	flat_load_b32 v27, v[21:22] glc dlc
	s_waitcnt vmcnt(0)
	flat_load_b32 v25, v[25:26] glc dlc
	s_waitcnt vmcnt(0) lgkmcnt(0)
	v_dual_max_f32 v26, v27, v27 :: v_dual_max_f32 v25, v25, v25
	s_delay_alu instid0(VALU_DEP_1)
	v_max_f32_e32 v25, v26, v25
	flat_store_b32 v[21:22], v25 dlc
	s_waitcnt_vscnt null, 0x0
.LBB48_36:                              ;   in Loop: Header=BB48_30 Depth=1
	s_or_b32 exec_lo, exec_lo, s3
	s_delay_alu instid0(SALU_CYCLE_1)
	s_mov_b32 s3, exec_lo
	v_cmpx_lt_i64_e64 v[13:14], v[23:24]
	s_cbranch_execz .LBB48_38
; %bb.37:                               ;   in Loop: Header=BB48_30 Depth=1
	v_dual_mov_b32 v22, s25 :: v_dual_add_nc_u32 v25, 32, v21
	v_mov_b32_e32 v26, s25
	flat_load_b32 v27, v[21:22] glc dlc
	s_waitcnt vmcnt(0)
	flat_load_b32 v25, v[25:26] glc dlc
	s_waitcnt vmcnt(0) lgkmcnt(0)
	v_dual_max_f32 v26, v27, v27 :: v_dual_max_f32 v25, v25, v25
	s_delay_alu instid0(VALU_DEP_1)
	v_max_f32_e32 v25, v26, v25
	flat_store_b32 v[21:22], v25 dlc
	s_waitcnt_vscnt null, 0x0
.LBB48_38:                              ;   in Loop: Header=BB48_30 Depth=1
	s_or_b32 exec_lo, exec_lo, s3
	s_delay_alu instid0(SALU_CYCLE_1)
	s_mov_b32 s3, exec_lo
	v_cmpx_ge_i64_e64 v[15:16], v[23:24]
	s_xor_b32 s3, exec_lo, s3
; %bb.39:                               ;   in Loop: Header=BB48_30 Depth=1
                                        ; implicit-def: $vgpr21
; %bb.40:                               ;   in Loop: Header=BB48_30 Depth=1
	s_delay_alu instid0(SALU_CYCLE_1)
	s_and_not1_saveexec_b32 s3, s3
	s_cbranch_execz .LBB48_42
; %bb.41:                               ;   in Loop: Header=BB48_30 Depth=1
	v_dual_mov_b32 v22, s25 :: v_dual_add_nc_u32 v25, 16, v21
	v_mov_b32_e32 v26, s25
	flat_load_b32 v27, v[21:22] glc dlc
	s_waitcnt vmcnt(0)
	flat_load_b32 v25, v[25:26] glc dlc
	s_waitcnt vmcnt(0) lgkmcnt(0)
	v_dual_max_f32 v26, v27, v27 :: v_dual_max_f32 v25, v25, v25
	s_delay_alu instid0(VALU_DEP_1)
	v_max_f32_e32 v25, v26, v25
	flat_store_b32 v[21:22], v25 dlc
	s_waitcnt_vscnt null, 0x0
.LBB48_42:                              ;   in Loop: Header=BB48_30 Depth=1
	s_or_b32 exec_lo, exec_lo, s3
	v_lshlrev_b32_e32 v21, 2, v31
	s_mov_b32 s3, exec_lo
	v_cmpx_lt_i64_e64 v[17:18], v[23:24]
	s_cbranch_execz .LBB48_44
; %bb.43:                               ;   in Loop: Header=BB48_30 Depth=1
	s_delay_alu instid0(VALU_DEP_2)
	v_dual_mov_b32 v22, s25 :: v_dual_add_nc_u32 v25, 8, v21
	v_mov_b32_e32 v26, s25
	flat_load_b32 v27, v[21:22] glc dlc
	s_waitcnt vmcnt(0)
	flat_load_b32 v25, v[25:26] glc dlc
	s_waitcnt vmcnt(0) lgkmcnt(0)
	v_dual_max_f32 v26, v27, v27 :: v_dual_max_f32 v25, v25, v25
	s_delay_alu instid0(VALU_DEP_1)
	v_max_f32_e32 v25, v26, v25
	flat_store_b32 v[21:22], v25 dlc
	s_waitcnt_vscnt null, 0x0
.LBB48_44:                              ;   in Loop: Header=BB48_30 Depth=1
	s_or_b32 exec_lo, exec_lo, s3
	s_delay_alu instid0(SALU_CYCLE_1)
	s_mov_b32 s3, exec_lo
	v_cmpx_lt_i64_e64 v[19:20], v[23:24]
	s_cbranch_execz .LBB48_28
; %bb.45:                               ;   in Loop: Header=BB48_30 Depth=1
	v_dual_mov_b32 v22, s25 :: v_dual_add_nc_u32 v23, 4, v21
	v_mov_b32_e32 v24, s25
	flat_load_b32 v25, v[21:22] glc dlc
	s_waitcnt vmcnt(0)
	flat_load_b32 v23, v[23:24] glc dlc
	s_waitcnt vmcnt(0) lgkmcnt(0)
	v_dual_max_f32 v24, v25, v25 :: v_dual_max_f32 v23, v23, v23
	s_delay_alu instid0(VALU_DEP_1)
	v_max_f32_e32 v23, v24, v23
	flat_store_b32 v[21:22], v23 dlc
	s_waitcnt_vscnt null, 0x0
	s_branch .LBB48_28
.LBB48_46:
	s_load_b64 s[12:13], s[0:1], 0x40
	v_cmp_lt_i64_e32 vcc_lo, v[7:8], v[5:6]
	v_cmp_eq_u32_e64 s3, 0, v3
	s_waitcnt lgkmcnt(0)
	s_barrier
	buffer_gl0_inv
	s_and_b32 s9, s3, vcc_lo
	s_delay_alu instid0(SALU_CYCLE_1)
	s_and_saveexec_b32 s3, s9
	s_cbranch_execz .LBB48_53
; %bb.47:
	s_load_b64 s[0:1], s[0:1], 0x20
	ds_load_b32 v5, v29
	s_waitcnt lgkmcnt(0)
	s_cmp_eq_u64 s[0:1], 0
	s_cbranch_scc1 .LBB48_49
; %bb.48:
	s_load_b32 s0, s[0:1], 0x0
	v_max_f32_e32 v3, v5, v5
	s_waitcnt lgkmcnt(0)
	v_max_f32_e64 v4, s0, s0
	s_delay_alu instid0(VALU_DEP_1)
	v_min_f32_e32 v5, v3, v4
.LBB48_49:
	s_add_u32 s0, s12, s29
	s_addc_u32 s1, s13, 0
	s_add_u32 s18, s0, -1
	s_addc_u32 s19, s1, -1
	s_delay_alu instid0(SALU_CYCLE_1) | instskip(SKIP_1) | instid1(SALU_CYCLE_1)
	s_or_b64 s[20:21], s[18:19], s[12:13]
	s_mov_b32 s20, 0
	s_cmp_lg_u64 s[20:21], 0
	s_cbranch_scc0 .LBB48_162
; %bb.50:
	s_ashr_i32 s0, s13, 31
	s_delay_alu instid0(SALU_CYCLE_1) | instskip(SKIP_2) | instid1(SALU_CYCLE_1)
	s_add_u32 s22, s12, s0
	s_mov_b32 s1, s0
	s_addc_u32 s23, s13, s0
	s_xor_b64 s[0:1], s[22:23], s[0:1]
	s_delay_alu instid0(SALU_CYCLE_1) | instskip(SKIP_3) | instid1(VALU_DEP_1)
	v_cvt_f32_u32_e32 v3, s0
	v_cvt_f32_u32_e32 v4, s1
	s_sub_u32 s22, 0, s0
	s_subb_u32 s23, 0, s1
	v_fmamk_f32 v3, v4, 0x4f800000, v3
	s_delay_alu instid0(VALU_DEP_1) | instskip(SKIP_2) | instid1(VALU_DEP_1)
	v_rcp_f32_e32 v3, v3
	s_waitcnt_depctr 0xfff
	v_mul_f32_e32 v3, 0x5f7ffffc, v3
	v_mul_f32_e32 v4, 0x2f800000, v3
	s_delay_alu instid0(VALU_DEP_1) | instskip(NEXT) | instid1(VALU_DEP_1)
	v_trunc_f32_e32 v4, v4
	v_fmamk_f32 v3, v4, 0xcf800000, v3
	v_cvt_u32_f32_e32 v4, v4
	s_delay_alu instid0(VALU_DEP_2) | instskip(NEXT) | instid1(VALU_DEP_2)
	v_cvt_u32_f32_e32 v3, v3
	v_readfirstlane_b32 s9, v4
	s_delay_alu instid0(VALU_DEP_2) | instskip(NEXT) | instid1(VALU_DEP_2)
	v_readfirstlane_b32 s21, v3
	s_mul_i32 s24, s22, s9
	s_delay_alu instid0(VALU_DEP_1)
	s_mul_hi_u32 s30, s22, s21
	s_mul_i32 s25, s23, s21
	s_add_i32 s24, s30, s24
	s_mul_i32 s31, s22, s21
	s_add_i32 s24, s24, s25
	s_mul_hi_u32 s30, s21, s31
	s_mul_hi_u32 s33, s9, s31
	s_mul_i32 s25, s9, s31
	s_mul_hi_u32 s31, s21, s24
	s_mul_i32 s21, s21, s24
	s_mul_hi_u32 s34, s9, s24
	s_add_u32 s21, s30, s21
	s_addc_u32 s30, 0, s31
	s_add_u32 s21, s21, s25
	s_mul_i32 s24, s9, s24
	s_addc_u32 s21, s30, s33
	s_addc_u32 s25, s34, 0
	s_add_u32 s21, s21, s24
	s_addc_u32 s24, 0, s25
	v_add_co_u32 v3, s21, v3, s21
	s_delay_alu instid0(VALU_DEP_1) | instskip(SKIP_1) | instid1(VALU_DEP_1)
	s_cmp_lg_u32 s21, 0
	s_addc_u32 s9, s9, s24
	v_readfirstlane_b32 s21, v3
	s_mul_i32 s24, s22, s9
	s_delay_alu instid0(VALU_DEP_1)
	s_mul_hi_u32 s25, s22, s21
	s_mul_i32 s23, s23, s21
	s_add_i32 s24, s25, s24
	s_mul_i32 s22, s22, s21
	s_add_i32 s24, s24, s23
	s_mul_hi_u32 s25, s9, s22
	s_mul_i32 s30, s9, s22
	s_mul_hi_u32 s22, s21, s22
	s_mul_hi_u32 s31, s21, s24
	s_mul_i32 s21, s21, s24
	s_mul_hi_u32 s23, s9, s24
	s_add_u32 s21, s22, s21
	s_addc_u32 s22, 0, s31
	s_add_u32 s21, s21, s30
	s_mul_i32 s24, s9, s24
	s_addc_u32 s21, s22, s25
	s_addc_u32 s22, s23, 0
	s_add_u32 s21, s21, s24
	s_addc_u32 s22, 0, s22
	v_add_co_u32 v3, s21, v3, s21
	s_delay_alu instid0(VALU_DEP_1) | instskip(SKIP_2) | instid1(VALU_DEP_1)
	s_cmp_lg_u32 s21, 0
	s_addc_u32 s9, s9, s22
	s_ashr_i32 s22, s19, 31
	v_readfirstlane_b32 s21, v3
	s_add_u32 s24, s18, s22
	s_mov_b32 s23, s22
	s_addc_u32 s25, s19, s22
	s_delay_alu instid0(SALU_CYCLE_1) | instskip(NEXT) | instid1(SALU_CYCLE_1)
	s_xor_b64 s[24:25], s[24:25], s[22:23]
	s_mul_i32 s30, s24, s9
	s_mul_hi_u32 s31, s24, s21
	s_mul_hi_u32 s23, s24, s9
	;; [unrolled: 1-line block ×3, first 2 shown]
	s_mul_i32 s21, s25, s21
	s_add_u32 s30, s31, s30
	s_addc_u32 s23, 0, s23
	s_mul_hi_u32 s33, s25, s9
	s_add_u32 s21, s30, s21
	s_mul_i32 s9, s25, s9
	s_addc_u32 s21, s23, s34
	s_addc_u32 s23, s33, 0
	s_add_u32 s9, s21, s9
	s_addc_u32 s21, 0, s23
	s_mul_hi_u32 s23, s0, s9
	s_mul_i32 s21, s0, s21
	s_mul_i32 s30, s1, s9
	;; [unrolled: 1-line block ×3, first 2 shown]
	s_add_i32 s21, s23, s21
	v_sub_co_u32 v3, s9, s24, s9
	s_add_i32 s21, s21, s30
	s_delay_alu instid0(SALU_CYCLE_1) | instskip(SKIP_1) | instid1(VALU_DEP_1)
	s_sub_i32 s23, s25, s21
	s_cmp_lg_u32 s9, 0
	v_sub_co_u32 v4, s24, v3, s0
	s_subb_u32 s23, s23, s1
	s_cmp_lg_u32 s24, 0
	s_subb_u32 s30, s23, 0
	s_delay_alu instid0(VALU_DEP_1)
	v_cmp_le_u32_e32 vcc_lo, s0, v4
	s_cmp_ge_u32 s30, s1
	s_cselect_b32 s31, -1, 0
	s_cmp_eq_u32 s30, s1
	v_cndmask_b32_e64 v6, 0, -1, vcc_lo
	s_cselect_b32 vcc_lo, -1, 0
	s_cmp_lg_u32 s24, 0
	v_sub_co_u32 v7, s24, v4, s0
	s_subb_u32 s23, s23, s1
	s_cmp_lg_u32 s24, 0
	v_cndmask_b32_e32 v6, s31, v6, vcc_lo
	s_subb_u32 s23, s23, 0
	s_cmp_lg_u32 s9, 0
	v_cmp_le_u32_e32 vcc_lo, s0, v3
	s_subb_u32 s9, s25, s21
	s_delay_alu instid0(SALU_CYCLE_1)
	s_cmp_ge_u32 s9, s1
	v_cndmask_b32_e64 v8, 0, -1, vcc_lo
	s_cselect_b32 s21, -1, 0
	s_cmp_eq_u32 s9, s1
	v_cmp_ne_u32_e32 vcc_lo, 0, v6
	v_mov_b32_e32 v6, s23
	s_cselect_b32 s0, -1, 0
	s_delay_alu instid0(SALU_CYCLE_1) | instskip(SKIP_1) | instid1(VALU_DEP_3)
	v_cndmask_b32_e64 v8, s21, v8, s0
	v_cndmask_b32_e32 v4, v4, v7, vcc_lo
	v_cndmask_b32_e32 v6, s30, v6, vcc_lo
	s_delay_alu instid0(VALU_DEP_3) | instskip(NEXT) | instid1(VALU_DEP_3)
	v_cmp_ne_u32_e32 vcc_lo, 0, v8
	v_cndmask_b32_e32 v3, v3, v4, vcc_lo
	s_delay_alu instid0(VALU_DEP_3) | instskip(NEXT) | instid1(VALU_DEP_2)
	v_cndmask_b32_e32 v6, s9, v6, vcc_lo
	v_xor_b32_e32 v3, s22, v3
	s_delay_alu instid0(VALU_DEP_2) | instskip(NEXT) | instid1(VALU_DEP_2)
	v_xor_b32_e32 v4, s22, v6
	v_sub_co_u32 v3, vcc_lo, v3, s22
	s_delay_alu instid0(VALU_DEP_2)
	v_subrev_co_ci_u32_e32 v4, vcc_lo, s22, v4, vcc_lo
	s_and_not1_b32 vcc_lo, exec_lo, s20
	s_cbranch_vccnz .LBB48_52
.LBB48_51:
	v_cvt_f32_u32_e32 v3, s12
	s_sub_i32 s0, 0, s12
	s_delay_alu instid0(VALU_DEP_1) | instskip(SKIP_2) | instid1(VALU_DEP_1)
	v_rcp_iflag_f32_e32 v3, v3
	s_waitcnt_depctr 0xfff
	v_mul_f32_e32 v3, 0x4f7ffffe, v3
	v_cvt_u32_f32_e32 v3, v3
	s_delay_alu instid0(VALU_DEP_1) | instskip(NEXT) | instid1(VALU_DEP_1)
	v_mul_lo_u32 v4, s0, v3
	v_mul_hi_u32 v4, v3, v4
	s_delay_alu instid0(VALU_DEP_1) | instskip(NEXT) | instid1(VALU_DEP_1)
	v_add_nc_u32_e32 v3, v3, v4
	v_mul_hi_u32 v3, s18, v3
	s_delay_alu instid0(VALU_DEP_1) | instskip(NEXT) | instid1(VALU_DEP_1)
	v_mul_lo_u32 v3, v3, s12
	v_sub_nc_u32_e32 v3, s18, v3
	s_delay_alu instid0(VALU_DEP_1) | instskip(SKIP_1) | instid1(VALU_DEP_2)
	v_subrev_nc_u32_e32 v4, s12, v3
	v_cmp_le_u32_e32 vcc_lo, s12, v3
	v_cndmask_b32_e32 v3, v3, v4, vcc_lo
	s_delay_alu instid0(VALU_DEP_1) | instskip(SKIP_1) | instid1(VALU_DEP_2)
	v_subrev_nc_u32_e32 v4, s12, v3
	v_cmp_le_u32_e32 vcc_lo, s12, v3
	v_dual_cndmask_b32 v3, v3, v4 :: v_dual_mov_b32 v4, 0
.LBB48_52:
	v_div_scale_f32 v6, null, 0x43e00000, 0x43e00000, v5
	v_div_scale_f32 v9, vcc_lo, v5, 0x43e00000, v5
	s_delay_alu instid0(VALU_DEP_3) | instskip(NEXT) | instid1(VALU_DEP_3)
	v_sub_co_u32 v10, s0, s18, v3
	v_rcp_f32_e32 v7, v6
	v_sub_co_ci_u32_e64 v3, s0, s19, v4, s0
	s_lshl_b64 s[0:1], s[16:17], 2
	s_delay_alu instid0(SALU_CYCLE_1) | instskip(NEXT) | instid1(VALU_DEP_1)
	s_add_u32 s0, s0, s6
	v_mul_lo_u32 v11, v3, v1
	s_addc_u32 s1, s1, s7
	s_waitcnt_depctr 0xfff
	v_fma_f32 v8, -v6, v7, 1.0
	s_delay_alu instid0(VALU_DEP_1) | instskip(NEXT) | instid1(VALU_DEP_1)
	v_fmac_f32_e32 v7, v8, v7
	v_mul_f32_e32 v8, v9, v7
	s_delay_alu instid0(VALU_DEP_1) | instskip(NEXT) | instid1(VALU_DEP_1)
	v_fma_f32 v4, -v6, v8, v9
	v_fmac_f32_e32 v8, v4, v7
	v_mul_lo_u32 v4, v10, v2
	v_mad_u64_u32 v[2:3], null, v10, v1, 0
	s_delay_alu instid0(VALU_DEP_3) | instskip(NEXT) | instid1(VALU_DEP_2)
	v_fma_f32 v1, -v6, v8, v9
	v_add3_u32 v3, v3, v4, v11
	s_delay_alu instid0(VALU_DEP_2) | instskip(NEXT) | instid1(VALU_DEP_1)
	v_div_fmas_f32 v1, v1, v7, v8
	v_div_fixup_f32 v4, v1, 0x43e00000, v5
	s_delay_alu instid0(VALU_DEP_3) | instskip(NEXT) | instid1(VALU_DEP_2)
	v_lshlrev_b64 v[1:2], 2, v[2:3]
	v_max_f32_e32 v3, 0x36924925, v4
	s_delay_alu instid0(VALU_DEP_2) | instskip(NEXT) | instid1(VALU_DEP_3)
	v_add_co_u32 v1, vcc_lo, s0, v1
	v_add_co_ci_u32_e32 v2, vcc_lo, s1, v2, vcc_lo
	global_store_b32 v[1:2], v3, off
.LBB48_53:
	s_or_b32 exec_lo, exec_lo, s3
	s_waitcnt_vscnt null, 0x0
	s_barrier
	buffer_gl0_inv
	s_and_saveexec_b32 s0, s2
	s_cbranch_execz .LBB48_161
; %bb.54:
	s_add_u32 s0, s12, s29
	s_addc_u32 s1, s13, 0
	s_add_u32 s2, s0, -1
	s_addc_u32 s3, s1, -1
	s_delay_alu instid0(SALU_CYCLE_1) | instskip(SKIP_1) | instid1(SALU_CYCLE_1)
	s_or_b64 s[18:19], s[2:3], s[12:13]
	s_mov_b32 s18, 0
	s_cmp_lg_u64 s[18:19], 0
	s_cbranch_scc0 .LBB48_163
; %bb.55:
	s_ashr_i32 s0, s13, 31
	s_delay_alu instid0(SALU_CYCLE_1) | instskip(SKIP_2) | instid1(SALU_CYCLE_1)
	s_add_u32 s20, s12, s0
	s_mov_b32 s1, s0
	s_addc_u32 s21, s13, s0
	s_xor_b64 s[0:1], s[20:21], s[0:1]
	s_delay_alu instid0(SALU_CYCLE_1) | instskip(SKIP_3) | instid1(VALU_DEP_1)
	v_cvt_f32_u32_e32 v1, s0
	v_cvt_f32_u32_e32 v2, s1
	s_sub_u32 s19, 0, s0
	s_subb_u32 s20, 0, s1
	v_fmamk_f32 v1, v2, 0x4f800000, v1
	s_delay_alu instid0(VALU_DEP_1) | instskip(SKIP_2) | instid1(VALU_DEP_1)
	v_rcp_f32_e32 v1, v1
	s_waitcnt_depctr 0xfff
	v_mul_f32_e32 v1, 0x5f7ffffc, v1
	v_mul_f32_e32 v2, 0x2f800000, v1
	s_delay_alu instid0(VALU_DEP_1) | instskip(NEXT) | instid1(VALU_DEP_1)
	v_trunc_f32_e32 v2, v2
	v_fmamk_f32 v1, v2, 0xcf800000, v1
	v_cvt_u32_f32_e32 v2, v2
	s_delay_alu instid0(VALU_DEP_2) | instskip(NEXT) | instid1(VALU_DEP_2)
	v_cvt_u32_f32_e32 v1, v1
	v_readfirstlane_b32 s9, v2
	s_delay_alu instid0(VALU_DEP_2) | instskip(NEXT) | instid1(VALU_DEP_2)
	v_readfirstlane_b32 s13, v1
	s_mul_i32 s21, s19, s9
	s_delay_alu instid0(VALU_DEP_1)
	s_mul_hi_u32 s23, s19, s13
	s_mul_i32 s22, s20, s13
	s_add_i32 s21, s23, s21
	s_mul_i32 s24, s19, s13
	s_add_i32 s21, s21, s22
	s_mul_hi_u32 s23, s13, s24
	s_mul_hi_u32 s25, s9, s24
	s_mul_i32 s22, s9, s24
	s_mul_hi_u32 s24, s13, s21
	s_mul_i32 s13, s13, s21
	s_mul_hi_u32 s29, s9, s21
	s_add_u32 s13, s23, s13
	s_addc_u32 s23, 0, s24
	s_add_u32 s13, s13, s22
	s_mul_i32 s21, s9, s21
	s_addc_u32 s13, s23, s25
	s_addc_u32 s22, s29, 0
	s_add_u32 s13, s13, s21
	s_addc_u32 s21, 0, s22
	v_add_co_u32 v1, s13, v1, s13
	s_delay_alu instid0(VALU_DEP_1) | instskip(SKIP_1) | instid1(VALU_DEP_1)
	s_cmp_lg_u32 s13, 0
	s_addc_u32 s9, s9, s21
	v_readfirstlane_b32 s13, v1
	s_mul_i32 s21, s19, s9
	s_delay_alu instid0(VALU_DEP_1)
	s_mul_hi_u32 s22, s19, s13
	s_mul_i32 s20, s20, s13
	s_add_i32 s21, s22, s21
	s_mul_i32 s19, s19, s13
	s_add_i32 s21, s21, s20
	s_mul_hi_u32 s22, s9, s19
	s_mul_i32 s23, s9, s19
	s_mul_hi_u32 s19, s13, s19
	s_mul_hi_u32 s24, s13, s21
	s_mul_i32 s13, s13, s21
	s_mul_hi_u32 s20, s9, s21
	s_add_u32 s13, s19, s13
	s_addc_u32 s19, 0, s24
	s_add_u32 s13, s13, s23
	s_mul_i32 s21, s9, s21
	s_addc_u32 s13, s19, s22
	s_addc_u32 s19, s20, 0
	s_add_u32 s13, s13, s21
	s_addc_u32 s19, 0, s19
	v_add_co_u32 v1, s13, v1, s13
	s_delay_alu instid0(VALU_DEP_1) | instskip(SKIP_2) | instid1(VALU_DEP_1)
	s_cmp_lg_u32 s13, 0
	s_addc_u32 s9, s9, s19
	s_ashr_i32 s20, s3, 31
	v_readfirstlane_b32 s13, v1
	s_add_u32 s22, s2, s20
	s_mov_b32 s21, s20
	s_addc_u32 s23, s3, s20
	s_delay_alu instid0(SALU_CYCLE_1) | instskip(NEXT) | instid1(SALU_CYCLE_1)
	s_xor_b64 s[22:23], s[22:23], s[20:21]
	s_mul_i32 s21, s22, s9
	s_mul_hi_u32 s24, s22, s13
	s_mul_hi_u32 s19, s22, s9
	;; [unrolled: 1-line block ×3, first 2 shown]
	s_mul_i32 s13, s23, s13
	s_add_u32 s21, s24, s21
	s_addc_u32 s19, 0, s19
	s_mul_hi_u32 s25, s23, s9
	s_add_u32 s13, s21, s13
	s_mul_i32 s9, s23, s9
	s_addc_u32 s13, s19, s29
	s_addc_u32 s19, s25, 0
	s_add_u32 s9, s13, s9
	s_addc_u32 s13, 0, s19
	s_mul_hi_u32 s19, s0, s9
	s_mul_i32 s13, s0, s13
	s_mul_i32 s21, s1, s9
	;; [unrolled: 1-line block ×3, first 2 shown]
	s_add_i32 s13, s19, s13
	v_sub_co_u32 v1, s9, s22, s9
	s_add_i32 s13, s13, s21
	s_delay_alu instid0(SALU_CYCLE_1) | instskip(SKIP_1) | instid1(VALU_DEP_1)
	s_sub_i32 s19, s23, s13
	s_cmp_lg_u32 s9, 0
	v_sub_co_u32 v2, s21, v1, s0
	s_subb_u32 s19, s19, s1
	s_cmp_lg_u32 s21, 0
	s_subb_u32 s22, s19, 0
	s_delay_alu instid0(VALU_DEP_1)
	v_cmp_le_u32_e32 vcc_lo, s0, v2
	s_cmp_ge_u32 s22, s1
	s_cselect_b32 s24, -1, 0
	s_cmp_eq_u32 s22, s1
	v_cndmask_b32_e64 v3, 0, -1, vcc_lo
	s_cselect_b32 vcc_lo, -1, 0
	s_cmp_lg_u32 s21, 0
	v_sub_co_u32 v4, s21, v2, s0
	s_subb_u32 s19, s19, s1
	s_cmp_lg_u32 s21, 0
	v_cndmask_b32_e32 v3, s24, v3, vcc_lo
	s_subb_u32 s19, s19, 0
	s_cmp_lg_u32 s9, 0
	v_cmp_le_u32_e32 vcc_lo, s0, v1
	s_subb_u32 s9, s23, s13
	s_delay_alu instid0(SALU_CYCLE_1)
	s_cmp_ge_u32 s9, s1
	v_cndmask_b32_e64 v5, 0, -1, vcc_lo
	s_cselect_b32 s13, -1, 0
	s_cmp_eq_u32 s9, s1
	v_cmp_ne_u32_e32 vcc_lo, 0, v3
	v_mov_b32_e32 v3, s19
	s_cselect_b32 s0, -1, 0
	s_delay_alu instid0(SALU_CYCLE_1) | instskip(SKIP_1) | instid1(VALU_DEP_3)
	v_cndmask_b32_e64 v5, s13, v5, s0
	v_cndmask_b32_e32 v2, v2, v4, vcc_lo
	v_cndmask_b32_e32 v3, s22, v3, vcc_lo
	s_delay_alu instid0(VALU_DEP_3) | instskip(NEXT) | instid1(VALU_DEP_3)
	v_cmp_ne_u32_e32 vcc_lo, 0, v5
	v_cndmask_b32_e32 v1, v1, v2, vcc_lo
	s_delay_alu instid0(VALU_DEP_3) | instskip(NEXT) | instid1(VALU_DEP_2)
	v_cndmask_b32_e32 v3, s9, v3, vcc_lo
	v_xor_b32_e32 v1, s20, v1
	s_delay_alu instid0(VALU_DEP_2) | instskip(NEXT) | instid1(VALU_DEP_2)
	v_xor_b32_e32 v2, s20, v3
	v_sub_co_u32 v1, vcc_lo, v1, s20
	s_delay_alu instid0(VALU_DEP_2)
	v_subrev_co_ci_u32_e32 v2, vcc_lo, s20, v2, vcc_lo
	s_and_not1_b32 vcc_lo, exec_lo, s18
	s_cbranch_vccnz .LBB48_57
.LBB48_56:
	v_cvt_f32_u32_e32 v1, s12
	s_sub_i32 s0, 0, s12
	s_delay_alu instid0(VALU_DEP_1) | instskip(SKIP_2) | instid1(VALU_DEP_1)
	v_rcp_iflag_f32_e32 v1, v1
	s_waitcnt_depctr 0xfff
	v_mul_f32_e32 v1, 0x4f7ffffe, v1
	v_cvt_u32_f32_e32 v1, v1
	s_delay_alu instid0(VALU_DEP_1) | instskip(NEXT) | instid1(VALU_DEP_1)
	v_mul_lo_u32 v2, s0, v1
	v_mul_hi_u32 v2, v1, v2
	s_delay_alu instid0(VALU_DEP_1) | instskip(NEXT) | instid1(VALU_DEP_1)
	v_add_nc_u32_e32 v1, v1, v2
	v_mul_hi_u32 v1, s2, v1
	s_delay_alu instid0(VALU_DEP_1) | instskip(NEXT) | instid1(VALU_DEP_1)
	v_mul_lo_u32 v1, v1, s12
	v_sub_nc_u32_e32 v1, s2, v1
	s_delay_alu instid0(VALU_DEP_1) | instskip(SKIP_1) | instid1(VALU_DEP_2)
	v_subrev_nc_u32_e32 v2, s12, v1
	v_cmp_le_u32_e32 vcc_lo, s12, v1
	v_cndmask_b32_e32 v1, v1, v2, vcc_lo
	s_delay_alu instid0(VALU_DEP_1) | instskip(SKIP_1) | instid1(VALU_DEP_2)
	v_subrev_nc_u32_e32 v2, s12, v1
	v_cmp_le_u32_e32 vcc_lo, s12, v1
	v_dual_cndmask_b32 v1, v1, v2 :: v_dual_mov_b32 v2, 0
.LBB48_57:
	s_mul_i32 s0, s15, s16
	s_mul_hi_u32 s1, s14, s16
	s_mul_i32 s9, s14, s16
	s_add_i32 s1, s1, s0
	v_sub_co_u32 v9, vcc_lo, s2, v1
	s_add_u32 s0, s4, s9
	s_addc_u32 s1, s5, s1
	s_lshl_b64 s[4:5], s[16:17], 2
	v_sub_co_ci_u32_e32 v10, vcc_lo, s3, v2, vcc_lo
	v_mov_b32_e32 v1, 0
	s_add_u32 s4, s6, s4
	s_addc_u32 s5, s7, s5
	s_mul_i32 s2, s28, 3
	s_lshl_b32 s3, s28, 1
	s_mov_b32 s6, 0
	s_mov_b32 s7, 0x43e00000
	s_add_i32 s9, s28, s28
	s_branch .LBB48_63
.LBB48_58:                              ;   in Loop: Header=BB48_63 Depth=1
	s_or_b32 exec_lo, exec_lo, s16
.LBB48_59:                              ;   in Loop: Header=BB48_63 Depth=1
	s_delay_alu instid0(SALU_CYCLE_1)
	s_or_b32 exec_lo, exec_lo, s15
	v_lshrrev_b32_e32 v6, 24, v14
	v_lshrrev_b32_e32 v3, 24, v3
	v_and_b32_e32 v12, 0x80000000, v4
	v_lshrrev_b32_e32 v11, 24, v11
	v_lshlrev_b32_e32 v5, 24, v5
	v_and_b32_e32 v6, 0x80, v6
	v_and_b32_e32 v3, 0x80, v3
	v_and_b32_e32 v8, 0xff, v8
	s_delay_alu instid0(VALU_DEP_3) | instskip(NEXT) | instid1(VALU_DEP_3)
	v_and_or_b32 v6, 0xff, v13, v6
	v_and_or_b32 v7, 0xff, v7, v3
	v_lshlrev_b64 v[3:4], 2, v[0:1]
	v_add3_u32 v0, s9, s28, v2
	v_and_or_b32 v8, 0x80, v11, v8
	v_lshlrev_b32_e32 v6, 16, v6
	v_lshlrev_b32_e32 v7, 8, v7
	v_add_co_u32 v2, vcc_lo, s0, v3
	s_delay_alu instid0(VALU_DEP_3) | instskip(SKIP_2) | instid1(VALU_DEP_3)
	v_or3_b32 v5, v12, v5, v6
	v_add_co_ci_u32_e32 v3, vcc_lo, s1, v4, vcc_lo
	v_cmp_le_u32_e32 vcc_lo, s8, v0
	v_or3_b32 v4, v5, v7, v8
	s_or_not1_b32 s15, vcc_lo, exec_lo
	global_store_b32 v[2:3], v4, off
.LBB48_60:                              ;   in Loop: Header=BB48_63 Depth=1
	s_or_b32 exec_lo, exec_lo, s14
	s_delay_alu instid0(SALU_CYCLE_1)
	s_or_not1_b32 s14, s15, exec_lo
.LBB48_61:                              ;   in Loop: Header=BB48_63 Depth=1
	s_or_b32 exec_lo, exec_lo, s13
	s_delay_alu instid0(SALU_CYCLE_1)
	s_or_not1_b32 s13, s14, exec_lo
.LBB48_62:                              ;   in Loop: Header=BB48_63 Depth=1
	s_or_b32 exec_lo, exec_lo, s12
	s_delay_alu instid0(SALU_CYCLE_1) | instskip(NEXT) | instid1(SALU_CYCLE_1)
	s_and_b32 s12, exec_lo, s13
	s_or_b32 s6, s12, s6
	s_delay_alu instid0(SALU_CYCLE_1)
	s_and_not1_b32 exec_lo, exec_lo, s6
	s_cbranch_execz .LBB48_161
.LBB48_63:                              ; =>This Inner Loop Header: Depth=1
	v_bfe_u32 v3, v0, 5, 25
	v_lshlrev_b64 v[6:7], 3, v[0:1]
	s_mov_b32 s12, exec_lo
	s_delay_alu instid0(VALU_DEP_2) | instskip(NEXT) | instid1(VALU_DEP_1)
	v_mad_u64_u32 v[4:5], null, v9, v3, 0
	v_mov_b32_e32 v2, v5
	s_delay_alu instid0(VALU_DEP_1) | instskip(NEXT) | instid1(VALU_DEP_4)
	v_mad_u64_u32 v[11:12], null, v10, v3, v[2:3]
	v_add_co_u32 v2, vcc_lo, s26, v6
	v_add_co_ci_u32_e32 v3, vcc_lo, s27, v7, vcc_lo
	v_add_co_u32 v6, vcc_lo, s10, v6
	s_delay_alu instid0(VALU_DEP_4)
	v_mov_b32_e32 v5, v11
	v_add_co_ci_u32_e32 v7, vcc_lo, s11, v7, vcc_lo
	global_load_b64 v[2:3], v[2:3], off
	v_lshlrev_b64 v[11:12], 2, v[4:5]
	global_load_b64 v[4:5], v[6:7], off
	v_add_co_u32 v6, vcc_lo, s4, v11
	v_add_co_ci_u32_e32 v7, vcc_lo, s5, v12, vcc_lo
	global_load_b32 v11, v[6:7], off
	s_waitcnt vmcnt(2)
	v_fma_mixlo_f16 v6, v28, v2, 0 op_sel_hi:[0,1,0]
	s_waitcnt vmcnt(1)
	s_delay_alu instid0(VALU_DEP_1) | instskip(NEXT) | instid1(VALU_DEP_1)
	v_mul_f16_e32 v6, v4, v6
	v_cvt_f32_f16_e32 v6, v6
	s_waitcnt vmcnt(0)
	s_delay_alu instid0(VALU_DEP_1) | instskip(SKIP_1) | instid1(VALU_DEP_2)
	v_div_scale_f32 v7, null, v11, v11, v6
	v_div_scale_f32 v13, vcc_lo, v6, v11, v6
	v_rcp_f32_e32 v8, v7
	s_waitcnt_depctr 0xfff
	v_fma_f32 v12, -v7, v8, 1.0
	s_delay_alu instid0(VALU_DEP_1) | instskip(NEXT) | instid1(VALU_DEP_1)
	v_fmac_f32_e32 v8, v12, v8
	v_mul_f32_e32 v12, v13, v8
	s_delay_alu instid0(VALU_DEP_1) | instskip(NEXT) | instid1(VALU_DEP_1)
	v_fma_f32 v14, -v7, v12, v13
	v_fmac_f32_e32 v12, v14, v8
	s_delay_alu instid0(VALU_DEP_1) | instskip(NEXT) | instid1(VALU_DEP_1)
	v_fma_f32 v7, -v7, v12, v13
	v_div_fmas_f32 v7, v7, v8, v12
	s_delay_alu instid0(VALU_DEP_1) | instskip(SKIP_1) | instid1(VALU_DEP_2)
	v_div_fixup_f32 v6, v7, v11, v6
	v_mov_b32_e32 v7, 0x7f
	v_minmax_f32 v8, v6, s7, 0xc3e00000
	v_mov_b32_e32 v6, 0x7f
	s_delay_alu instid0(VALU_DEP_2) | instskip(NEXT) | instid1(VALU_DEP_1)
	v_and_b32_e32 v12, 0x7fffffff, v8
	v_cmpx_gt_u32_e32 0x43f00000, v12
	s_cbranch_execz .LBB48_69
; %bb.64:                               ;   in Loop: Header=BB48_63 Depth=1
	s_mov_b32 s13, exec_lo
                                        ; implicit-def: $vgpr7
	v_cmpx_lt_u32_e32 0x3c7fffff, v12
	s_xor_b32 s13, exec_lo, s13
; %bb.65:                               ;   in Loop: Header=BB48_63 Depth=1
	v_bfe_u32 v7, v8, 20, 1
	s_delay_alu instid0(VALU_DEP_1) | instskip(NEXT) | instid1(VALU_DEP_1)
	v_add3_u32 v7, v8, v7, 0x407ffff
	v_lshrrev_b32_e32 v7, 20, v7
; %bb.66:                               ;   in Loop: Header=BB48_63 Depth=1
	s_and_not1_saveexec_b32 s13, s13
; %bb.67:                               ;   in Loop: Header=BB48_63 Depth=1
	v_add_f32_e64 v7, 0x46800000, |v8|
; %bb.68:                               ;   in Loop: Header=BB48_63 Depth=1
	s_or_b32 exec_lo, exec_lo, s13
.LBB48_69:                              ;   in Loop: Header=BB48_63 Depth=1
	s_delay_alu instid0(SALU_CYCLE_1) | instskip(SKIP_3) | instid1(VALU_DEP_1)
	s_or_b32 exec_lo, exec_lo, s12
	v_lshrrev_b32_e32 v4, 16, v4
	v_fma_mixlo_f16 v2, v28, v2, 0 op_sel:[0,1,0] op_sel_hi:[0,1,0]
	s_mov_b32 s12, exec_lo
	v_mul_f16_e32 v2, v4, v2
	s_delay_alu instid0(VALU_DEP_1) | instskip(NEXT) | instid1(VALU_DEP_1)
	v_cvt_f32_f16_e32 v2, v2
	v_div_scale_f32 v4, null, v11, v11, v2
	s_delay_alu instid0(VALU_DEP_1) | instskip(SKIP_2) | instid1(VALU_DEP_1)
	v_rcp_f32_e32 v12, v4
	s_waitcnt_depctr 0xfff
	v_fma_f32 v13, -v4, v12, 1.0
	v_fmac_f32_e32 v12, v13, v12
	v_div_scale_f32 v13, vcc_lo, v2, v11, v2
	s_delay_alu instid0(VALU_DEP_1) | instskip(NEXT) | instid1(VALU_DEP_1)
	v_mul_f32_e32 v14, v13, v12
	v_fma_f32 v15, -v4, v14, v13
	s_delay_alu instid0(VALU_DEP_1) | instskip(NEXT) | instid1(VALU_DEP_1)
	v_fmac_f32_e32 v14, v15, v12
	v_fma_f32 v4, -v4, v14, v13
	s_delay_alu instid0(VALU_DEP_1) | instskip(NEXT) | instid1(VALU_DEP_1)
	v_div_fmas_f32 v4, v4, v12, v14
	v_div_fixup_f32 v2, v4, v11, v2
	s_delay_alu instid0(VALU_DEP_1) | instskip(NEXT) | instid1(VALU_DEP_1)
	v_minmax_f32 v2, v2, s7, 0xc3e00000
	v_and_b32_e32 v4, 0x7fffffff, v2
	s_delay_alu instid0(VALU_DEP_1)
	v_cmpx_gt_u32_e32 0x43f00000, v4
	s_cbranch_execz .LBB48_75
; %bb.70:                               ;   in Loop: Header=BB48_63 Depth=1
	s_mov_b32 s13, exec_lo
                                        ; implicit-def: $vgpr6
	v_cmpx_lt_u32_e32 0x3c7fffff, v4
	s_xor_b32 s13, exec_lo, s13
; %bb.71:                               ;   in Loop: Header=BB48_63 Depth=1
	v_bfe_u32 v4, v2, 20, 1
	s_delay_alu instid0(VALU_DEP_1) | instskip(NEXT) | instid1(VALU_DEP_1)
	v_add3_u32 v4, v2, v4, 0x407ffff
	v_lshrrev_b32_e32 v6, 20, v4
; %bb.72:                               ;   in Loop: Header=BB48_63 Depth=1
	s_and_not1_saveexec_b32 s13, s13
; %bb.73:                               ;   in Loop: Header=BB48_63 Depth=1
	v_add_f32_e64 v6, 0x46800000, |v2|
; %bb.74:                               ;   in Loop: Header=BB48_63 Depth=1
	s_or_b32 exec_lo, exec_lo, s13
.LBB48_75:                              ;   in Loop: Header=BB48_63 Depth=1
	s_delay_alu instid0(SALU_CYCLE_1) | instskip(SKIP_2) | instid1(VALU_DEP_1)
	s_or_b32 exec_lo, exec_lo, s12
	v_fma_mixlo_f16 v4, v28, v3, 0 op_sel_hi:[0,1,0]
	s_mov_b32 s12, exec_lo
	v_mul_f16_e32 v4, v5, v4
	s_delay_alu instid0(VALU_DEP_1) | instskip(NEXT) | instid1(VALU_DEP_1)
	v_cvt_f32_f16_e32 v4, v4
	v_div_scale_f32 v12, null, v11, v11, v4
	v_div_scale_f32 v15, vcc_lo, v4, v11, v4
	s_delay_alu instid0(VALU_DEP_2) | instskip(SKIP_2) | instid1(VALU_DEP_1)
	v_rcp_f32_e32 v13, v12
	s_waitcnt_depctr 0xfff
	v_fma_f32 v14, -v12, v13, 1.0
	v_fmac_f32_e32 v13, v14, v13
	s_delay_alu instid0(VALU_DEP_1) | instskip(NEXT) | instid1(VALU_DEP_1)
	v_mul_f32_e32 v14, v15, v13
	v_fma_f32 v16, -v12, v14, v15
	s_delay_alu instid0(VALU_DEP_1) | instskip(NEXT) | instid1(VALU_DEP_1)
	v_fmac_f32_e32 v14, v16, v13
	v_fma_f32 v12, -v12, v14, v15
	s_delay_alu instid0(VALU_DEP_1) | instskip(NEXT) | instid1(VALU_DEP_1)
	v_div_fmas_f32 v12, v12, v13, v14
	v_div_fixup_f32 v4, v12, v11, v4
	v_mov_b32_e32 v12, 0x7f
	s_delay_alu instid0(VALU_DEP_2) | instskip(SKIP_1) | instid1(VALU_DEP_2)
	v_minmax_f32 v13, v4, s7, 0xc3e00000
	v_mov_b32_e32 v4, 0x7f
	v_and_b32_e32 v14, 0x7fffffff, v13
	s_delay_alu instid0(VALU_DEP_1)
	v_cmpx_gt_u32_e32 0x43f00000, v14
	s_cbranch_execz .LBB48_81
; %bb.76:                               ;   in Loop: Header=BB48_63 Depth=1
	s_mov_b32 s13, exec_lo
                                        ; implicit-def: $vgpr12
	v_cmpx_lt_u32_e32 0x3c7fffff, v14
	s_xor_b32 s13, exec_lo, s13
; %bb.77:                               ;   in Loop: Header=BB48_63 Depth=1
	v_bfe_u32 v12, v13, 20, 1
	s_delay_alu instid0(VALU_DEP_1) | instskip(NEXT) | instid1(VALU_DEP_1)
	v_add3_u32 v12, v13, v12, 0x407ffff
	v_lshrrev_b32_e32 v12, 20, v12
; %bb.78:                               ;   in Loop: Header=BB48_63 Depth=1
	s_and_not1_saveexec_b32 s13, s13
; %bb.79:                               ;   in Loop: Header=BB48_63 Depth=1
	v_add_f32_e64 v12, 0x46800000, |v13|
; %bb.80:                               ;   in Loop: Header=BB48_63 Depth=1
	s_or_b32 exec_lo, exec_lo, s13
.LBB48_81:                              ;   in Loop: Header=BB48_63 Depth=1
	s_delay_alu instid0(SALU_CYCLE_1) | instskip(SKIP_3) | instid1(VALU_DEP_1)
	s_or_b32 exec_lo, exec_lo, s12
	v_lshrrev_b32_e32 v5, 16, v5
	v_fma_mixlo_f16 v3, v28, v3, 0 op_sel:[0,1,0] op_sel_hi:[0,1,0]
	s_mov_b32 s12, exec_lo
	v_mul_f16_e32 v3, v5, v3
	s_delay_alu instid0(VALU_DEP_1) | instskip(NEXT) | instid1(VALU_DEP_1)
	v_cvt_f32_f16_e32 v3, v3
	v_div_scale_f32 v5, null, v11, v11, v3
	s_delay_alu instid0(VALU_DEP_1) | instskip(SKIP_2) | instid1(VALU_DEP_1)
	v_rcp_f32_e32 v14, v5
	s_waitcnt_depctr 0xfff
	v_fma_f32 v15, -v5, v14, 1.0
	v_fmac_f32_e32 v14, v15, v14
	v_div_scale_f32 v15, vcc_lo, v3, v11, v3
	s_delay_alu instid0(VALU_DEP_1) | instskip(NEXT) | instid1(VALU_DEP_1)
	v_mul_f32_e32 v16, v15, v14
	v_fma_f32 v17, -v5, v16, v15
	s_delay_alu instid0(VALU_DEP_1) | instskip(NEXT) | instid1(VALU_DEP_1)
	v_fmac_f32_e32 v16, v17, v14
	v_fma_f32 v5, -v5, v16, v15
	s_delay_alu instid0(VALU_DEP_1) | instskip(NEXT) | instid1(VALU_DEP_1)
	v_div_fmas_f32 v5, v5, v14, v16
	v_div_fixup_f32 v3, v5, v11, v3
	s_delay_alu instid0(VALU_DEP_1) | instskip(NEXT) | instid1(VALU_DEP_1)
	v_minmax_f32 v3, v3, s7, 0xc3e00000
	v_and_b32_e32 v5, 0x7fffffff, v3
	s_delay_alu instid0(VALU_DEP_1)
	v_cmpx_gt_u32_e32 0x43f00000, v5
	s_cbranch_execz .LBB48_87
; %bb.82:                               ;   in Loop: Header=BB48_63 Depth=1
	s_mov_b32 s13, exec_lo
                                        ; implicit-def: $vgpr4
	v_cmpx_lt_u32_e32 0x3c7fffff, v5
	s_xor_b32 s13, exec_lo, s13
; %bb.83:                               ;   in Loop: Header=BB48_63 Depth=1
	v_bfe_u32 v4, v3, 20, 1
	s_delay_alu instid0(VALU_DEP_1) | instskip(NEXT) | instid1(VALU_DEP_1)
	v_add3_u32 v4, v3, v4, 0x407ffff
	v_lshrrev_b32_e32 v4, 20, v4
; %bb.84:                               ;   in Loop: Header=BB48_63 Depth=1
	s_and_not1_saveexec_b32 s13, s13
; %bb.85:                               ;   in Loop: Header=BB48_63 Depth=1
	v_add_f32_e64 v4, 0x46800000, |v3|
; %bb.86:                               ;   in Loop: Header=BB48_63 Depth=1
	s_or_b32 exec_lo, exec_lo, s13
.LBB48_87:                              ;   in Loop: Header=BB48_63 Depth=1
	s_delay_alu instid0(SALU_CYCLE_1)
	s_or_b32 exec_lo, exec_lo, s12
	v_lshrrev_b32_e32 v5, 24, v13
	v_lshrrev_b32_e32 v2, 24, v2
	;; [unrolled: 1-line block ×3, first 2 shown]
	v_lshlrev_b32_e32 v11, 24, v4
	v_and_b32_e32 v7, 0xff, v7
	v_and_b32_e32 v5, 0x80, v5
	;; [unrolled: 1-line block ×3, first 2 shown]
	s_mov_b32 s13, -1
	s_mov_b32 s12, exec_lo
	s_delay_alu instid0(VALU_DEP_2)
	v_and_or_b32 v5, 0xff, v12, v5
	v_and_b32_e32 v12, 0x80000000, v3
	v_and_or_b32 v2, 0xff, v6, v2
	v_lshlrev_b64 v[3:4], 2, v[0:1]
	v_and_or_b32 v6, 0x80, v8, v7
	v_lshlrev_b32_e32 v5, 16, v5
	s_delay_alu instid0(VALU_DEP_4) | instskip(SKIP_2) | instid1(VALU_DEP_4)
	v_lshlrev_b32_e32 v7, 8, v2
	v_add_nc_u32_e32 v2, s28, v0
	v_add_co_u32 v3, vcc_lo, s0, v3
	v_or3_b32 v5, v12, v11, v5
	v_add_co_ci_u32_e32 v4, vcc_lo, s1, v4, vcc_lo
	s_delay_alu instid0(VALU_DEP_2)
	v_or3_b32 v5, v5, v7, v6
	global_store_b32 v[3:4], v5, off
	v_cmpx_gt_u32_e64 s8, v2
	s_cbranch_execz .LBB48_62
; %bb.88:                               ;   in Loop: Header=BB48_63 Depth=1
	v_bfe_u32 v5, v2, 5, 25
	s_mov_b32 s13, exec_lo
	s_delay_alu instid0(VALU_DEP_1) | instskip(NEXT) | instid1(VALU_DEP_1)
	v_mad_u64_u32 v[6:7], null, v9, v5, 0
	v_dual_mov_b32 v3, v1 :: v_dual_mov_b32 v4, v7
	s_delay_alu instid0(VALU_DEP_1) | instskip(NEXT) | instid1(VALU_DEP_2)
	v_lshlrev_b64 v[11:12], 3, v[2:3]
	v_mad_u64_u32 v[7:8], null, v10, v5, v[4:5]
	s_delay_alu instid0(VALU_DEP_2) | instskip(NEXT) | instid1(VALU_DEP_3)
	v_add_co_u32 v4, vcc_lo, s26, v11
	v_add_co_ci_u32_e32 v5, vcc_lo, s27, v12, vcc_lo
	v_add_co_u32 v11, vcc_lo, s10, v11
	v_add_co_ci_u32_e32 v12, vcc_lo, s11, v12, vcc_lo
	global_load_b64 v[4:5], v[4:5], off
	v_lshlrev_b64 v[13:14], 2, v[6:7]
	global_load_b64 v[6:7], v[11:12], off
	v_add_co_u32 v11, vcc_lo, s4, v13
	v_add_co_ci_u32_e32 v12, vcc_lo, s5, v14, vcc_lo
	global_load_b32 v13, v[11:12], off
	s_waitcnt vmcnt(2)
	v_fma_mixlo_f16 v8, v28, v4, 0 op_sel_hi:[0,1,0]
	s_waitcnt vmcnt(1)
	s_delay_alu instid0(VALU_DEP_1) | instskip(NEXT) | instid1(VALU_DEP_1)
	v_mul_f16_e32 v8, v6, v8
	v_cvt_f32_f16_e32 v8, v8
	s_waitcnt vmcnt(0)
	s_delay_alu instid0(VALU_DEP_1) | instskip(SKIP_1) | instid1(VALU_DEP_2)
	v_div_scale_f32 v11, null, v13, v13, v8
	v_div_scale_f32 v15, vcc_lo, v8, v13, v8
	v_rcp_f32_e32 v12, v11
	s_waitcnt_depctr 0xfff
	v_fma_f32 v14, -v11, v12, 1.0
	s_delay_alu instid0(VALU_DEP_1) | instskip(NEXT) | instid1(VALU_DEP_1)
	v_fmac_f32_e32 v12, v14, v12
	v_mul_f32_e32 v14, v15, v12
	s_delay_alu instid0(VALU_DEP_1) | instskip(NEXT) | instid1(VALU_DEP_1)
	v_fma_f32 v16, -v11, v14, v15
	v_fmac_f32_e32 v14, v16, v12
	s_delay_alu instid0(VALU_DEP_1) | instskip(NEXT) | instid1(VALU_DEP_1)
	v_fma_f32 v11, -v11, v14, v15
	v_div_fmas_f32 v11, v11, v12, v14
	s_delay_alu instid0(VALU_DEP_1) | instskip(SKIP_1) | instid1(VALU_DEP_2)
	v_div_fixup_f32 v8, v11, v13, v8
	v_mov_b32_e32 v11, 0x7f
	v_minmax_f32 v12, v8, s7, 0xc3e00000
	v_mov_b32_e32 v8, 0x7f
	s_delay_alu instid0(VALU_DEP_2) | instskip(NEXT) | instid1(VALU_DEP_1)
	v_and_b32_e32 v14, 0x7fffffff, v12
	v_cmpx_gt_u32_e32 0x43f00000, v14
	s_cbranch_execz .LBB48_94
; %bb.89:                               ;   in Loop: Header=BB48_63 Depth=1
	s_mov_b32 s14, exec_lo
                                        ; implicit-def: $vgpr11
	v_cmpx_lt_u32_e32 0x3c7fffff, v14
	s_xor_b32 s14, exec_lo, s14
; %bb.90:                               ;   in Loop: Header=BB48_63 Depth=1
	v_bfe_u32 v11, v12, 20, 1
	s_delay_alu instid0(VALU_DEP_1) | instskip(NEXT) | instid1(VALU_DEP_1)
	v_add3_u32 v11, v12, v11, 0x407ffff
	v_lshrrev_b32_e32 v11, 20, v11
; %bb.91:                               ;   in Loop: Header=BB48_63 Depth=1
	s_and_not1_saveexec_b32 s14, s14
; %bb.92:                               ;   in Loop: Header=BB48_63 Depth=1
	v_add_f32_e64 v11, 0x46800000, |v12|
; %bb.93:                               ;   in Loop: Header=BB48_63 Depth=1
	s_or_b32 exec_lo, exec_lo, s14
.LBB48_94:                              ;   in Loop: Header=BB48_63 Depth=1
	s_delay_alu instid0(SALU_CYCLE_1) | instskip(SKIP_3) | instid1(VALU_DEP_1)
	s_or_b32 exec_lo, exec_lo, s13
	v_lshrrev_b32_e32 v6, 16, v6
	v_fma_mixlo_f16 v4, v28, v4, 0 op_sel:[0,1,0] op_sel_hi:[0,1,0]
	s_mov_b32 s13, exec_lo
	v_mul_f16_e32 v4, v6, v4
	s_delay_alu instid0(VALU_DEP_1) | instskip(NEXT) | instid1(VALU_DEP_1)
	v_cvt_f32_f16_e32 v4, v4
	v_div_scale_f32 v6, null, v13, v13, v4
	s_delay_alu instid0(VALU_DEP_1) | instskip(SKIP_2) | instid1(VALU_DEP_1)
	v_rcp_f32_e32 v14, v6
	s_waitcnt_depctr 0xfff
	v_fma_f32 v15, -v6, v14, 1.0
	v_fmac_f32_e32 v14, v15, v14
	v_div_scale_f32 v15, vcc_lo, v4, v13, v4
	s_delay_alu instid0(VALU_DEP_1) | instskip(NEXT) | instid1(VALU_DEP_1)
	v_mul_f32_e32 v16, v15, v14
	v_fma_f32 v17, -v6, v16, v15
	s_delay_alu instid0(VALU_DEP_1) | instskip(NEXT) | instid1(VALU_DEP_1)
	v_fmac_f32_e32 v16, v17, v14
	v_fma_f32 v6, -v6, v16, v15
	s_delay_alu instid0(VALU_DEP_1) | instskip(NEXT) | instid1(VALU_DEP_1)
	v_div_fmas_f32 v6, v6, v14, v16
	v_div_fixup_f32 v4, v6, v13, v4
	s_delay_alu instid0(VALU_DEP_1) | instskip(NEXT) | instid1(VALU_DEP_1)
	v_minmax_f32 v4, v4, s7, 0xc3e00000
	v_and_b32_e32 v6, 0x7fffffff, v4
	s_delay_alu instid0(VALU_DEP_1)
	v_cmpx_gt_u32_e32 0x43f00000, v6
	s_cbranch_execz .LBB48_100
; %bb.95:                               ;   in Loop: Header=BB48_63 Depth=1
	s_mov_b32 s14, exec_lo
                                        ; implicit-def: $vgpr8
	v_cmpx_lt_u32_e32 0x3c7fffff, v6
	s_xor_b32 s14, exec_lo, s14
; %bb.96:                               ;   in Loop: Header=BB48_63 Depth=1
	v_bfe_u32 v6, v4, 20, 1
	s_delay_alu instid0(VALU_DEP_1) | instskip(NEXT) | instid1(VALU_DEP_1)
	v_add3_u32 v6, v4, v6, 0x407ffff
	v_lshrrev_b32_e32 v8, 20, v6
; %bb.97:                               ;   in Loop: Header=BB48_63 Depth=1
	s_and_not1_saveexec_b32 s14, s14
; %bb.98:                               ;   in Loop: Header=BB48_63 Depth=1
	v_add_f32_e64 v8, 0x46800000, |v4|
; %bb.99:                               ;   in Loop: Header=BB48_63 Depth=1
	s_or_b32 exec_lo, exec_lo, s14
.LBB48_100:                             ;   in Loop: Header=BB48_63 Depth=1
	s_delay_alu instid0(SALU_CYCLE_1) | instskip(SKIP_2) | instid1(VALU_DEP_1)
	s_or_b32 exec_lo, exec_lo, s13
	v_fma_mixlo_f16 v6, v28, v5, 0 op_sel_hi:[0,1,0]
	s_mov_b32 s13, exec_lo
	v_mul_f16_e32 v6, v7, v6
	s_delay_alu instid0(VALU_DEP_1) | instskip(NEXT) | instid1(VALU_DEP_1)
	v_cvt_f32_f16_e32 v6, v6
	v_div_scale_f32 v14, null, v13, v13, v6
	v_div_scale_f32 v17, vcc_lo, v6, v13, v6
	s_delay_alu instid0(VALU_DEP_2) | instskip(SKIP_2) | instid1(VALU_DEP_1)
	v_rcp_f32_e32 v15, v14
	s_waitcnt_depctr 0xfff
	v_fma_f32 v16, -v14, v15, 1.0
	v_fmac_f32_e32 v15, v16, v15
	s_delay_alu instid0(VALU_DEP_1) | instskip(NEXT) | instid1(VALU_DEP_1)
	v_mul_f32_e32 v16, v17, v15
	v_fma_f32 v18, -v14, v16, v17
	s_delay_alu instid0(VALU_DEP_1) | instskip(NEXT) | instid1(VALU_DEP_1)
	v_fmac_f32_e32 v16, v18, v15
	v_fma_f32 v14, -v14, v16, v17
	s_delay_alu instid0(VALU_DEP_1) | instskip(NEXT) | instid1(VALU_DEP_1)
	v_div_fmas_f32 v14, v14, v15, v16
	v_div_fixup_f32 v6, v14, v13, v6
	v_mov_b32_e32 v14, 0x7f
	s_delay_alu instid0(VALU_DEP_2) | instskip(SKIP_1) | instid1(VALU_DEP_2)
	v_minmax_f32 v15, v6, s7, 0xc3e00000
	v_mov_b32_e32 v6, 0x7f
	v_and_b32_e32 v16, 0x7fffffff, v15
	s_delay_alu instid0(VALU_DEP_1)
	v_cmpx_gt_u32_e32 0x43f00000, v16
	s_cbranch_execz .LBB48_106
; %bb.101:                              ;   in Loop: Header=BB48_63 Depth=1
	s_mov_b32 s14, exec_lo
                                        ; implicit-def: $vgpr14
	v_cmpx_lt_u32_e32 0x3c7fffff, v16
	s_xor_b32 s14, exec_lo, s14
; %bb.102:                              ;   in Loop: Header=BB48_63 Depth=1
	v_bfe_u32 v14, v15, 20, 1
	s_delay_alu instid0(VALU_DEP_1) | instskip(NEXT) | instid1(VALU_DEP_1)
	v_add3_u32 v14, v15, v14, 0x407ffff
	v_lshrrev_b32_e32 v14, 20, v14
; %bb.103:                              ;   in Loop: Header=BB48_63 Depth=1
	s_and_not1_saveexec_b32 s14, s14
; %bb.104:                              ;   in Loop: Header=BB48_63 Depth=1
	v_add_f32_e64 v14, 0x46800000, |v15|
; %bb.105:                              ;   in Loop: Header=BB48_63 Depth=1
	s_or_b32 exec_lo, exec_lo, s14
.LBB48_106:                             ;   in Loop: Header=BB48_63 Depth=1
	s_delay_alu instid0(SALU_CYCLE_1) | instskip(SKIP_3) | instid1(VALU_DEP_1)
	s_or_b32 exec_lo, exec_lo, s13
	v_lshrrev_b32_e32 v7, 16, v7
	v_fma_mixlo_f16 v5, v28, v5, 0 op_sel:[0,1,0] op_sel_hi:[0,1,0]
	s_mov_b32 s13, exec_lo
	v_mul_f16_e32 v5, v7, v5
	s_delay_alu instid0(VALU_DEP_1) | instskip(NEXT) | instid1(VALU_DEP_1)
	v_cvt_f32_f16_e32 v5, v5
	v_div_scale_f32 v7, null, v13, v13, v5
	s_delay_alu instid0(VALU_DEP_1) | instskip(SKIP_2) | instid1(VALU_DEP_1)
	v_rcp_f32_e32 v16, v7
	s_waitcnt_depctr 0xfff
	v_fma_f32 v17, -v7, v16, 1.0
	v_fmac_f32_e32 v16, v17, v16
	v_div_scale_f32 v17, vcc_lo, v5, v13, v5
	s_delay_alu instid0(VALU_DEP_1) | instskip(NEXT) | instid1(VALU_DEP_1)
	v_mul_f32_e32 v18, v17, v16
	v_fma_f32 v19, -v7, v18, v17
	s_delay_alu instid0(VALU_DEP_1) | instskip(NEXT) | instid1(VALU_DEP_1)
	v_fmac_f32_e32 v18, v19, v16
	v_fma_f32 v7, -v7, v18, v17
	s_delay_alu instid0(VALU_DEP_1) | instskip(NEXT) | instid1(VALU_DEP_1)
	v_div_fmas_f32 v7, v7, v16, v18
	v_div_fixup_f32 v5, v7, v13, v5
	s_delay_alu instid0(VALU_DEP_1) | instskip(NEXT) | instid1(VALU_DEP_1)
	v_minmax_f32 v5, v5, s7, 0xc3e00000
	v_and_b32_e32 v7, 0x7fffffff, v5
	s_delay_alu instid0(VALU_DEP_1)
	v_cmpx_gt_u32_e32 0x43f00000, v7
	s_cbranch_execz .LBB48_112
; %bb.107:                              ;   in Loop: Header=BB48_63 Depth=1
	s_mov_b32 s14, exec_lo
                                        ; implicit-def: $vgpr6
	v_cmpx_lt_u32_e32 0x3c7fffff, v7
	s_xor_b32 s14, exec_lo, s14
; %bb.108:                              ;   in Loop: Header=BB48_63 Depth=1
	v_bfe_u32 v6, v5, 20, 1
	s_delay_alu instid0(VALU_DEP_1) | instskip(NEXT) | instid1(VALU_DEP_1)
	v_add3_u32 v6, v5, v6, 0x407ffff
	v_lshrrev_b32_e32 v6, 20, v6
; %bb.109:                              ;   in Loop: Header=BB48_63 Depth=1
	s_and_not1_saveexec_b32 s14, s14
; %bb.110:                              ;   in Loop: Header=BB48_63 Depth=1
	v_add_f32_e64 v6, 0x46800000, |v5|
; %bb.111:                              ;   in Loop: Header=BB48_63 Depth=1
	s_or_b32 exec_lo, exec_lo, s14
.LBB48_112:                             ;   in Loop: Header=BB48_63 Depth=1
	s_delay_alu instid0(SALU_CYCLE_1)
	s_or_b32 exec_lo, exec_lo, s13
	v_lshrrev_b32_e32 v7, 24, v15
	v_lshrrev_b32_e32 v4, 24, v4
	;; [unrolled: 1-line block ×3, first 2 shown]
	v_lshlrev_b32_e32 v6, 24, v6
	v_and_b32_e32 v13, 0x80000000, v5
	v_and_b32_e32 v7, 0x80, v7
	;; [unrolled: 1-line block ×4, first 2 shown]
	s_mov_b32 s14, -1
	s_mov_b32 s13, exec_lo
	v_and_or_b32 v7, 0xff, v14, v7
	v_and_or_b32 v8, 0xff, v8, v4
	v_lshlrev_b64 v[4:5], 2, v[2:3]
	v_and_or_b32 v11, 0x80, v12, v11
	v_add_nc_u32_e32 v3, s3, v0
	v_lshlrev_b32_e32 v7, 16, v7
	v_lshlrev_b32_e32 v8, 8, v8
	v_add_co_u32 v4, vcc_lo, s0, v4
	s_delay_alu instid0(VALU_DEP_3) | instskip(SKIP_1) | instid1(VALU_DEP_2)
	v_or3_b32 v6, v13, v6, v7
	v_add_co_ci_u32_e32 v5, vcc_lo, s1, v5, vcc_lo
	v_or3_b32 v6, v6, v8, v11
	global_store_b32 v[4:5], v6, off
	v_cmpx_gt_u32_e64 s8, v3
	s_cbranch_execz .LBB48_61
; %bb.113:                              ;   in Loop: Header=BB48_63 Depth=1
	v_bfe_u32 v6, v3, 5, 25
	s_mov_b32 s14, exec_lo
	s_delay_alu instid0(VALU_DEP_1) | instskip(NEXT) | instid1(VALU_DEP_1)
	v_mad_u64_u32 v[7:8], null, v9, v6, 0
	v_dual_mov_b32 v4, v1 :: v_dual_mov_b32 v5, v8
	s_delay_alu instid0(VALU_DEP_1) | instskip(NEXT) | instid1(VALU_DEP_2)
	v_lshlrev_b64 v[11:12], 3, v[3:4]
	v_mad_u64_u32 v[13:14], null, v10, v6, v[5:6]
	s_delay_alu instid0(VALU_DEP_2) | instskip(NEXT) | instid1(VALU_DEP_3)
	v_add_co_u32 v5, vcc_lo, s26, v11
	v_add_co_ci_u32_e32 v6, vcc_lo, s27, v12, vcc_lo
	v_add_co_u32 v11, vcc_lo, s10, v11
	s_delay_alu instid0(VALU_DEP_4)
	v_mov_b32_e32 v8, v13
	v_add_co_ci_u32_e32 v12, vcc_lo, s11, v12, vcc_lo
	global_load_b64 v[5:6], v[5:6], off
	v_lshlrev_b64 v[13:14], 2, v[7:8]
	global_load_b64 v[7:8], v[11:12], off
	v_add_co_u32 v11, vcc_lo, s4, v13
	v_add_co_ci_u32_e32 v12, vcc_lo, s5, v14, vcc_lo
	global_load_b32 v14, v[11:12], off
	s_waitcnt vmcnt(2)
	v_fma_mixlo_f16 v11, v28, v5, 0 op_sel_hi:[0,1,0]
	s_waitcnt vmcnt(1)
	s_delay_alu instid0(VALU_DEP_1) | instskip(NEXT) | instid1(VALU_DEP_1)
	v_mul_f16_e32 v11, v7, v11
	v_cvt_f32_f16_e32 v11, v11
	s_waitcnt vmcnt(0)
	s_delay_alu instid0(VALU_DEP_1) | instskip(SKIP_1) | instid1(VALU_DEP_2)
	v_div_scale_f32 v12, null, v14, v14, v11
	v_div_scale_f32 v16, vcc_lo, v11, v14, v11
	v_rcp_f32_e32 v13, v12
	s_waitcnt_depctr 0xfff
	v_fma_f32 v15, -v12, v13, 1.0
	s_delay_alu instid0(VALU_DEP_1) | instskip(NEXT) | instid1(VALU_DEP_1)
	v_fmac_f32_e32 v13, v15, v13
	v_mul_f32_e32 v15, v16, v13
	s_delay_alu instid0(VALU_DEP_1) | instskip(NEXT) | instid1(VALU_DEP_1)
	v_fma_f32 v17, -v12, v15, v16
	v_fmac_f32_e32 v15, v17, v13
	s_delay_alu instid0(VALU_DEP_1) | instskip(NEXT) | instid1(VALU_DEP_1)
	v_fma_f32 v12, -v12, v15, v16
	v_div_fmas_f32 v12, v12, v13, v15
	s_delay_alu instid0(VALU_DEP_1) | instskip(SKIP_1) | instid1(VALU_DEP_2)
	v_div_fixup_f32 v11, v12, v14, v11
	v_mov_b32_e32 v12, 0x7f
	v_minmax_f32 v13, v11, s7, 0xc3e00000
	v_mov_b32_e32 v11, 0x7f
	s_delay_alu instid0(VALU_DEP_2) | instskip(NEXT) | instid1(VALU_DEP_1)
	v_and_b32_e32 v15, 0x7fffffff, v13
	v_cmpx_gt_u32_e32 0x43f00000, v15
	s_cbranch_execz .LBB48_119
; %bb.114:                              ;   in Loop: Header=BB48_63 Depth=1
	s_mov_b32 s15, exec_lo
                                        ; implicit-def: $vgpr12
	v_cmpx_lt_u32_e32 0x3c7fffff, v15
	s_xor_b32 s15, exec_lo, s15
; %bb.115:                              ;   in Loop: Header=BB48_63 Depth=1
	v_bfe_u32 v12, v13, 20, 1
	s_delay_alu instid0(VALU_DEP_1) | instskip(NEXT) | instid1(VALU_DEP_1)
	v_add3_u32 v12, v13, v12, 0x407ffff
	v_lshrrev_b32_e32 v12, 20, v12
; %bb.116:                              ;   in Loop: Header=BB48_63 Depth=1
	s_and_not1_saveexec_b32 s15, s15
; %bb.117:                              ;   in Loop: Header=BB48_63 Depth=1
	v_add_f32_e64 v12, 0x46800000, |v13|
; %bb.118:                              ;   in Loop: Header=BB48_63 Depth=1
	s_or_b32 exec_lo, exec_lo, s15
.LBB48_119:                             ;   in Loop: Header=BB48_63 Depth=1
	s_delay_alu instid0(SALU_CYCLE_1) | instskip(SKIP_3) | instid1(VALU_DEP_1)
	s_or_b32 exec_lo, exec_lo, s14
	v_lshrrev_b32_e32 v7, 16, v7
	v_fma_mixlo_f16 v5, v28, v5, 0 op_sel:[0,1,0] op_sel_hi:[0,1,0]
	s_mov_b32 s14, exec_lo
	v_mul_f16_e32 v5, v7, v5
	s_delay_alu instid0(VALU_DEP_1) | instskip(NEXT) | instid1(VALU_DEP_1)
	v_cvt_f32_f16_e32 v5, v5
	v_div_scale_f32 v7, null, v14, v14, v5
	s_delay_alu instid0(VALU_DEP_1) | instskip(SKIP_2) | instid1(VALU_DEP_1)
	v_rcp_f32_e32 v15, v7
	s_waitcnt_depctr 0xfff
	v_fma_f32 v16, -v7, v15, 1.0
	v_fmac_f32_e32 v15, v16, v15
	v_div_scale_f32 v16, vcc_lo, v5, v14, v5
	s_delay_alu instid0(VALU_DEP_1) | instskip(NEXT) | instid1(VALU_DEP_1)
	v_mul_f32_e32 v17, v16, v15
	v_fma_f32 v18, -v7, v17, v16
	s_delay_alu instid0(VALU_DEP_1) | instskip(NEXT) | instid1(VALU_DEP_1)
	v_fmac_f32_e32 v17, v18, v15
	v_fma_f32 v7, -v7, v17, v16
	s_delay_alu instid0(VALU_DEP_1) | instskip(NEXT) | instid1(VALU_DEP_1)
	v_div_fmas_f32 v7, v7, v15, v17
	v_div_fixup_f32 v5, v7, v14, v5
	s_delay_alu instid0(VALU_DEP_1) | instskip(NEXT) | instid1(VALU_DEP_1)
	v_minmax_f32 v5, v5, s7, 0xc3e00000
	v_and_b32_e32 v7, 0x7fffffff, v5
	s_delay_alu instid0(VALU_DEP_1)
	v_cmpx_gt_u32_e32 0x43f00000, v7
	s_cbranch_execz .LBB48_125
; %bb.120:                              ;   in Loop: Header=BB48_63 Depth=1
	s_mov_b32 s15, exec_lo
                                        ; implicit-def: $vgpr11
	v_cmpx_lt_u32_e32 0x3c7fffff, v7
	s_xor_b32 s15, exec_lo, s15
; %bb.121:                              ;   in Loop: Header=BB48_63 Depth=1
	v_bfe_u32 v7, v5, 20, 1
	s_delay_alu instid0(VALU_DEP_1) | instskip(NEXT) | instid1(VALU_DEP_1)
	v_add3_u32 v7, v5, v7, 0x407ffff
	v_lshrrev_b32_e32 v11, 20, v7
; %bb.122:                              ;   in Loop: Header=BB48_63 Depth=1
	s_and_not1_saveexec_b32 s15, s15
; %bb.123:                              ;   in Loop: Header=BB48_63 Depth=1
	v_add_f32_e64 v11, 0x46800000, |v5|
; %bb.124:                              ;   in Loop: Header=BB48_63 Depth=1
	s_or_b32 exec_lo, exec_lo, s15
.LBB48_125:                             ;   in Loop: Header=BB48_63 Depth=1
	s_delay_alu instid0(SALU_CYCLE_1) | instskip(SKIP_2) | instid1(VALU_DEP_1)
	s_or_b32 exec_lo, exec_lo, s14
	v_fma_mixlo_f16 v7, v28, v6, 0 op_sel_hi:[0,1,0]
	s_mov_b32 s14, exec_lo
	v_mul_f16_e32 v7, v8, v7
	s_delay_alu instid0(VALU_DEP_1) | instskip(NEXT) | instid1(VALU_DEP_1)
	v_cvt_f32_f16_e32 v7, v7
	v_div_scale_f32 v15, null, v14, v14, v7
	v_div_scale_f32 v18, vcc_lo, v7, v14, v7
	s_delay_alu instid0(VALU_DEP_2) | instskip(SKIP_2) | instid1(VALU_DEP_1)
	v_rcp_f32_e32 v16, v15
	s_waitcnt_depctr 0xfff
	v_fma_f32 v17, -v15, v16, 1.0
	v_fmac_f32_e32 v16, v17, v16
	s_delay_alu instid0(VALU_DEP_1) | instskip(NEXT) | instid1(VALU_DEP_1)
	v_mul_f32_e32 v17, v18, v16
	v_fma_f32 v19, -v15, v17, v18
	s_delay_alu instid0(VALU_DEP_1) | instskip(NEXT) | instid1(VALU_DEP_1)
	v_fmac_f32_e32 v17, v19, v16
	v_fma_f32 v15, -v15, v17, v18
	s_delay_alu instid0(VALU_DEP_1) | instskip(NEXT) | instid1(VALU_DEP_1)
	v_div_fmas_f32 v15, v15, v16, v17
	v_div_fixup_f32 v7, v15, v14, v7
	v_mov_b32_e32 v15, 0x7f
	s_delay_alu instid0(VALU_DEP_2) | instskip(SKIP_1) | instid1(VALU_DEP_2)
	v_minmax_f32 v16, v7, s7, 0xc3e00000
	v_mov_b32_e32 v7, 0x7f
	v_and_b32_e32 v17, 0x7fffffff, v16
	s_delay_alu instid0(VALU_DEP_1)
	v_cmpx_gt_u32_e32 0x43f00000, v17
	s_cbranch_execz .LBB48_131
; %bb.126:                              ;   in Loop: Header=BB48_63 Depth=1
	s_mov_b32 s15, exec_lo
                                        ; implicit-def: $vgpr15
	v_cmpx_lt_u32_e32 0x3c7fffff, v17
	s_xor_b32 s15, exec_lo, s15
; %bb.127:                              ;   in Loop: Header=BB48_63 Depth=1
	v_bfe_u32 v15, v16, 20, 1
	s_delay_alu instid0(VALU_DEP_1) | instskip(NEXT) | instid1(VALU_DEP_1)
	v_add3_u32 v15, v16, v15, 0x407ffff
	v_lshrrev_b32_e32 v15, 20, v15
; %bb.128:                              ;   in Loop: Header=BB48_63 Depth=1
	s_and_not1_saveexec_b32 s15, s15
; %bb.129:                              ;   in Loop: Header=BB48_63 Depth=1
	v_add_f32_e64 v15, 0x46800000, |v16|
; %bb.130:                              ;   in Loop: Header=BB48_63 Depth=1
	s_or_b32 exec_lo, exec_lo, s15
.LBB48_131:                             ;   in Loop: Header=BB48_63 Depth=1
	s_delay_alu instid0(SALU_CYCLE_1) | instskip(SKIP_3) | instid1(VALU_DEP_1)
	s_or_b32 exec_lo, exec_lo, s14
	v_lshrrev_b32_e32 v8, 16, v8
	v_fma_mixlo_f16 v6, v28, v6, 0 op_sel:[0,1,0] op_sel_hi:[0,1,0]
	s_mov_b32 s14, exec_lo
	v_mul_f16_e32 v6, v8, v6
	s_delay_alu instid0(VALU_DEP_1) | instskip(NEXT) | instid1(VALU_DEP_1)
	v_cvt_f32_f16_e32 v6, v6
	v_div_scale_f32 v8, null, v14, v14, v6
	s_delay_alu instid0(VALU_DEP_1) | instskip(SKIP_2) | instid1(VALU_DEP_1)
	v_rcp_f32_e32 v17, v8
	s_waitcnt_depctr 0xfff
	v_fma_f32 v18, -v8, v17, 1.0
	v_fmac_f32_e32 v17, v18, v17
	v_div_scale_f32 v18, vcc_lo, v6, v14, v6
	s_delay_alu instid0(VALU_DEP_1) | instskip(NEXT) | instid1(VALU_DEP_1)
	v_mul_f32_e32 v19, v18, v17
	v_fma_f32 v20, -v8, v19, v18
	s_delay_alu instid0(VALU_DEP_1) | instskip(NEXT) | instid1(VALU_DEP_1)
	v_fmac_f32_e32 v19, v20, v17
	v_fma_f32 v8, -v8, v19, v18
	s_delay_alu instid0(VALU_DEP_1) | instskip(NEXT) | instid1(VALU_DEP_1)
	v_div_fmas_f32 v8, v8, v17, v19
	v_div_fixup_f32 v6, v8, v14, v6
	s_delay_alu instid0(VALU_DEP_1) | instskip(NEXT) | instid1(VALU_DEP_1)
	v_minmax_f32 v6, v6, s7, 0xc3e00000
	v_and_b32_e32 v8, 0x7fffffff, v6
	s_delay_alu instid0(VALU_DEP_1)
	v_cmpx_gt_u32_e32 0x43f00000, v8
	s_cbranch_execz .LBB48_137
; %bb.132:                              ;   in Loop: Header=BB48_63 Depth=1
	s_mov_b32 s15, exec_lo
                                        ; implicit-def: $vgpr7
	v_cmpx_lt_u32_e32 0x3c7fffff, v8
	s_xor_b32 s15, exec_lo, s15
; %bb.133:                              ;   in Loop: Header=BB48_63 Depth=1
	v_bfe_u32 v7, v6, 20, 1
	s_delay_alu instid0(VALU_DEP_1) | instskip(NEXT) | instid1(VALU_DEP_1)
	v_add3_u32 v7, v6, v7, 0x407ffff
	v_lshrrev_b32_e32 v7, 20, v7
; %bb.134:                              ;   in Loop: Header=BB48_63 Depth=1
	s_and_not1_saveexec_b32 s15, s15
; %bb.135:                              ;   in Loop: Header=BB48_63 Depth=1
	v_add_f32_e64 v7, 0x46800000, |v6|
; %bb.136:                              ;   in Loop: Header=BB48_63 Depth=1
	s_or_b32 exec_lo, exec_lo, s15
.LBB48_137:                             ;   in Loop: Header=BB48_63 Depth=1
	s_delay_alu instid0(SALU_CYCLE_1)
	s_or_b32 exec_lo, exec_lo, s14
	v_lshrrev_b32_e32 v8, 24, v16
	v_lshrrev_b32_e32 v5, 24, v5
	;; [unrolled: 1-line block ×3, first 2 shown]
	v_lshlrev_b32_e32 v7, 24, v7
	v_and_b32_e32 v6, 0x80000000, v6
	v_and_b32_e32 v8, 0x80, v8
	;; [unrolled: 1-line block ×4, first 2 shown]
	v_lshlrev_b64 v[3:4], 2, v[3:4]
	v_add_nc_u32_e32 v0, s2, v0
	v_and_or_b32 v8, 0xff, v15, v8
	v_and_or_b32 v5, 0xff, v11, v5
	;; [unrolled: 1-line block ×3, first 2 shown]
	s_mov_b32 s15, -1
	v_add_co_u32 v3, vcc_lo, s0, v3
	v_lshlrev_b32_e32 v8, 16, v8
	v_lshlrev_b32_e32 v5, 8, v5
	v_add_co_ci_u32_e32 v4, vcc_lo, s1, v4, vcc_lo
	s_mov_b32 s14, exec_lo
	s_delay_alu instid0(VALU_DEP_3) | instskip(NEXT) | instid1(VALU_DEP_1)
	v_or3_b32 v6, v6, v7, v8
	v_or3_b32 v5, v6, v5, v11
	global_store_b32 v[3:4], v5, off
	v_cmpx_gt_u32_e64 s8, v0
	s_cbranch_execz .LBB48_60
; %bb.138:                              ;   in Loop: Header=BB48_63 Depth=1
	v_bfe_u32 v4, v0, 5, 25
	v_lshlrev_b64 v[7:8], 3, v[0:1]
	s_mov_b32 s15, exec_lo
	s_delay_alu instid0(VALU_DEP_2) | instskip(NEXT) | instid1(VALU_DEP_1)
	v_mad_u64_u32 v[5:6], null, v9, v4, 0
	v_mov_b32_e32 v3, v6
	s_delay_alu instid0(VALU_DEP_1) | instskip(NEXT) | instid1(VALU_DEP_4)
	v_mad_u64_u32 v[11:12], null, v10, v4, v[3:4]
	v_add_co_u32 v3, vcc_lo, s26, v7
	v_add_co_ci_u32_e32 v4, vcc_lo, s27, v8, vcc_lo
	v_add_co_u32 v7, vcc_lo, s10, v7
	s_delay_alu instid0(VALU_DEP_4)
	v_mov_b32_e32 v6, v11
	v_add_co_ci_u32_e32 v8, vcc_lo, s11, v8, vcc_lo
	global_load_b64 v[3:4], v[3:4], off
	v_lshlrev_b64 v[11:12], 2, v[5:6]
	global_load_b64 v[5:6], v[7:8], off
	v_add_co_u32 v7, vcc_lo, s4, v11
	v_add_co_ci_u32_e32 v8, vcc_lo, s5, v12, vcc_lo
	global_load_b32 v12, v[7:8], off
	s_waitcnt vmcnt(2)
	v_fma_mixlo_f16 v7, v28, v3, 0 op_sel_hi:[0,1,0]
	s_waitcnt vmcnt(1)
	s_delay_alu instid0(VALU_DEP_1) | instskip(NEXT) | instid1(VALU_DEP_1)
	v_mul_f16_e32 v7, v5, v7
	v_cvt_f32_f16_e32 v7, v7
	s_waitcnt vmcnt(0)
	s_delay_alu instid0(VALU_DEP_1) | instskip(SKIP_1) | instid1(VALU_DEP_2)
	v_div_scale_f32 v8, null, v12, v12, v7
	v_div_scale_f32 v14, vcc_lo, v7, v12, v7
	v_rcp_f32_e32 v11, v8
	s_waitcnt_depctr 0xfff
	v_fma_f32 v13, -v8, v11, 1.0
	s_delay_alu instid0(VALU_DEP_1) | instskip(NEXT) | instid1(VALU_DEP_1)
	v_fmac_f32_e32 v11, v13, v11
	v_mul_f32_e32 v13, v14, v11
	s_delay_alu instid0(VALU_DEP_1) | instskip(NEXT) | instid1(VALU_DEP_1)
	v_fma_f32 v15, -v8, v13, v14
	v_fmac_f32_e32 v13, v15, v11
	s_delay_alu instid0(VALU_DEP_1) | instskip(NEXT) | instid1(VALU_DEP_1)
	v_fma_f32 v8, -v8, v13, v14
	v_div_fmas_f32 v8, v8, v11, v13
	s_delay_alu instid0(VALU_DEP_1) | instskip(SKIP_1) | instid1(VALU_DEP_2)
	v_div_fixup_f32 v7, v8, v12, v7
	v_mov_b32_e32 v8, 0x7f
	v_minmax_f32 v11, v7, s7, 0xc3e00000
	v_mov_b32_e32 v7, 0x7f
	s_delay_alu instid0(VALU_DEP_2) | instskip(NEXT) | instid1(VALU_DEP_1)
	v_and_b32_e32 v13, 0x7fffffff, v11
	v_cmpx_gt_u32_e32 0x43f00000, v13
	s_cbranch_execz .LBB48_144
; %bb.139:                              ;   in Loop: Header=BB48_63 Depth=1
	s_mov_b32 s16, exec_lo
                                        ; implicit-def: $vgpr8
	v_cmpx_lt_u32_e32 0x3c7fffff, v13
	s_xor_b32 s16, exec_lo, s16
; %bb.140:                              ;   in Loop: Header=BB48_63 Depth=1
	v_bfe_u32 v8, v11, 20, 1
	s_delay_alu instid0(VALU_DEP_1) | instskip(NEXT) | instid1(VALU_DEP_1)
	v_add3_u32 v8, v11, v8, 0x407ffff
	v_lshrrev_b32_e32 v8, 20, v8
; %bb.141:                              ;   in Loop: Header=BB48_63 Depth=1
	s_and_not1_saveexec_b32 s16, s16
; %bb.142:                              ;   in Loop: Header=BB48_63 Depth=1
	v_add_f32_e64 v8, 0x46800000, |v11|
; %bb.143:                              ;   in Loop: Header=BB48_63 Depth=1
	s_or_b32 exec_lo, exec_lo, s16
.LBB48_144:                             ;   in Loop: Header=BB48_63 Depth=1
	s_delay_alu instid0(SALU_CYCLE_1) | instskip(SKIP_3) | instid1(VALU_DEP_1)
	s_or_b32 exec_lo, exec_lo, s15
	v_lshrrev_b32_e32 v5, 16, v5
	v_fma_mixlo_f16 v3, v28, v3, 0 op_sel:[0,1,0] op_sel_hi:[0,1,0]
	s_mov_b32 s15, exec_lo
	v_mul_f16_e32 v3, v5, v3
	s_delay_alu instid0(VALU_DEP_1) | instskip(NEXT) | instid1(VALU_DEP_1)
	v_cvt_f32_f16_e32 v3, v3
	v_div_scale_f32 v5, null, v12, v12, v3
	s_delay_alu instid0(VALU_DEP_1) | instskip(SKIP_2) | instid1(VALU_DEP_1)
	v_rcp_f32_e32 v13, v5
	s_waitcnt_depctr 0xfff
	v_fma_f32 v14, -v5, v13, 1.0
	v_fmac_f32_e32 v13, v14, v13
	v_div_scale_f32 v14, vcc_lo, v3, v12, v3
	s_delay_alu instid0(VALU_DEP_1) | instskip(NEXT) | instid1(VALU_DEP_1)
	v_mul_f32_e32 v15, v14, v13
	v_fma_f32 v16, -v5, v15, v14
	s_delay_alu instid0(VALU_DEP_1) | instskip(NEXT) | instid1(VALU_DEP_1)
	v_fmac_f32_e32 v15, v16, v13
	v_fma_f32 v5, -v5, v15, v14
	s_delay_alu instid0(VALU_DEP_1) | instskip(NEXT) | instid1(VALU_DEP_1)
	v_div_fmas_f32 v5, v5, v13, v15
	v_div_fixup_f32 v3, v5, v12, v3
	s_delay_alu instid0(VALU_DEP_1) | instskip(NEXT) | instid1(VALU_DEP_1)
	v_minmax_f32 v3, v3, s7, 0xc3e00000
	v_and_b32_e32 v5, 0x7fffffff, v3
	s_delay_alu instid0(VALU_DEP_1)
	v_cmpx_gt_u32_e32 0x43f00000, v5
	s_cbranch_execz .LBB48_150
; %bb.145:                              ;   in Loop: Header=BB48_63 Depth=1
	s_mov_b32 s16, exec_lo
                                        ; implicit-def: $vgpr7
	v_cmpx_lt_u32_e32 0x3c7fffff, v5
	s_xor_b32 s16, exec_lo, s16
; %bb.146:                              ;   in Loop: Header=BB48_63 Depth=1
	v_bfe_u32 v5, v3, 20, 1
	s_delay_alu instid0(VALU_DEP_1) | instskip(NEXT) | instid1(VALU_DEP_1)
	v_add3_u32 v5, v3, v5, 0x407ffff
	v_lshrrev_b32_e32 v7, 20, v5
; %bb.147:                              ;   in Loop: Header=BB48_63 Depth=1
	s_and_not1_saveexec_b32 s16, s16
; %bb.148:                              ;   in Loop: Header=BB48_63 Depth=1
	v_add_f32_e64 v7, 0x46800000, |v3|
; %bb.149:                              ;   in Loop: Header=BB48_63 Depth=1
	s_or_b32 exec_lo, exec_lo, s16
.LBB48_150:                             ;   in Loop: Header=BB48_63 Depth=1
	s_delay_alu instid0(SALU_CYCLE_1) | instskip(SKIP_2) | instid1(VALU_DEP_1)
	s_or_b32 exec_lo, exec_lo, s15
	v_fma_mixlo_f16 v5, v28, v4, 0 op_sel_hi:[0,1,0]
	s_mov_b32 s15, exec_lo
	v_mul_f16_e32 v5, v6, v5
	s_delay_alu instid0(VALU_DEP_1) | instskip(NEXT) | instid1(VALU_DEP_1)
	v_cvt_f32_f16_e32 v5, v5
	v_div_scale_f32 v13, null, v12, v12, v5
	v_div_scale_f32 v16, vcc_lo, v5, v12, v5
	s_delay_alu instid0(VALU_DEP_2) | instskip(SKIP_2) | instid1(VALU_DEP_1)
	v_rcp_f32_e32 v14, v13
	s_waitcnt_depctr 0xfff
	v_fma_f32 v15, -v13, v14, 1.0
	v_fmac_f32_e32 v14, v15, v14
	s_delay_alu instid0(VALU_DEP_1) | instskip(NEXT) | instid1(VALU_DEP_1)
	v_mul_f32_e32 v15, v16, v14
	v_fma_f32 v17, -v13, v15, v16
	s_delay_alu instid0(VALU_DEP_1) | instskip(NEXT) | instid1(VALU_DEP_1)
	v_fmac_f32_e32 v15, v17, v14
	v_fma_f32 v13, -v13, v15, v16
	s_delay_alu instid0(VALU_DEP_1) | instskip(NEXT) | instid1(VALU_DEP_1)
	v_div_fmas_f32 v13, v13, v14, v15
	v_div_fixup_f32 v5, v13, v12, v5
	v_mov_b32_e32 v13, 0x7f
	s_delay_alu instid0(VALU_DEP_2) | instskip(SKIP_1) | instid1(VALU_DEP_2)
	v_minmax_f32 v14, v5, s7, 0xc3e00000
	v_mov_b32_e32 v5, 0x7f
	v_and_b32_e32 v15, 0x7fffffff, v14
	s_delay_alu instid0(VALU_DEP_1)
	v_cmpx_gt_u32_e32 0x43f00000, v15
	s_cbranch_execz .LBB48_156
; %bb.151:                              ;   in Loop: Header=BB48_63 Depth=1
	s_mov_b32 s16, exec_lo
                                        ; implicit-def: $vgpr13
	v_cmpx_lt_u32_e32 0x3c7fffff, v15
	s_xor_b32 s16, exec_lo, s16
; %bb.152:                              ;   in Loop: Header=BB48_63 Depth=1
	v_bfe_u32 v13, v14, 20, 1
	s_delay_alu instid0(VALU_DEP_1) | instskip(NEXT) | instid1(VALU_DEP_1)
	v_add3_u32 v13, v14, v13, 0x407ffff
	v_lshrrev_b32_e32 v13, 20, v13
; %bb.153:                              ;   in Loop: Header=BB48_63 Depth=1
	s_and_not1_saveexec_b32 s16, s16
; %bb.154:                              ;   in Loop: Header=BB48_63 Depth=1
	v_add_f32_e64 v13, 0x46800000, |v14|
; %bb.155:                              ;   in Loop: Header=BB48_63 Depth=1
	s_or_b32 exec_lo, exec_lo, s16
.LBB48_156:                             ;   in Loop: Header=BB48_63 Depth=1
	s_delay_alu instid0(SALU_CYCLE_1) | instskip(SKIP_3) | instid1(VALU_DEP_1)
	s_or_b32 exec_lo, exec_lo, s15
	v_lshrrev_b32_e32 v6, 16, v6
	v_fma_mixlo_f16 v4, v28, v4, 0 op_sel:[0,1,0] op_sel_hi:[0,1,0]
	s_mov_b32 s15, exec_lo
	v_mul_f16_e32 v4, v6, v4
	s_delay_alu instid0(VALU_DEP_1) | instskip(NEXT) | instid1(VALU_DEP_1)
	v_cvt_f32_f16_e32 v4, v4
	v_div_scale_f32 v6, null, v12, v12, v4
	s_delay_alu instid0(VALU_DEP_1) | instskip(SKIP_2) | instid1(VALU_DEP_1)
	v_rcp_f32_e32 v15, v6
	s_waitcnt_depctr 0xfff
	v_fma_f32 v16, -v6, v15, 1.0
	v_fmac_f32_e32 v15, v16, v15
	v_div_scale_f32 v16, vcc_lo, v4, v12, v4
	s_delay_alu instid0(VALU_DEP_1) | instskip(NEXT) | instid1(VALU_DEP_1)
	v_mul_f32_e32 v17, v16, v15
	v_fma_f32 v18, -v6, v17, v16
	s_delay_alu instid0(VALU_DEP_1) | instskip(NEXT) | instid1(VALU_DEP_1)
	v_fmac_f32_e32 v17, v18, v15
	v_fma_f32 v6, -v6, v17, v16
	s_delay_alu instid0(VALU_DEP_1) | instskip(NEXT) | instid1(VALU_DEP_1)
	v_div_fmas_f32 v6, v6, v15, v17
	v_div_fixup_f32 v4, v6, v12, v4
	s_delay_alu instid0(VALU_DEP_1) | instskip(NEXT) | instid1(VALU_DEP_1)
	v_minmax_f32 v4, v4, s7, 0xc3e00000
	v_and_b32_e32 v6, 0x7fffffff, v4
	s_delay_alu instid0(VALU_DEP_1)
	v_cmpx_gt_u32_e32 0x43f00000, v6
	s_cbranch_execz .LBB48_59
; %bb.157:                              ;   in Loop: Header=BB48_63 Depth=1
	s_mov_b32 s16, exec_lo
                                        ; implicit-def: $vgpr5
	v_cmpx_lt_u32_e32 0x3c7fffff, v6
	s_xor_b32 s16, exec_lo, s16
; %bb.158:                              ;   in Loop: Header=BB48_63 Depth=1
	v_bfe_u32 v5, v4, 20, 1
	s_delay_alu instid0(VALU_DEP_1) | instskip(NEXT) | instid1(VALU_DEP_1)
	v_add3_u32 v5, v4, v5, 0x407ffff
	v_lshrrev_b32_e32 v5, 20, v5
; %bb.159:                              ;   in Loop: Header=BB48_63 Depth=1
	s_and_not1_saveexec_b32 s16, s16
	s_cbranch_execz .LBB48_58
; %bb.160:                              ;   in Loop: Header=BB48_63 Depth=1
	v_add_f32_e64 v5, 0x46800000, |v4|
	s_branch .LBB48_58
.LBB48_161:
	s_nop 0
	s_sendmsg sendmsg(MSG_DEALLOC_VGPRS)
	s_endpgm
.LBB48_162:
                                        ; implicit-def: $vgpr3_vgpr4
	s_branch .LBB48_51
.LBB48_163:
                                        ; implicit-def: $vgpr1_vgpr2
	s_branch .LBB48_56
	.section	.rodata,"a",@progbits
	.p2align	6, 0x0
	.amdhsa_kernel _ZN4vllm31rms_norm_per_block_quant_kernelIN3c104HalfENS1_13Float8_e4m3fnELb0ELb1ELi128EEEvPT0_PfPKT_S9_PKffiiPS7_l
		.amdhsa_group_segment_fixed_size 4228
		.amdhsa_private_segment_fixed_size 0
		.amdhsa_kernarg_size 328
		.amdhsa_user_sgpr_count 15
		.amdhsa_user_sgpr_dispatch_ptr 0
		.amdhsa_user_sgpr_queue_ptr 0
		.amdhsa_user_sgpr_kernarg_segment_ptr 1
		.amdhsa_user_sgpr_dispatch_id 0
		.amdhsa_user_sgpr_private_segment_size 0
		.amdhsa_wavefront_size32 1
		.amdhsa_uses_dynamic_stack 0
		.amdhsa_enable_private_segment 0
		.amdhsa_system_sgpr_workgroup_id_x 1
		.amdhsa_system_sgpr_workgroup_id_y 0
		.amdhsa_system_sgpr_workgroup_id_z 0
		.amdhsa_system_sgpr_workgroup_info 0
		.amdhsa_system_vgpr_workitem_id 0
		.amdhsa_next_free_vgpr 35
		.amdhsa_next_free_sgpr 38
		.amdhsa_reserve_vcc 1
		.amdhsa_float_round_mode_32 0
		.amdhsa_float_round_mode_16_64 0
		.amdhsa_float_denorm_mode_32 3
		.amdhsa_float_denorm_mode_16_64 3
		.amdhsa_dx10_clamp 1
		.amdhsa_ieee_mode 1
		.amdhsa_fp16_overflow 0
		.amdhsa_workgroup_processor_mode 1
		.amdhsa_memory_ordered 1
		.amdhsa_forward_progress 0
		.amdhsa_shared_vgpr_count 0
		.amdhsa_exception_fp_ieee_invalid_op 0
		.amdhsa_exception_fp_denorm_src 0
		.amdhsa_exception_fp_ieee_div_zero 0
		.amdhsa_exception_fp_ieee_overflow 0
		.amdhsa_exception_fp_ieee_underflow 0
		.amdhsa_exception_fp_ieee_inexact 0
		.amdhsa_exception_int_div_zero 0
	.end_amdhsa_kernel
	.section	.text._ZN4vllm31rms_norm_per_block_quant_kernelIN3c104HalfENS1_13Float8_e4m3fnELb0ELb1ELi128EEEvPT0_PfPKT_S9_PKffiiPS7_l,"axG",@progbits,_ZN4vllm31rms_norm_per_block_quant_kernelIN3c104HalfENS1_13Float8_e4m3fnELb0ELb1ELi128EEEvPT0_PfPKT_S9_PKffiiPS7_l,comdat
.Lfunc_end48:
	.size	_ZN4vllm31rms_norm_per_block_quant_kernelIN3c104HalfENS1_13Float8_e4m3fnELb0ELb1ELi128EEEvPT0_PfPKT_S9_PKffiiPS7_l, .Lfunc_end48-_ZN4vllm31rms_norm_per_block_quant_kernelIN3c104HalfENS1_13Float8_e4m3fnELb0ELb1ELi128EEEvPT0_PfPKT_S9_PKffiiPS7_l
                                        ; -- End function
	.section	.AMDGPU.csdata,"",@progbits
; Kernel info:
; codeLenInByte = 11124
; NumSgprs: 40
; NumVgprs: 35
; ScratchSize: 0
; MemoryBound: 0
; FloatMode: 240
; IeeeMode: 1
; LDSByteSize: 4228 bytes/workgroup (compile time only)
; SGPRBlocks: 4
; VGPRBlocks: 4
; NumSGPRsForWavesPerEU: 40
; NumVGPRsForWavesPerEU: 35
; Occupancy: 16
; WaveLimiterHint : 0
; COMPUTE_PGM_RSRC2:SCRATCH_EN: 0
; COMPUTE_PGM_RSRC2:USER_SGPR: 15
; COMPUTE_PGM_RSRC2:TRAP_HANDLER: 0
; COMPUTE_PGM_RSRC2:TGID_X_EN: 1
; COMPUTE_PGM_RSRC2:TGID_Y_EN: 0
; COMPUTE_PGM_RSRC2:TGID_Z_EN: 0
; COMPUTE_PGM_RSRC2:TIDIG_COMP_CNT: 0
	.section	.text._ZN4vllm31rms_norm_per_block_quant_kernelIN3c104HalfENS1_15Float8_e4m3fnuzELb0ELb1ELi128EEEvPT0_PfPKT_S9_PKffiiPS7_l,"axG",@progbits,_ZN4vllm31rms_norm_per_block_quant_kernelIN3c104HalfENS1_15Float8_e4m3fnuzELb0ELb1ELi128EEEvPT0_PfPKT_S9_PKffiiPS7_l,comdat
	.protected	_ZN4vllm31rms_norm_per_block_quant_kernelIN3c104HalfENS1_15Float8_e4m3fnuzELb0ELb1ELi128EEEvPT0_PfPKT_S9_PKffiiPS7_l ; -- Begin function _ZN4vllm31rms_norm_per_block_quant_kernelIN3c104HalfENS1_15Float8_e4m3fnuzELb0ELb1ELi128EEEvPT0_PfPKT_S9_PKffiiPS7_l
	.globl	_ZN4vllm31rms_norm_per_block_quant_kernelIN3c104HalfENS1_15Float8_e4m3fnuzELb0ELb1ELi128EEEvPT0_PfPKT_S9_PKffiiPS7_l
	.p2align	8
	.type	_ZN4vllm31rms_norm_per_block_quant_kernelIN3c104HalfENS1_15Float8_e4m3fnuzELb0ELb1ELi128EEEvPT0_PfPKT_S9_PKffiiPS7_l,@function
_ZN4vllm31rms_norm_per_block_quant_kernelIN3c104HalfENS1_15Float8_e4m3fnuzELb0ELb1ELi128EEEvPT0_PfPKT_S9_PKffiiPS7_l: ; @_ZN4vllm31rms_norm_per_block_quant_kernelIN3c104HalfENS1_15Float8_e4m3fnuzELb0ELb1ELi128EEEvPT0_PfPKT_S9_PKffiiPS7_l
; %bb.0:
	s_mov_b32 s16, s15
	s_clause 0x2
	s_load_b128 s[12:15], s[0:1], 0x28
	s_load_b256 s[4:11], s[0:1], 0x0
	s_load_b32 s29, s[0:1], 0x48
	v_mov_b32_e32 v6, 0
	s_mov_b32 s17, 0
	s_waitcnt lgkmcnt(0)
	s_ashr_i32 s2, s14, 31
	s_mul_hi_u32 s3, s14, s16
	s_mul_i32 s15, s2, s16
	s_mul_i32 s2, s14, s16
	s_add_i32 s3, s3, s15
	s_mov_b32 s14, s13
	s_lshl_b64 s[2:3], s[2:3], 1
	s_delay_alu instid0(SALU_CYCLE_1)
	s_add_u32 s26, s8, s2
	s_addc_u32 s27, s9, s3
	s_ashr_i32 s8, s13, 2
	s_add_u32 s18, s0, 0x48
	v_cmp_gt_u32_e64 s2, s8, v0
	s_addc_u32 s19, s1, 0
	s_delay_alu instid0(VALU_DEP_1)
	s_and_saveexec_b32 s3, s2
	s_cbranch_execz .LBB49_10
; %bb.1:
	s_cmp_lt_u32 s16, s29
	v_mov_b32_e32 v2, 0
	s_cselect_b32 s9, 12, 18
                                        ; implicit-def: $sgpr15
	v_mov_b32_e32 v1, v0
	s_add_u32 s20, s18, s9
	s_addc_u32 s21, s19, 0
	s_mov_b32 s9, s17
	global_load_u16 v7, v2, s[20:21]
	s_waitcnt vmcnt(0)
	v_lshlrev_b32_e32 v9, 1, v7
	v_mul_lo_u32 v8, v7, 3
	v_add_nc_u32_e32 v10, v7, v7
	v_mov_b32_e32 v6, v2
	s_branch .LBB49_5
.LBB49_2:                               ;   in Loop: Header=BB49_5 Depth=1
	s_or_b32 exec_lo, exec_lo, s22
	s_delay_alu instid0(SALU_CYCLE_1)
	s_or_not1_b32 s22, s23, exec_lo
.LBB49_3:                               ;   in Loop: Header=BB49_5 Depth=1
	s_or_b32 exec_lo, exec_lo, s21
	s_delay_alu instid0(SALU_CYCLE_1) | instskip(SKIP_1) | instid1(SALU_CYCLE_1)
	s_and_not1_b32 s15, s15, exec_lo
	s_and_b32 s21, s22, exec_lo
	s_or_b32 s15, s15, s21
.LBB49_4:                               ;   in Loop: Header=BB49_5 Depth=1
	s_or_b32 exec_lo, exec_lo, s20
	s_delay_alu instid0(SALU_CYCLE_1) | instskip(NEXT) | instid1(SALU_CYCLE_1)
	s_and_b32 s20, exec_lo, s15
	s_or_b32 s9, s20, s9
	s_delay_alu instid0(SALU_CYCLE_1)
	s_and_not1_b32 exec_lo, exec_lo, s9
	s_cbranch_execz .LBB49_9
.LBB49_5:                               ; =>This Inner Loop Header: Depth=1
	v_lshlrev_b64 v[3:4], 3, v[1:2]
	s_or_b32 s15, s15, exec_lo
	s_mov_b32 s20, exec_lo
	s_delay_alu instid0(VALU_DEP_1) | instskip(NEXT) | instid1(VALU_DEP_2)
	v_add_co_u32 v3, vcc_lo, s26, v3
	v_add_co_ci_u32_e32 v4, vcc_lo, s27, v4, vcc_lo
	global_load_b64 v[3:4], v[3:4], off
	s_waitcnt vmcnt(0)
	v_fma_mix_f32 v5, v3, v3, v6 op_sel_hi:[1,1,0]
	s_delay_alu instid0(VALU_DEP_1) | instskip(NEXT) | instid1(VALU_DEP_1)
	v_fma_mix_f32 v3, v3, v3, v5 op_sel:[1,1,0] op_sel_hi:[1,1,0]
	v_fma_mix_f32 v5, v4, v4, v3 op_sel_hi:[1,1,0]
	v_add_nc_u32_e32 v3, v1, v7
	s_delay_alu instid0(VALU_DEP_2) | instskip(NEXT) | instid1(VALU_DEP_2)
	v_fma_mix_f32 v6, v4, v4, v5 op_sel:[1,1,0] op_sel_hi:[1,1,0]
	v_cmpx_gt_u32_e64 s8, v3
	s_cbranch_execz .LBB49_4
; %bb.6:                                ;   in Loop: Header=BB49_5 Depth=1
	v_mov_b32_e32 v4, v2
	s_mov_b32 s22, -1
	s_mov_b32 s21, exec_lo
	s_delay_alu instid0(VALU_DEP_1) | instskip(NEXT) | instid1(VALU_DEP_1)
	v_lshlrev_b64 v[4:5], 3, v[3:4]
	v_add_co_u32 v4, vcc_lo, s26, v4
	s_delay_alu instid0(VALU_DEP_2) | instskip(SKIP_3) | instid1(VALU_DEP_1)
	v_add_co_ci_u32_e32 v5, vcc_lo, s27, v5, vcc_lo
	global_load_b64 v[4:5], v[4:5], off
	s_waitcnt vmcnt(0)
	v_fma_mix_f32 v6, v4, v4, v6 op_sel_hi:[1,1,0]
	v_fma_mix_f32 v4, v4, v4, v6 op_sel:[1,1,0] op_sel_hi:[1,1,0]
	s_delay_alu instid0(VALU_DEP_1) | instskip(SKIP_1) | instid1(VALU_DEP_2)
	v_fma_mix_f32 v6, v5, v5, v4 op_sel_hi:[1,1,0]
	v_add_nc_u32_e32 v4, v9, v1
	v_fma_mix_f32 v6, v5, v5, v6 op_sel:[1,1,0] op_sel_hi:[1,1,0]
	s_delay_alu instid0(VALU_DEP_2)
	v_cmpx_gt_u32_e64 s8, v4
	s_cbranch_execz .LBB49_3
; %bb.7:                                ;   in Loop: Header=BB49_5 Depth=1
	v_mov_b32_e32 v5, v2
	v_add_nc_u32_e32 v1, v8, v1
	s_mov_b32 s23, -1
	s_mov_b32 s22, exec_lo
	s_delay_alu instid0(VALU_DEP_2) | instskip(NEXT) | instid1(VALU_DEP_1)
	v_lshlrev_b64 v[4:5], 3, v[4:5]
	v_add_co_u32 v4, vcc_lo, s26, v4
	s_delay_alu instid0(VALU_DEP_2) | instskip(SKIP_3) | instid1(VALU_DEP_1)
	v_add_co_ci_u32_e32 v5, vcc_lo, s27, v5, vcc_lo
	global_load_b64 v[4:5], v[4:5], off
	s_waitcnt vmcnt(0)
	v_fma_mix_f32 v6, v4, v4, v6 op_sel_hi:[1,1,0]
	v_fma_mix_f32 v4, v4, v4, v6 op_sel:[1,1,0] op_sel_hi:[1,1,0]
	s_delay_alu instid0(VALU_DEP_1) | instskip(NEXT) | instid1(VALU_DEP_1)
	v_fma_mix_f32 v4, v5, v5, v4 op_sel_hi:[1,1,0]
	v_fma_mix_f32 v6, v5, v5, v4 op_sel:[1,1,0] op_sel_hi:[1,1,0]
	v_cmpx_gt_u32_e64 s8, v1
	s_xor_b32 s22, exec_lo, s22
	s_cbranch_execz .LBB49_2
; %bb.8:                                ;   in Loop: Header=BB49_5 Depth=1
	v_lshlrev_b64 v[4:5], 3, v[1:2]
	s_delay_alu instid0(VALU_DEP_1) | instskip(NEXT) | instid1(VALU_DEP_2)
	v_add_co_u32 v4, vcc_lo, s26, v4
	v_add_co_ci_u32_e32 v5, vcc_lo, s27, v5, vcc_lo
	global_load_b64 v[4:5], v[4:5], off
	s_waitcnt vmcnt(0)
	v_fma_mix_f32 v1, v4, v4, v6 op_sel_hi:[1,1,0]
	s_delay_alu instid0(VALU_DEP_1) | instskip(SKIP_1) | instid1(VALU_DEP_2)
	v_fma_mix_f32 v4, v4, v4, v1 op_sel:[1,1,0] op_sel_hi:[1,1,0]
	v_add3_u32 v1, v10, v7, v3
	v_fma_mix_f32 v3, v5, v5, v4 op_sel_hi:[1,1,0]
	s_delay_alu instid0(VALU_DEP_2) | instskip(NEXT) | instid1(VALU_DEP_2)
	v_cmp_le_u32_e32 vcc_lo, s8, v1
	v_fma_mix_f32 v6, v5, v5, v3 op_sel:[1,1,0] op_sel_hi:[1,1,0]
	s_or_not1_b32 s23, vcc_lo, exec_lo
	s_branch .LBB49_2
.LBB49_9:
	s_or_b32 exec_lo, exec_lo, s9
.LBB49_10:
	s_delay_alu instid0(SALU_CYCLE_1) | instskip(SKIP_4) | instid1(VALU_DEP_2)
	s_or_b32 exec_lo, exec_lo, s3
	v_mbcnt_lo_u32_b32 v1, -1, 0
	s_load_b32 s3, s[18:19], 0xc
	v_and_b32_e32 v7, 0x3e0, v0
	s_mov_b32 s9, exec_lo
	v_cmp_ne_u32_e32 vcc_lo, 31, v1
	v_add_nc_u32_e32 v3, 1, v1
	v_add_co_ci_u32_e32 v2, vcc_lo, 0, v1, vcc_lo
	v_cmp_gt_u32_e32 vcc_lo, 30, v1
	s_delay_alu instid0(VALU_DEP_2)
	v_lshlrev_b32_e32 v2, 2, v2
	v_cndmask_b32_e64 v5, 0, 1, vcc_lo
	ds_bpermute_b32 v4, v2, v6
	s_waitcnt lgkmcnt(0)
	s_and_b32 s3, s3, 0xffff
	v_lshlrev_b32_e32 v5, 1, v5
	v_sub_nc_u32_e64 v12, s3, v7 clamp
	s_delay_alu instid0(VALU_DEP_1) | instskip(SKIP_1) | instid1(VALU_DEP_4)
	v_cmp_lt_u32_e32 vcc_lo, v3, v12
	v_add_f32_e32 v7, v6, v4
	v_add_lshl_u32 v4, v5, v1, 2
	s_delay_alu instid0(VALU_DEP_2) | instskip(SKIP_2) | instid1(VALU_DEP_1)
	v_cndmask_b32_e32 v7, v6, v7, vcc_lo
	v_cmp_gt_u32_e32 vcc_lo, 28, v1
	v_cndmask_b32_e64 v5, 0, 1, vcc_lo
	v_lshlrev_b32_e32 v8, 2, v5
	ds_bpermute_b32 v6, v4, v7
	v_add_nc_u32_e32 v5, 2, v1
	s_delay_alu instid0(VALU_DEP_1) | instskip(SKIP_3) | instid1(VALU_DEP_2)
	v_cmp_lt_u32_e32 vcc_lo, v5, v12
	s_waitcnt lgkmcnt(0)
	v_add_f32_e32 v9, v7, v6
	v_add_lshl_u32 v6, v8, v1, 2
	v_cndmask_b32_e32 v9, v7, v9, vcc_lo
	v_cmp_gt_u32_e32 vcc_lo, 24, v1
	ds_bpermute_b32 v8, v6, v9
	v_cndmask_b32_e64 v7, 0, 1, vcc_lo
	s_delay_alu instid0(VALU_DEP_1) | instskip(SKIP_1) | instid1(VALU_DEP_1)
	v_lshlrev_b32_e32 v10, 3, v7
	v_add_nc_u32_e32 v7, 4, v1
	v_cmp_lt_u32_e32 vcc_lo, v7, v12
	s_waitcnt lgkmcnt(0)
	v_add_f32_e32 v11, v9, v8
	v_add_lshl_u32 v8, v10, v1, 2
	s_delay_alu instid0(VALU_DEP_2) | instskip(SKIP_3) | instid1(VALU_DEP_1)
	v_cndmask_b32_e32 v11, v9, v11, vcc_lo
	v_cmp_gt_u32_e32 vcc_lo, 16, v1
	ds_bpermute_b32 v10, v8, v11
	v_cndmask_b32_e64 v9, 0, 1, vcc_lo
	v_lshlrev_b32_e32 v13, 4, v9
	v_add_nc_u32_e32 v9, 8, v1
	s_delay_alu instid0(VALU_DEP_1) | instskip(SKIP_3) | instid1(VALU_DEP_2)
	v_cmp_lt_u32_e32 vcc_lo, v9, v12
	s_waitcnt lgkmcnt(0)
	v_add_f32_e32 v14, v11, v10
	v_add_lshl_u32 v10, v13, v1, 2
	v_cndmask_b32_e32 v13, v11, v14, vcc_lo
	v_add_nc_u32_e32 v11, 16, v1
	ds_bpermute_b32 v14, v10, v13
	v_cmp_lt_u32_e32 vcc_lo, v11, v12
	s_waitcnt lgkmcnt(0)
	v_add_f32_e32 v14, v13, v14
	s_delay_alu instid0(VALU_DEP_1)
	v_cndmask_b32_e32 v12, v13, v14, vcc_lo
	v_cmpx_eq_u32_e32 0, v1
	s_cbranch_execz .LBB49_12
; %bb.11:
	v_lshrrev_b32_e32 v13, 3, v0
	s_delay_alu instid0(VALU_DEP_1)
	v_and_b32_e32 v13, 0x7c, v13
	ds_store_b32 v13, v12 offset:4096
.LBB49_12:
	s_or_b32 exec_lo, exec_lo, s9
	s_delay_alu instid0(SALU_CYCLE_1)
	s_mov_b32 s9, exec_lo
	s_waitcnt lgkmcnt(0)
	s_barrier
	buffer_gl0_inv
	v_cmpx_gt_u32_e32 32, v0
	s_cbranch_execz .LBB49_14
; %bb.13:
	v_lshlrev_b32_e32 v1, 2, v1
	s_add_i32 s3, s3, 31
	s_delay_alu instid0(SALU_CYCLE_1) | instskip(NEXT) | instid1(SALU_CYCLE_1)
	s_lshr_b32 s3, s3, 5
	v_cmp_gt_u32_e32 vcc_lo, s3, v3
	ds_load_b32 v1, v1 offset:4096
	s_waitcnt lgkmcnt(0)
	ds_bpermute_b32 v2, v2, v1
	s_waitcnt lgkmcnt(0)
	v_add_f32_e32 v2, v1, v2
	s_delay_alu instid0(VALU_DEP_1) | instskip(SKIP_4) | instid1(VALU_DEP_1)
	v_cndmask_b32_e32 v1, v1, v2, vcc_lo
	v_cmp_gt_u32_e32 vcc_lo, s3, v5
	ds_bpermute_b32 v2, v4, v1
	s_waitcnt lgkmcnt(0)
	v_add_f32_e32 v2, v1, v2
	v_cndmask_b32_e32 v1, v1, v2, vcc_lo
	v_cmp_gt_u32_e32 vcc_lo, s3, v7
	ds_bpermute_b32 v2, v6, v1
	s_waitcnt lgkmcnt(0)
	v_add_f32_e32 v2, v1, v2
	s_delay_alu instid0(VALU_DEP_1) | instskip(SKIP_4) | instid1(VALU_DEP_1)
	v_cndmask_b32_e32 v1, v1, v2, vcc_lo
	v_cmp_gt_u32_e32 vcc_lo, s3, v9
	ds_bpermute_b32 v2, v8, v1
	s_waitcnt lgkmcnt(0)
	v_add_f32_e32 v2, v1, v2
	v_cndmask_b32_e32 v1, v1, v2, vcc_lo
	v_cmp_gt_u32_e32 vcc_lo, s3, v11
	ds_bpermute_b32 v2, v10, v1
	s_waitcnt lgkmcnt(0)
	v_add_f32_e32 v2, v1, v2
	s_delay_alu instid0(VALU_DEP_1)
	v_cndmask_b32_e32 v12, v1, v2, vcc_lo
.LBB49_14:
	s_or_b32 exec_lo, exec_lo, s9
	s_delay_alu instid0(SALU_CYCLE_1)
	s_mov_b32 s3, exec_lo
	v_cmpx_eq_u32_e32 0, v0
	s_cbranch_execz .LBB49_16
; %bb.15:
	v_cvt_f32_i32_e32 v1, s13
	s_delay_alu instid0(VALU_DEP_1) | instskip(SKIP_1) | instid1(VALU_DEP_2)
	v_div_scale_f32 v2, null, v1, v1, v12
	v_div_scale_f32 v5, vcc_lo, v12, v1, v12
	v_rcp_f32_e32 v3, v2
	s_waitcnt_depctr 0xfff
	v_fma_f32 v4, -v2, v3, 1.0
	s_delay_alu instid0(VALU_DEP_1) | instskip(NEXT) | instid1(VALU_DEP_1)
	v_fmac_f32_e32 v3, v4, v3
	v_mul_f32_e32 v4, v5, v3
	s_delay_alu instid0(VALU_DEP_1) | instskip(NEXT) | instid1(VALU_DEP_1)
	v_fma_f32 v6, -v2, v4, v5
	v_fmac_f32_e32 v4, v6, v3
	s_delay_alu instid0(VALU_DEP_1) | instskip(NEXT) | instid1(VALU_DEP_1)
	v_fma_f32 v2, -v2, v4, v5
	v_div_fmas_f32 v2, v2, v3, v4
	s_delay_alu instid0(VALU_DEP_1) | instskip(NEXT) | instid1(VALU_DEP_1)
	v_div_fixup_f32 v1, v2, v1, v12
	v_add_f32_e32 v1, s12, v1
	s_delay_alu instid0(VALU_DEP_1) | instskip(SKIP_1) | instid1(VALU_DEP_2)
	v_mul_f32_e32 v2, 0x4b800000, v1
	v_cmp_gt_f32_e32 vcc_lo, 0x800000, v1
	v_cndmask_b32_e32 v1, v1, v2, vcc_lo
	s_delay_alu instid0(VALU_DEP_1) | instskip(SKIP_2) | instid1(VALU_DEP_1)
	v_rsq_f32_e32 v1, v1
	s_waitcnt_depctr 0xfff
	v_mul_f32_e32 v2, 0x45800000, v1
	v_dual_cndmask_b32 v1, v1, v2 :: v_dual_mov_b32 v2, 0
	ds_store_b32 v2, v1 offset:4224
.LBB49_16:
	s_or_b32 exec_lo, exec_lo, s3
	s_ashr_i32 s15, s13, 31
	v_mov_b32_e32 v4, 0
	s_lshr_b32 s3, s15, 25
	s_waitcnt lgkmcnt(0)
	s_add_i32 s3, s13, s3
	s_barrier
	s_ashr_i32 s12, s3, 7
	s_cmp_lt_u32 s16, s29
	buffer_gl0_inv
	s_cselect_b32 s9, 12, 18
	ds_load_b32 v28, v4 offset:4224
	s_add_u32 s18, s18, s9
	s_addc_u32 s19, s19, 0
	s_abs_i32 s9, s12
	global_load_u16 v1, v4, s[18:19]
	v_cvt_f32_u32_e32 v2, s9
	s_sub_i32 s18, 0, s9
	s_ashr_i32 s3, s3, 31
	s_delay_alu instid0(VALU_DEP_1) | instskip(SKIP_2) | instid1(VALU_DEP_1)
	v_rcp_iflag_f32_e32 v2, v2
	s_waitcnt_depctr 0xfff
	v_mul_f32_e32 v2, 0x4f7ffffe, v2
	v_cvt_u32_f32_e32 v2, v2
	s_delay_alu instid0(VALU_DEP_1) | instskip(NEXT) | instid1(VALU_DEP_1)
	v_readfirstlane_b32 s13, v2
	s_mul_i32 s18, s18, s13
	s_delay_alu instid0(SALU_CYCLE_1) | instskip(NEXT) | instid1(SALU_CYCLE_1)
	s_mul_hi_u32 s18, s13, s18
	s_add_i32 s13, s13, s18
	s_waitcnt vmcnt(0)
	v_readfirstlane_b32 s28, v1
	s_delay_alu instid0(VALU_DEP_1) | instskip(NEXT) | instid1(SALU_CYCLE_1)
	s_mul_hi_u32 s13, s28, s13
	s_mul_i32 s18, s13, s9
	s_add_i32 s19, s13, 1
	s_sub_i32 s18, s28, s18
	s_delay_alu instid0(SALU_CYCLE_1)
	s_sub_i32 s20, s18, s9
	s_cmp_ge_u32 s18, s9
	s_cselect_b32 s13, s19, s13
	s_cselect_b32 s18, s20, s18
	s_add_i32 s19, s13, 1
	s_cmp_ge_u32 s18, s9
	s_cselect_b32 s9, s19, s13
	s_delay_alu instid0(SALU_CYCLE_1) | instskip(NEXT) | instid1(SALU_CYCLE_1)
	s_xor_b32 s9, s9, s3
	s_sub_i32 s18, s9, s3
	s_delay_alu instid0(SALU_CYCLE_1) | instskip(SKIP_3) | instid1(VALU_DEP_1)
	s_abs_i32 s3, s18
	s_ashr_i32 s19, s18, 31
	v_cvt_f32_u32_e32 v1, s3
	s_sub_i32 s9, 0, s3
	v_rcp_iflag_f32_e32 v1, v1
	s_waitcnt_depctr 0xfff
	v_mul_f32_e32 v1, 0x4f7ffffe, v1
	s_delay_alu instid0(VALU_DEP_1) | instskip(NEXT) | instid1(VALU_DEP_1)
	v_cvt_u32_f32_e32 v1, v1
	v_mul_lo_u32 v2, s9, v1
	s_ashr_i32 s9, s8, 31
	s_delay_alu instid0(VALU_DEP_1) | instskip(NEXT) | instid1(VALU_DEP_1)
	v_mul_hi_u32 v2, v1, v2
	v_add_nc_u32_e32 v1, v1, v2
	s_delay_alu instid0(VALU_DEP_1) | instskip(NEXT) | instid1(VALU_DEP_1)
	v_mul_hi_u32 v1, v0, v1
	v_mul_lo_u32 v2, v1, s3
	v_add_nc_u32_e32 v3, 1, v1
	s_delay_alu instid0(VALU_DEP_2) | instskip(NEXT) | instid1(VALU_DEP_1)
	v_sub_nc_u32_e32 v2, v0, v2
	v_subrev_nc_u32_e32 v5, s3, v2
	v_cmp_le_u32_e32 vcc_lo, s3, v2
	s_delay_alu instid0(VALU_DEP_2) | instskip(NEXT) | instid1(VALU_DEP_1)
	v_dual_cndmask_b32 v2, v2, v5 :: v_dual_cndmask_b32 v1, v1, v3
	v_cmp_le_u32_e32 vcc_lo, s3, v2
	s_delay_alu instid0(VALU_DEP_2) | instskip(NEXT) | instid1(VALU_DEP_1)
	v_add_nc_u32_e32 v3, 1, v1
	v_cndmask_b32_e32 v1, v1, v3, vcc_lo
	s_delay_alu instid0(VALU_DEP_1) | instskip(NEXT) | instid1(VALU_DEP_1)
	v_xor_b32_e32 v1, s19, v1
	v_subrev_nc_u32_e32 v1, s19, v1
	s_delay_alu instid0(VALU_DEP_1) | instskip(SKIP_1) | instid1(VALU_DEP_2)
	v_ashrrev_i32_e32 v2, 31, v1
	v_mul_lo_u32 v3, v1, s18
	v_lshlrev_b64 v[7:8], 5, v[1:2]
	s_delay_alu instid0(VALU_DEP_2) | instskip(NEXT) | instid1(VALU_DEP_2)
	v_sub_nc_u32_e32 v3, v0, v3
	v_add_co_u32 v5, vcc_lo, v7, 32
	s_delay_alu instid0(VALU_DEP_3) | instskip(NEXT) | instid1(VALU_DEP_1)
	v_add_co_ci_u32_e32 v6, vcc_lo, 0, v8, vcc_lo
	v_cmp_gt_i64_e32 vcc_lo, s[8:9], v[5:6]
	v_cndmask_b32_e32 v6, s9, v6, vcc_lo
	v_cndmask_b32_e32 v5, s8, v5, vcc_lo
	v_add_co_u32 v7, vcc_lo, v7, v3
	v_add_co_ci_u32_e32 v8, vcc_lo, 0, v8, vcc_lo
	s_delay_alu instid0(VALU_DEP_3) | instskip(SKIP_2) | instid1(VALU_DEP_1)
	v_ashrrev_i32_e32 v10, 31, v5
	v_mov_b32_e32 v9, v5
	s_mov_b32 s9, exec_lo
	v_cmpx_lt_i64_e64 v[7:8], v[9:10]
	s_cbranch_execz .LBB49_26
; %bb.17:
	v_lshlrev_b64 v[11:12], 8, v[1:2]
	v_lshlrev_b64 v[13:14], 3, v[3:4]
	v_mov_b32_e32 v4, 0
	s_lshl_b64 s[20:21], s[18:19], 5
	s_mul_hi_i32 s13, s18, 3
	s_mul_i32 s30, s18, 3
	s_lshl_b64 s[22:23], s[18:19], 1
	v_add_co_u32 v19, vcc_lo, v11, v13
	v_add_co_ci_u32_e32 v20, vcc_lo, v12, v14, vcc_lo
	v_dual_mov_b32 v12, v8 :: v_dual_mov_b32 v11, v7
	s_lshl_b64 s[24:25], s[18:19], 3
	s_mov_b32 s31, 0
                                        ; implicit-def: $sgpr33
	s_branch .LBB49_21
.LBB49_18:                              ;   in Loop: Header=BB49_21 Depth=1
	s_or_b32 exec_lo, exec_lo, s36
	s_delay_alu instid0(SALU_CYCLE_1)
	s_or_not1_b32 s3, s3, exec_lo
.LBB49_19:                              ;   in Loop: Header=BB49_21 Depth=1
	s_or_b32 exec_lo, exec_lo, s35
	s_delay_alu instid0(SALU_CYCLE_1) | instskip(SKIP_1) | instid1(SALU_CYCLE_1)
	s_and_not1_b32 s33, s33, exec_lo
	s_and_b32 s3, s3, exec_lo
	s_or_b32 s33, s33, s3
.LBB49_20:                              ;   in Loop: Header=BB49_21 Depth=1
	s_or_b32 exec_lo, exec_lo, s34
	s_delay_alu instid0(SALU_CYCLE_1) | instskip(NEXT) | instid1(SALU_CYCLE_1)
	s_and_b32 s3, exec_lo, s33
	s_or_b32 s31, s3, s31
	s_delay_alu instid0(SALU_CYCLE_1)
	s_and_not1_b32 exec_lo, exec_lo, s31
	s_cbranch_execz .LBB49_25
.LBB49_21:                              ; =>This Inner Loop Header: Depth=1
	v_add_co_u32 v17, vcc_lo, s10, v19
	v_add_co_ci_u32_e32 v18, vcc_lo, s11, v20, vcc_lo
	v_add_co_u32 v15, vcc_lo, s26, v19
	v_add_co_ci_u32_e32 v16, vcc_lo, s27, v20, vcc_lo
	s_or_b32 s33, s33, exec_lo
	global_load_b64 v[13:14], v[17:18], off
	global_load_b64 v[21:22], v[15:16], off
	s_mov_b32 s34, exec_lo
	s_waitcnt vmcnt(1)
	v_lshrrev_b32_e32 v23, 16, v13
	s_waitcnt vmcnt(0) lgkmcnt(0)
	v_fma_mixlo_f16 v24, v28, v21, 0 op_sel_hi:[0,1,0]
	v_fma_mixlo_f16 v21, v28, v21, 0 op_sel:[0,1,0] op_sel_hi:[0,1,0]
	v_lshrrev_b32_e32 v25, 16, v14
	v_fma_mixlo_f16 v26, v28, v22, 0 op_sel_hi:[0,1,0]
	v_fma_mixlo_f16 v22, v28, v22, 0 op_sel:[0,1,0] op_sel_hi:[0,1,0]
	v_mul_f16_e32 v13, v13, v24
	v_mul_f16_e32 v21, v23, v21
	s_delay_alu instid0(VALU_DEP_4) | instskip(NEXT) | instid1(VALU_DEP_4)
	v_mul_f16_e32 v23, v14, v26
	v_mul_f16_e32 v22, v25, v22
	s_delay_alu instid0(VALU_DEP_4) | instskip(NEXT) | instid1(VALU_DEP_4)
	v_cvt_f32_f16_e64 v24, |v13|
	v_cvt_f32_f16_e64 v21, |v21|
	v_add_co_u32 v13, vcc_lo, v11, s18
	v_cvt_f32_f16_e64 v23, |v23|
	v_add_co_ci_u32_e32 v14, vcc_lo, s19, v12, vcc_lo
	s_delay_alu instid0(VALU_DEP_4) | instskip(SKIP_1) | instid1(VALU_DEP_1)
	v_max3_f32 v4, v4, v24, v21
	v_cvt_f32_f16_e64 v21, |v22|
	v_max3_f32 v4, v4, v23, v21
	s_delay_alu instid0(VALU_DEP_4)
	v_cmpx_lt_i64_e64 v[13:14], v[9:10]
	s_cbranch_execz .LBB49_20
; %bb.22:                               ;   in Loop: Header=BB49_21 Depth=1
	v_add_co_u32 v17, vcc_lo, v17, s24
	v_add_co_ci_u32_e32 v18, vcc_lo, s25, v18, vcc_lo
	v_add_co_u32 v15, vcc_lo, v15, s24
	v_add_co_ci_u32_e32 v16, vcc_lo, s25, v16, vcc_lo
	s_mov_b32 s3, -1
	global_load_b64 v[21:22], v[17:18], off
	global_load_b64 v[23:24], v[15:16], off
	s_mov_b32 s35, exec_lo
	s_waitcnt vmcnt(1)
	v_lshrrev_b32_e32 v25, 16, v21
	s_waitcnt vmcnt(0)
	v_fma_mixlo_f16 v26, v28, v23, 0 op_sel_hi:[0,1,0]
	v_fma_mixlo_f16 v23, v28, v23, 0 op_sel:[0,1,0] op_sel_hi:[0,1,0]
	v_lshrrev_b32_e32 v27, 16, v22
	v_fma_mixlo_f16 v29, v28, v24, 0 op_sel_hi:[0,1,0]
	v_fma_mixlo_f16 v24, v28, v24, 0 op_sel:[0,1,0] op_sel_hi:[0,1,0]
	v_mul_f16_e32 v21, v21, v26
	v_mul_f16_e32 v23, v25, v23
	s_delay_alu instid0(VALU_DEP_4) | instskip(NEXT) | instid1(VALU_DEP_4)
	v_mul_f16_e32 v25, v22, v29
	v_mul_f16_e32 v24, v27, v24
	s_delay_alu instid0(VALU_DEP_4) | instskip(NEXT) | instid1(VALU_DEP_4)
	v_cvt_f32_f16_e64 v26, |v21|
	v_cvt_f32_f16_e64 v23, |v23|
	v_add_co_u32 v21, vcc_lo, s22, v11
	v_cvt_f32_f16_e64 v25, |v25|
	v_add_co_ci_u32_e32 v22, vcc_lo, s23, v12, vcc_lo
	s_delay_alu instid0(VALU_DEP_4) | instskip(SKIP_1) | instid1(VALU_DEP_1)
	v_max3_f32 v4, v4, v26, v23
	v_cvt_f32_f16_e64 v23, |v24|
	v_max3_f32 v4, v4, v25, v23
	s_delay_alu instid0(VALU_DEP_4)
	v_cmpx_lt_i64_e64 v[21:22], v[9:10]
	s_cbranch_execz .LBB49_19
; %bb.23:                               ;   in Loop: Header=BB49_21 Depth=1
	v_add_co_u32 v17, vcc_lo, v17, s24
	v_add_co_ci_u32_e32 v18, vcc_lo, s25, v18, vcc_lo
	v_add_co_u32 v15, vcc_lo, v15, s24
	v_add_co_ci_u32_e32 v16, vcc_lo, s25, v16, vcc_lo
	v_add_co_u32 v11, vcc_lo, s30, v11
	global_load_b64 v[21:22], v[17:18], off
	global_load_b64 v[23:24], v[15:16], off
	v_add_co_ci_u32_e32 v12, vcc_lo, s13, v12, vcc_lo
	s_delay_alu instid0(VALU_DEP_1)
	v_cmp_lt_i64_e32 vcc_lo, v[11:12], v[9:10]
                                        ; implicit-def: $vgpr11_vgpr12
	s_waitcnt vmcnt(1)
	v_lshrrev_b32_e32 v25, 16, v21
	s_waitcnt vmcnt(0)
	v_fma_mixlo_f16 v26, v28, v23, 0 op_sel_hi:[0,1,0]
	v_fma_mixlo_f16 v23, v28, v23, 0 op_sel:[0,1,0] op_sel_hi:[0,1,0]
	v_lshrrev_b32_e32 v27, 16, v22
	v_fma_mixlo_f16 v29, v28, v24, 0 op_sel_hi:[0,1,0]
	v_fma_mixlo_f16 v24, v28, v24, 0 op_sel:[0,1,0] op_sel_hi:[0,1,0]
	v_mul_f16_e32 v21, v21, v26
	v_mul_f16_e32 v23, v25, v23
	s_delay_alu instid0(VALU_DEP_4) | instskip(NEXT) | instid1(VALU_DEP_4)
	v_mul_f16_e32 v22, v22, v29
	v_mul_f16_e32 v24, v27, v24
	s_delay_alu instid0(VALU_DEP_4) | instskip(NEXT) | instid1(VALU_DEP_4)
	v_cvt_f32_f16_e64 v21, |v21|
	v_cvt_f32_f16_e64 v23, |v23|
	s_delay_alu instid0(VALU_DEP_4) | instskip(NEXT) | instid1(VALU_DEP_2)
	v_cvt_f32_f16_e64 v22, |v22|
	v_max3_f32 v4, v4, v21, v23
	v_cvt_f32_f16_e64 v21, |v24|
	s_delay_alu instid0(VALU_DEP_1) | instskip(SKIP_1) | instid1(SALU_CYCLE_1)
	v_max3_f32 v4, v4, v22, v21
	s_and_saveexec_b32 s36, vcc_lo
	s_xor_b32 s36, exec_lo, s36
	s_cbranch_execz .LBB49_18
; %bb.24:                               ;   in Loop: Header=BB49_21 Depth=1
	v_add_co_u32 v11, vcc_lo, v17, s24
	v_add_co_ci_u32_e32 v12, vcc_lo, s25, v18, vcc_lo
	v_add_co_u32 v15, vcc_lo, v15, s24
	v_add_co_ci_u32_e32 v16, vcc_lo, s25, v16, vcc_lo
	s_add_u32 s3, s18, s18
	global_load_b64 v[11:12], v[11:12], off
	global_load_b64 v[15:16], v[15:16], off
	s_addc_u32 s37, s19, s19
	s_add_u32 s3, s3, s18
	s_addc_u32 s37, s37, s19
	s_waitcnt vmcnt(1)
	v_lshrrev_b32_e32 v17, 16, v11
	s_waitcnt vmcnt(0)
	v_fma_mixlo_f16 v18, v28, v15, 0 op_sel_hi:[0,1,0]
	v_fma_mixlo_f16 v15, v28, v15, 0 op_sel:[0,1,0] op_sel_hi:[0,1,0]
	v_lshrrev_b32_e32 v21, 16, v12
	v_fma_mixlo_f16 v22, v28, v16, 0 op_sel_hi:[0,1,0]
	v_fma_mixlo_f16 v16, v28, v16, 0 op_sel:[0,1,0] op_sel_hi:[0,1,0]
	v_mul_f16_e32 v11, v11, v18
	v_mul_f16_e32 v15, v17, v15
	s_delay_alu instid0(VALU_DEP_4) | instskip(NEXT) | instid1(VALU_DEP_4)
	v_mul_f16_e32 v17, v12, v22
	v_mul_f16_e32 v16, v21, v16
	s_delay_alu instid0(VALU_DEP_4) | instskip(NEXT) | instid1(VALU_DEP_4)
	v_cvt_f32_f16_e64 v18, |v11|
	v_cvt_f32_f16_e64 v15, |v15|
	v_add_co_u32 v11, vcc_lo, s3, v13
	v_add_co_ci_u32_e32 v12, vcc_lo, s37, v14, vcc_lo
	v_cvt_f32_f16_e64 v13, |v17|
	v_cvt_f32_f16_e64 v14, |v16|
	v_max3_f32 v4, v4, v18, v15
	s_delay_alu instid0(VALU_DEP_4) | instskip(SKIP_1) | instid1(VALU_DEP_1)
	v_cmp_ge_i64_e32 vcc_lo, v[11:12], v[9:10]
	v_add_co_u32 v19, s3, v19, s20
	v_add_co_ci_u32_e64 v20, s3, s21, v20, s3
	s_delay_alu instid0(VALU_DEP_4)
	v_max3_f32 v4, v4, v13, v14
	s_or_not1_b32 s3, vcc_lo, exec_lo
	s_branch .LBB49_18
.LBB49_25:
	s_or_b32 exec_lo, exec_lo, s31
.LBB49_26:
	s_delay_alu instid0(SALU_CYCLE_1)
	s_or_b32 exec_lo, exec_lo, s9
	s_lshr_b32 s9, s28, 5
	v_lshlrev_b32_e32 v29, 2, v0
	v_cvt_f32_u32_e32 v9, s9
	s_sub_i32 s13, 0, s9
	s_add_i32 s20, s12, s9
	s_delay_alu instid0(SALU_CYCLE_1) | instskip(NEXT) | instid1(VALU_DEP_1)
	s_add_i32 s20, s20, -1
	v_rcp_iflag_f32_e32 v9, v9
	s_abs_i32 s21, s20
	s_ashr_i32 s20, s20, 31
	ds_store_b32 v29, v4
	s_waitcnt lgkmcnt(0)
	s_barrier
	buffer_gl0_inv
	v_mul_f32_e32 v9, 0x4f7ffffe, v9
	s_delay_alu instid0(VALU_DEP_1) | instskip(NEXT) | instid1(VALU_DEP_1)
	v_cvt_u32_f32_e32 v9, v9
	v_readfirstlane_b32 s3, v9
	s_delay_alu instid0(VALU_DEP_1) | instskip(NEXT) | instid1(SALU_CYCLE_1)
	s_mul_i32 s13, s13, s3
	s_mul_hi_u32 s13, s3, s13
	s_delay_alu instid0(SALU_CYCLE_1) | instskip(NEXT) | instid1(SALU_CYCLE_1)
	s_add_i32 s3, s3, s13
	s_mul_hi_u32 s3, s21, s3
	s_delay_alu instid0(SALU_CYCLE_1) | instskip(NEXT) | instid1(SALU_CYCLE_1)
	s_mul_i32 s13, s3, s9
	s_sub_i32 s13, s21, s13
	s_add_i32 s21, s3, 1
	s_sub_i32 s22, s13, s9
	s_cmp_ge_u32 s13, s9
	s_cselect_b32 s3, s21, s3
	s_cselect_b32 s13, s22, s13
	s_add_i32 s21, s3, 1
	s_cmp_ge_u32 s13, s9
	s_cselect_b32 s3, s21, s3
	s_delay_alu instid0(SALU_CYCLE_1) | instskip(NEXT) | instid1(SALU_CYCLE_1)
	s_xor_b32 s3, s3, s20
	s_sub_i32 s20, s3, s20
	s_delay_alu instid0(SALU_CYCLE_1) | instskip(NEXT) | instid1(SALU_CYCLE_1)
	s_ashr_i32 s21, s20, 31
	v_cmp_lt_i64_e64 s3, s[20:21], 1
	s_delay_alu instid0(VALU_DEP_1)
	s_and_b32 vcc_lo, exec_lo, s3
	s_cbranch_vccnz .LBB49_46
; %bb.27:
	v_lshrrev_b32_e32 v9, 5, v0
	v_and_b32_e32 v4, 31, v0
	s_ashr_i32 s13, s12, 31
	s_mov_b64 s[22:23], 0
	s_mov_b64 s[24:25], src_shared_base
	v_mul_lo_u32 v19, s18, v9
	v_add_co_u32 v11, s3, v4, 16
	s_delay_alu instid0(VALU_DEP_1) | instskip(SKIP_1) | instid1(VALU_DEP_1)
	v_add_co_ci_u32_e64 v12, null, 0, 0, s3
	v_add_co_u32 v13, s3, v4, 8
	v_add_co_ci_u32_e64 v14, null, 0, 0, s3
	v_add_co_u32 v15, s3, v4, 4
	v_dual_mov_b32 v10, 0 :: v_dual_lshlrev_b32 v21, 2, v19
	v_lshlrev_b32_e32 v22, 2, v4
	v_add_co_ci_u32_e64 v16, null, 0, 0, s3
	v_add_co_u32 v17, s3, v4, 2
	s_delay_alu instid0(VALU_DEP_1) | instskip(SKIP_1) | instid1(VALU_DEP_1)
	v_add_co_ci_u32_e64 v18, null, 0, 0, s3
	v_add_co_u32 v19, s3, v4, 1
	v_add_co_ci_u32_e64 v20, null, 0, 0, s3
	v_add3_u32 v30, v21, v22, 0x80
	s_mul_i32 s3, s18, s9
	s_delay_alu instid0(SALU_CYCLE_1)
	s_lshl_b32 s30, s3, 2
	s_branch .LBB49_30
.LBB49_28:                              ;   in Loop: Header=BB49_30 Depth=1
	s_or_b32 exec_lo, exec_lo, s3
	v_mov_b32_e32 v22, s25
	flat_load_b32 v21, v[21:22] glc dlc
	s_waitcnt vmcnt(0)
.LBB49_29:                              ;   in Loop: Header=BB49_30 Depth=1
	s_or_b32 exec_lo, exec_lo, s24
	s_add_u32 s22, s22, 1
	v_add_nc_u32_e32 v30, s30, v30
	s_addc_u32 s23, s23, 0
	s_delay_alu instid0(SALU_CYCLE_1)
	s_cmp_eq_u64 s[22:23], s[20:21]
	s_cbranch_scc1 .LBB49_46
.LBB49_30:                              ; =>This Loop Header: Depth=1
                                        ;     Child Loop BB49_33 Depth 2
	s_waitcnt lgkmcnt(0)
	v_mad_u64_u32 v[21:22], null, s22, s9, v[9:10]
	s_mov_b32 s24, exec_lo
	s_delay_alu instid0(VALU_DEP_1) | instskip(NEXT) | instid1(VALU_DEP_1)
	v_mad_u64_u32 v[23:24], null, s23, s9, v[22:23]
	v_mov_b32_e32 v22, v23
	s_delay_alu instid0(VALU_DEP_1)
	v_cmpx_gt_i64_e64 s[12:13], v[21:22]
	s_cbranch_execz .LBB49_29
; %bb.31:                               ;   in Loop: Header=BB49_30 Depth=1
	v_mul_lo_u32 v24, v22, s18
	v_mul_lo_u32 v25, v21, s19
	v_mad_u64_u32 v[22:23], null, v21, s18, 0
	s_delay_alu instid0(VALU_DEP_1) | instskip(NEXT) | instid1(VALU_DEP_2)
	v_add3_u32 v23, v23, v25, v24
	v_add_co_u32 v24, vcc_lo, v22, s18
	v_add_co_u32 v31, s3, v22, v4
	s_delay_alu instid0(VALU_DEP_3) | instskip(SKIP_2) | instid1(VALU_DEP_2)
	v_add_co_ci_u32_e32 v25, vcc_lo, s19, v23, vcc_lo
	v_add_co_ci_u32_e64 v21, s3, 0, v23, s3
	s_mov_b32 s3, exec_lo
	v_cmp_gt_i64_e32 vcc_lo, s[14:15], v[24:25]
	v_cndmask_b32_e32 v25, s15, v25, vcc_lo
	v_cndmask_b32_e32 v24, s14, v24, vcc_lo
	v_add_co_u32 v26, vcc_lo, v31, 32
	v_add_co_ci_u32_e32 v27, vcc_lo, 0, v21, vcc_lo
	v_lshlrev_b32_e32 v21, 2, v31
	s_delay_alu instid0(VALU_DEP_2)
	v_cmpx_lt_i64_e64 v[26:27], v[24:25]
	s_cbranch_execz .LBB49_34
; %bb.32:                               ;   in Loop: Header=BB49_30 Depth=1
	ds_load_b32 v33, v21
	v_mov_b32_e32 v32, v30
	s_mov_b32 s31, 0
.LBB49_33:                              ;   Parent Loop BB49_30 Depth=1
                                        ; =>  This Inner Loop Header: Depth=2
	ds_load_b32 v34, v32
	v_add_co_u32 v26, vcc_lo, v26, 32
	v_add_co_ci_u32_e32 v27, vcc_lo, 0, v27, vcc_lo
	s_waitcnt lgkmcnt(1)
	v_dual_max_f32 v33, v33, v33 :: v_dual_add_nc_u32 v32, 0x80, v32
	s_delay_alu instid0(VALU_DEP_2) | instskip(SKIP_3) | instid1(VALU_DEP_1)
	v_cmp_ge_i64_e32 vcc_lo, v[26:27], v[24:25]
	s_or_b32 s31, vcc_lo, s31
	s_waitcnt lgkmcnt(0)
	v_max_f32_e32 v34, v34, v34
	v_max_f32_e32 v33, v33, v34
	ds_store_b32 v21, v33
	s_and_not1_b32 exec_lo, exec_lo, s31
	s_cbranch_execnz .LBB49_33
.LBB49_34:                              ;   in Loop: Header=BB49_30 Depth=1
	s_or_b32 exec_lo, exec_lo, s3
	v_sub_co_u32 v22, vcc_lo, v24, v22
	v_sub_co_ci_u32_e32 v23, vcc_lo, v25, v23, vcc_lo
	s_mov_b32 s3, exec_lo
	s_delay_alu instid0(VALU_DEP_1) | instskip(SKIP_1) | instid1(VALU_DEP_1)
	v_cmp_gt_i64_e32 vcc_lo, 32, v[22:23]
	v_dual_cndmask_b32 v24, 0, v23 :: v_dual_cndmask_b32 v23, 32, v22
	v_cmpx_lt_i64_e64 v[11:12], v[23:24]
	s_cbranch_execz .LBB49_36
; %bb.35:                               ;   in Loop: Header=BB49_30 Depth=1
	v_dual_mov_b32 v22, s25 :: v_dual_add_nc_u32 v25, 64, v21
	v_mov_b32_e32 v26, s25
	flat_load_b32 v27, v[21:22] glc dlc
	s_waitcnt vmcnt(0)
	flat_load_b32 v25, v[25:26] glc dlc
	s_waitcnt vmcnt(0) lgkmcnt(0)
	v_dual_max_f32 v26, v27, v27 :: v_dual_max_f32 v25, v25, v25
	s_delay_alu instid0(VALU_DEP_1)
	v_max_f32_e32 v25, v26, v25
	flat_store_b32 v[21:22], v25 dlc
	s_waitcnt_vscnt null, 0x0
.LBB49_36:                              ;   in Loop: Header=BB49_30 Depth=1
	s_or_b32 exec_lo, exec_lo, s3
	s_delay_alu instid0(SALU_CYCLE_1)
	s_mov_b32 s3, exec_lo
	v_cmpx_lt_i64_e64 v[13:14], v[23:24]
	s_cbranch_execz .LBB49_38
; %bb.37:                               ;   in Loop: Header=BB49_30 Depth=1
	v_dual_mov_b32 v22, s25 :: v_dual_add_nc_u32 v25, 32, v21
	v_mov_b32_e32 v26, s25
	flat_load_b32 v27, v[21:22] glc dlc
	s_waitcnt vmcnt(0)
	flat_load_b32 v25, v[25:26] glc dlc
	s_waitcnt vmcnt(0) lgkmcnt(0)
	v_dual_max_f32 v26, v27, v27 :: v_dual_max_f32 v25, v25, v25
	s_delay_alu instid0(VALU_DEP_1)
	v_max_f32_e32 v25, v26, v25
	flat_store_b32 v[21:22], v25 dlc
	s_waitcnt_vscnt null, 0x0
.LBB49_38:                              ;   in Loop: Header=BB49_30 Depth=1
	s_or_b32 exec_lo, exec_lo, s3
	s_delay_alu instid0(SALU_CYCLE_1)
	s_mov_b32 s3, exec_lo
	v_cmpx_ge_i64_e64 v[15:16], v[23:24]
	s_xor_b32 s3, exec_lo, s3
; %bb.39:                               ;   in Loop: Header=BB49_30 Depth=1
                                        ; implicit-def: $vgpr21
; %bb.40:                               ;   in Loop: Header=BB49_30 Depth=1
	s_delay_alu instid0(SALU_CYCLE_1)
	s_and_not1_saveexec_b32 s3, s3
	s_cbranch_execz .LBB49_42
; %bb.41:                               ;   in Loop: Header=BB49_30 Depth=1
	v_dual_mov_b32 v22, s25 :: v_dual_add_nc_u32 v25, 16, v21
	v_mov_b32_e32 v26, s25
	flat_load_b32 v27, v[21:22] glc dlc
	s_waitcnt vmcnt(0)
	flat_load_b32 v25, v[25:26] glc dlc
	s_waitcnt vmcnt(0) lgkmcnt(0)
	v_dual_max_f32 v26, v27, v27 :: v_dual_max_f32 v25, v25, v25
	s_delay_alu instid0(VALU_DEP_1)
	v_max_f32_e32 v25, v26, v25
	flat_store_b32 v[21:22], v25 dlc
	s_waitcnt_vscnt null, 0x0
.LBB49_42:                              ;   in Loop: Header=BB49_30 Depth=1
	s_or_b32 exec_lo, exec_lo, s3
	v_lshlrev_b32_e32 v21, 2, v31
	s_mov_b32 s3, exec_lo
	v_cmpx_lt_i64_e64 v[17:18], v[23:24]
	s_cbranch_execz .LBB49_44
; %bb.43:                               ;   in Loop: Header=BB49_30 Depth=1
	s_delay_alu instid0(VALU_DEP_2)
	v_dual_mov_b32 v22, s25 :: v_dual_add_nc_u32 v25, 8, v21
	v_mov_b32_e32 v26, s25
	flat_load_b32 v27, v[21:22] glc dlc
	s_waitcnt vmcnt(0)
	flat_load_b32 v25, v[25:26] glc dlc
	s_waitcnt vmcnt(0) lgkmcnt(0)
	v_dual_max_f32 v26, v27, v27 :: v_dual_max_f32 v25, v25, v25
	s_delay_alu instid0(VALU_DEP_1)
	v_max_f32_e32 v25, v26, v25
	flat_store_b32 v[21:22], v25 dlc
	s_waitcnt_vscnt null, 0x0
.LBB49_44:                              ;   in Loop: Header=BB49_30 Depth=1
	s_or_b32 exec_lo, exec_lo, s3
	s_delay_alu instid0(SALU_CYCLE_1)
	s_mov_b32 s3, exec_lo
	v_cmpx_lt_i64_e64 v[19:20], v[23:24]
	s_cbranch_execz .LBB49_28
; %bb.45:                               ;   in Loop: Header=BB49_30 Depth=1
	v_dual_mov_b32 v22, s25 :: v_dual_add_nc_u32 v23, 4, v21
	v_mov_b32_e32 v24, s25
	flat_load_b32 v25, v[21:22] glc dlc
	s_waitcnt vmcnt(0)
	flat_load_b32 v23, v[23:24] glc dlc
	s_waitcnt vmcnt(0) lgkmcnt(0)
	v_dual_max_f32 v24, v25, v25 :: v_dual_max_f32 v23, v23, v23
	s_delay_alu instid0(VALU_DEP_1)
	v_max_f32_e32 v23, v24, v23
	flat_store_b32 v[21:22], v23 dlc
	s_waitcnt_vscnt null, 0x0
	s_branch .LBB49_28
.LBB49_46:
	s_load_b64 s[12:13], s[0:1], 0x40
	v_cmp_lt_i64_e32 vcc_lo, v[7:8], v[5:6]
	v_cmp_eq_u32_e64 s3, 0, v3
	s_waitcnt lgkmcnt(0)
	s_barrier
	buffer_gl0_inv
	s_and_b32 s9, s3, vcc_lo
	s_delay_alu instid0(SALU_CYCLE_1)
	s_and_saveexec_b32 s3, s9
	s_cbranch_execz .LBB49_53
; %bb.47:
	s_load_b64 s[0:1], s[0:1], 0x20
	ds_load_b32 v5, v29
	s_waitcnt lgkmcnt(0)
	s_cmp_eq_u64 s[0:1], 0
	s_cbranch_scc1 .LBB49_49
; %bb.48:
	s_load_b32 s0, s[0:1], 0x0
	v_max_f32_e32 v3, v5, v5
	s_waitcnt lgkmcnt(0)
	v_max_f32_e64 v4, s0, s0
	s_delay_alu instid0(VALU_DEP_1)
	v_min_f32_e32 v5, v3, v4
.LBB49_49:
	s_add_u32 s0, s12, s29
	s_addc_u32 s1, s13, 0
	s_add_u32 s18, s0, -1
	s_addc_u32 s19, s1, -1
	s_delay_alu instid0(SALU_CYCLE_1) | instskip(SKIP_1) | instid1(SALU_CYCLE_1)
	s_or_b64 s[20:21], s[18:19], s[12:13]
	s_mov_b32 s20, 0
	s_cmp_lg_u64 s[20:21], 0
	s_cbranch_scc0 .LBB49_194
; %bb.50:
	s_ashr_i32 s0, s13, 31
	s_delay_alu instid0(SALU_CYCLE_1) | instskip(SKIP_2) | instid1(SALU_CYCLE_1)
	s_add_u32 s22, s12, s0
	s_mov_b32 s1, s0
	s_addc_u32 s23, s13, s0
	s_xor_b64 s[0:1], s[22:23], s[0:1]
	s_delay_alu instid0(SALU_CYCLE_1) | instskip(SKIP_3) | instid1(VALU_DEP_1)
	v_cvt_f32_u32_e32 v3, s0
	v_cvt_f32_u32_e32 v4, s1
	s_sub_u32 s22, 0, s0
	s_subb_u32 s23, 0, s1
	v_fmamk_f32 v3, v4, 0x4f800000, v3
	s_delay_alu instid0(VALU_DEP_1) | instskip(SKIP_2) | instid1(VALU_DEP_1)
	v_rcp_f32_e32 v3, v3
	s_waitcnt_depctr 0xfff
	v_mul_f32_e32 v3, 0x5f7ffffc, v3
	v_mul_f32_e32 v4, 0x2f800000, v3
	s_delay_alu instid0(VALU_DEP_1) | instskip(NEXT) | instid1(VALU_DEP_1)
	v_trunc_f32_e32 v4, v4
	v_fmamk_f32 v3, v4, 0xcf800000, v3
	v_cvt_u32_f32_e32 v4, v4
	s_delay_alu instid0(VALU_DEP_2) | instskip(NEXT) | instid1(VALU_DEP_2)
	v_cvt_u32_f32_e32 v3, v3
	v_readfirstlane_b32 s9, v4
	s_delay_alu instid0(VALU_DEP_2) | instskip(NEXT) | instid1(VALU_DEP_2)
	v_readfirstlane_b32 s21, v3
	s_mul_i32 s24, s22, s9
	s_delay_alu instid0(VALU_DEP_1)
	s_mul_hi_u32 s30, s22, s21
	s_mul_i32 s25, s23, s21
	s_add_i32 s24, s30, s24
	s_mul_i32 s31, s22, s21
	s_add_i32 s24, s24, s25
	s_mul_hi_u32 s30, s21, s31
	s_mul_hi_u32 s33, s9, s31
	s_mul_i32 s25, s9, s31
	s_mul_hi_u32 s31, s21, s24
	s_mul_i32 s21, s21, s24
	s_mul_hi_u32 s34, s9, s24
	s_add_u32 s21, s30, s21
	s_addc_u32 s30, 0, s31
	s_add_u32 s21, s21, s25
	s_mul_i32 s24, s9, s24
	s_addc_u32 s21, s30, s33
	s_addc_u32 s25, s34, 0
	s_add_u32 s21, s21, s24
	s_addc_u32 s24, 0, s25
	v_add_co_u32 v3, s21, v3, s21
	s_delay_alu instid0(VALU_DEP_1) | instskip(SKIP_1) | instid1(VALU_DEP_1)
	s_cmp_lg_u32 s21, 0
	s_addc_u32 s9, s9, s24
	v_readfirstlane_b32 s21, v3
	s_mul_i32 s24, s22, s9
	s_delay_alu instid0(VALU_DEP_1)
	s_mul_hi_u32 s25, s22, s21
	s_mul_i32 s23, s23, s21
	s_add_i32 s24, s25, s24
	s_mul_i32 s22, s22, s21
	s_add_i32 s24, s24, s23
	s_mul_hi_u32 s25, s9, s22
	s_mul_i32 s30, s9, s22
	s_mul_hi_u32 s22, s21, s22
	s_mul_hi_u32 s31, s21, s24
	s_mul_i32 s21, s21, s24
	s_mul_hi_u32 s23, s9, s24
	s_add_u32 s21, s22, s21
	s_addc_u32 s22, 0, s31
	s_add_u32 s21, s21, s30
	s_mul_i32 s24, s9, s24
	s_addc_u32 s21, s22, s25
	s_addc_u32 s22, s23, 0
	s_add_u32 s21, s21, s24
	s_addc_u32 s22, 0, s22
	v_add_co_u32 v3, s21, v3, s21
	s_delay_alu instid0(VALU_DEP_1) | instskip(SKIP_2) | instid1(VALU_DEP_1)
	s_cmp_lg_u32 s21, 0
	s_addc_u32 s9, s9, s22
	s_ashr_i32 s22, s19, 31
	v_readfirstlane_b32 s21, v3
	s_add_u32 s24, s18, s22
	s_mov_b32 s23, s22
	s_addc_u32 s25, s19, s22
	s_delay_alu instid0(SALU_CYCLE_1) | instskip(NEXT) | instid1(SALU_CYCLE_1)
	s_xor_b64 s[24:25], s[24:25], s[22:23]
	s_mul_i32 s30, s24, s9
	s_mul_hi_u32 s31, s24, s21
	s_mul_hi_u32 s23, s24, s9
	;; [unrolled: 1-line block ×3, first 2 shown]
	s_mul_i32 s21, s25, s21
	s_add_u32 s30, s31, s30
	s_addc_u32 s23, 0, s23
	s_mul_hi_u32 s33, s25, s9
	s_add_u32 s21, s30, s21
	s_mul_i32 s9, s25, s9
	s_addc_u32 s21, s23, s34
	s_addc_u32 s23, s33, 0
	s_add_u32 s9, s21, s9
	s_addc_u32 s21, 0, s23
	s_mul_hi_u32 s23, s0, s9
	s_mul_i32 s21, s0, s21
	s_mul_i32 s30, s1, s9
	;; [unrolled: 1-line block ×3, first 2 shown]
	s_add_i32 s21, s23, s21
	v_sub_co_u32 v3, s9, s24, s9
	s_add_i32 s21, s21, s30
	s_delay_alu instid0(SALU_CYCLE_1) | instskip(SKIP_1) | instid1(VALU_DEP_1)
	s_sub_i32 s23, s25, s21
	s_cmp_lg_u32 s9, 0
	v_sub_co_u32 v4, s24, v3, s0
	s_subb_u32 s23, s23, s1
	s_cmp_lg_u32 s24, 0
	s_subb_u32 s30, s23, 0
	s_delay_alu instid0(VALU_DEP_1)
	v_cmp_le_u32_e32 vcc_lo, s0, v4
	s_cmp_ge_u32 s30, s1
	s_cselect_b32 s31, -1, 0
	s_cmp_eq_u32 s30, s1
	v_cndmask_b32_e64 v6, 0, -1, vcc_lo
	s_cselect_b32 vcc_lo, -1, 0
	s_cmp_lg_u32 s24, 0
	v_sub_co_u32 v7, s24, v4, s0
	s_subb_u32 s23, s23, s1
	s_cmp_lg_u32 s24, 0
	v_cndmask_b32_e32 v6, s31, v6, vcc_lo
	s_subb_u32 s23, s23, 0
	s_cmp_lg_u32 s9, 0
	v_cmp_le_u32_e32 vcc_lo, s0, v3
	s_subb_u32 s9, s25, s21
	s_delay_alu instid0(SALU_CYCLE_1)
	s_cmp_ge_u32 s9, s1
	v_cndmask_b32_e64 v8, 0, -1, vcc_lo
	s_cselect_b32 s21, -1, 0
	s_cmp_eq_u32 s9, s1
	v_cmp_ne_u32_e32 vcc_lo, 0, v6
	v_mov_b32_e32 v6, s23
	s_cselect_b32 s0, -1, 0
	s_delay_alu instid0(SALU_CYCLE_1) | instskip(SKIP_1) | instid1(VALU_DEP_3)
	v_cndmask_b32_e64 v8, s21, v8, s0
	v_cndmask_b32_e32 v4, v4, v7, vcc_lo
	v_cndmask_b32_e32 v6, s30, v6, vcc_lo
	s_delay_alu instid0(VALU_DEP_3) | instskip(NEXT) | instid1(VALU_DEP_3)
	v_cmp_ne_u32_e32 vcc_lo, 0, v8
	v_cndmask_b32_e32 v3, v3, v4, vcc_lo
	s_delay_alu instid0(VALU_DEP_3) | instskip(NEXT) | instid1(VALU_DEP_2)
	v_cndmask_b32_e32 v6, s9, v6, vcc_lo
	v_xor_b32_e32 v3, s22, v3
	s_delay_alu instid0(VALU_DEP_2) | instskip(NEXT) | instid1(VALU_DEP_2)
	v_xor_b32_e32 v4, s22, v6
	v_sub_co_u32 v3, vcc_lo, v3, s22
	s_delay_alu instid0(VALU_DEP_2)
	v_subrev_co_ci_u32_e32 v4, vcc_lo, s22, v4, vcc_lo
	s_and_not1_b32 vcc_lo, exec_lo, s20
	s_cbranch_vccnz .LBB49_52
.LBB49_51:
	v_cvt_f32_u32_e32 v3, s12
	s_sub_i32 s0, 0, s12
	s_delay_alu instid0(VALU_DEP_1) | instskip(SKIP_2) | instid1(VALU_DEP_1)
	v_rcp_iflag_f32_e32 v3, v3
	s_waitcnt_depctr 0xfff
	v_mul_f32_e32 v3, 0x4f7ffffe, v3
	v_cvt_u32_f32_e32 v3, v3
	s_delay_alu instid0(VALU_DEP_1) | instskip(NEXT) | instid1(VALU_DEP_1)
	v_mul_lo_u32 v4, s0, v3
	v_mul_hi_u32 v4, v3, v4
	s_delay_alu instid0(VALU_DEP_1) | instskip(NEXT) | instid1(VALU_DEP_1)
	v_add_nc_u32_e32 v3, v3, v4
	v_mul_hi_u32 v3, s18, v3
	s_delay_alu instid0(VALU_DEP_1) | instskip(NEXT) | instid1(VALU_DEP_1)
	v_mul_lo_u32 v3, v3, s12
	v_sub_nc_u32_e32 v3, s18, v3
	s_delay_alu instid0(VALU_DEP_1) | instskip(SKIP_1) | instid1(VALU_DEP_2)
	v_subrev_nc_u32_e32 v4, s12, v3
	v_cmp_le_u32_e32 vcc_lo, s12, v3
	v_cndmask_b32_e32 v3, v3, v4, vcc_lo
	s_delay_alu instid0(VALU_DEP_1) | instskip(SKIP_1) | instid1(VALU_DEP_2)
	v_subrev_nc_u32_e32 v4, s12, v3
	v_cmp_le_u32_e32 vcc_lo, s12, v3
	v_dual_cndmask_b32 v3, v3, v4 :: v_dual_mov_b32 v4, 0
.LBB49_52:
	v_div_scale_f32 v6, null, 0x43600000, 0x43600000, v5
	v_div_scale_f32 v9, vcc_lo, v5, 0x43600000, v5
	s_delay_alu instid0(VALU_DEP_3) | instskip(NEXT) | instid1(VALU_DEP_3)
	v_sub_co_u32 v10, s0, s18, v3
	v_rcp_f32_e32 v7, v6
	v_sub_co_ci_u32_e64 v3, s0, s19, v4, s0
	s_lshl_b64 s[0:1], s[16:17], 2
	s_delay_alu instid0(SALU_CYCLE_1) | instskip(NEXT) | instid1(VALU_DEP_1)
	s_add_u32 s0, s0, s6
	v_mul_lo_u32 v11, v3, v1
	s_addc_u32 s1, s1, s7
	s_waitcnt_depctr 0xfff
	v_fma_f32 v8, -v6, v7, 1.0
	s_delay_alu instid0(VALU_DEP_1) | instskip(NEXT) | instid1(VALU_DEP_1)
	v_fmac_f32_e32 v7, v8, v7
	v_mul_f32_e32 v8, v9, v7
	s_delay_alu instid0(VALU_DEP_1) | instskip(NEXT) | instid1(VALU_DEP_1)
	v_fma_f32 v4, -v6, v8, v9
	v_fmac_f32_e32 v8, v4, v7
	v_mul_lo_u32 v4, v10, v2
	v_mad_u64_u32 v[2:3], null, v10, v1, 0
	s_delay_alu instid0(VALU_DEP_3) | instskip(NEXT) | instid1(VALU_DEP_2)
	v_fma_f32 v1, -v6, v8, v9
	v_add3_u32 v3, v3, v4, v11
	s_delay_alu instid0(VALU_DEP_2) | instskip(NEXT) | instid1(VALU_DEP_1)
	v_div_fmas_f32 v1, v1, v7, v8
	v_div_fixup_f32 v4, v1, 0x43600000, v5
	s_delay_alu instid0(VALU_DEP_3) | instskip(NEXT) | instid1(VALU_DEP_2)
	v_lshlrev_b64 v[1:2], 2, v[2:3]
	v_max_f32_e32 v3, 0x37124925, v4
	s_delay_alu instid0(VALU_DEP_2) | instskip(NEXT) | instid1(VALU_DEP_3)
	v_add_co_u32 v1, vcc_lo, s0, v1
	v_add_co_ci_u32_e32 v2, vcc_lo, s1, v2, vcc_lo
	global_store_b32 v[1:2], v3, off
.LBB49_53:
	s_or_b32 exec_lo, exec_lo, s3
	s_waitcnt_vscnt null, 0x0
	s_barrier
	buffer_gl0_inv
	s_and_saveexec_b32 s0, s2
	s_cbranch_execz .LBB49_193
; %bb.54:
	s_add_u32 s0, s12, s29
	s_addc_u32 s1, s13, 0
	s_add_u32 s2, s0, -1
	s_addc_u32 s3, s1, -1
	s_delay_alu instid0(SALU_CYCLE_1) | instskip(SKIP_1) | instid1(SALU_CYCLE_1)
	s_or_b64 s[18:19], s[2:3], s[12:13]
	s_mov_b32 s18, 0
	s_cmp_lg_u64 s[18:19], 0
	s_cbranch_scc0 .LBB49_195
; %bb.55:
	s_ashr_i32 s0, s13, 31
	s_delay_alu instid0(SALU_CYCLE_1) | instskip(SKIP_2) | instid1(SALU_CYCLE_1)
	s_add_u32 s20, s12, s0
	s_mov_b32 s1, s0
	s_addc_u32 s21, s13, s0
	s_xor_b64 s[0:1], s[20:21], s[0:1]
	s_delay_alu instid0(SALU_CYCLE_1) | instskip(SKIP_3) | instid1(VALU_DEP_1)
	v_cvt_f32_u32_e32 v1, s0
	v_cvt_f32_u32_e32 v2, s1
	s_sub_u32 s19, 0, s0
	s_subb_u32 s20, 0, s1
	v_fmamk_f32 v1, v2, 0x4f800000, v1
	s_delay_alu instid0(VALU_DEP_1) | instskip(SKIP_2) | instid1(VALU_DEP_1)
	v_rcp_f32_e32 v1, v1
	s_waitcnt_depctr 0xfff
	v_mul_f32_e32 v1, 0x5f7ffffc, v1
	v_mul_f32_e32 v2, 0x2f800000, v1
	s_delay_alu instid0(VALU_DEP_1) | instskip(NEXT) | instid1(VALU_DEP_1)
	v_trunc_f32_e32 v2, v2
	v_fmamk_f32 v1, v2, 0xcf800000, v1
	v_cvt_u32_f32_e32 v2, v2
	s_delay_alu instid0(VALU_DEP_2) | instskip(NEXT) | instid1(VALU_DEP_2)
	v_cvt_u32_f32_e32 v1, v1
	v_readfirstlane_b32 s9, v2
	s_delay_alu instid0(VALU_DEP_2) | instskip(NEXT) | instid1(VALU_DEP_2)
	v_readfirstlane_b32 s13, v1
	s_mul_i32 s21, s19, s9
	s_delay_alu instid0(VALU_DEP_1)
	s_mul_hi_u32 s23, s19, s13
	s_mul_i32 s22, s20, s13
	s_add_i32 s21, s23, s21
	s_mul_i32 s24, s19, s13
	s_add_i32 s21, s21, s22
	s_mul_hi_u32 s23, s13, s24
	s_mul_hi_u32 s25, s9, s24
	s_mul_i32 s22, s9, s24
	s_mul_hi_u32 s24, s13, s21
	s_mul_i32 s13, s13, s21
	s_mul_hi_u32 s29, s9, s21
	s_add_u32 s13, s23, s13
	s_addc_u32 s23, 0, s24
	s_add_u32 s13, s13, s22
	s_mul_i32 s21, s9, s21
	s_addc_u32 s13, s23, s25
	s_addc_u32 s22, s29, 0
	s_add_u32 s13, s13, s21
	s_addc_u32 s21, 0, s22
	v_add_co_u32 v1, s13, v1, s13
	s_delay_alu instid0(VALU_DEP_1) | instskip(SKIP_1) | instid1(VALU_DEP_1)
	s_cmp_lg_u32 s13, 0
	s_addc_u32 s9, s9, s21
	v_readfirstlane_b32 s13, v1
	s_mul_i32 s21, s19, s9
	s_delay_alu instid0(VALU_DEP_1)
	s_mul_hi_u32 s22, s19, s13
	s_mul_i32 s20, s20, s13
	s_add_i32 s21, s22, s21
	s_mul_i32 s19, s19, s13
	s_add_i32 s21, s21, s20
	s_mul_hi_u32 s22, s9, s19
	s_mul_i32 s23, s9, s19
	s_mul_hi_u32 s19, s13, s19
	s_mul_hi_u32 s24, s13, s21
	s_mul_i32 s13, s13, s21
	s_mul_hi_u32 s20, s9, s21
	s_add_u32 s13, s19, s13
	s_addc_u32 s19, 0, s24
	s_add_u32 s13, s13, s23
	s_mul_i32 s21, s9, s21
	s_addc_u32 s13, s19, s22
	s_addc_u32 s19, s20, 0
	s_add_u32 s13, s13, s21
	s_addc_u32 s19, 0, s19
	v_add_co_u32 v1, s13, v1, s13
	s_delay_alu instid0(VALU_DEP_1) | instskip(SKIP_2) | instid1(VALU_DEP_1)
	s_cmp_lg_u32 s13, 0
	s_addc_u32 s9, s9, s19
	s_ashr_i32 s20, s3, 31
	v_readfirstlane_b32 s13, v1
	s_add_u32 s22, s2, s20
	s_mov_b32 s21, s20
	s_addc_u32 s23, s3, s20
	s_delay_alu instid0(SALU_CYCLE_1) | instskip(NEXT) | instid1(SALU_CYCLE_1)
	s_xor_b64 s[22:23], s[22:23], s[20:21]
	s_mul_i32 s21, s22, s9
	s_mul_hi_u32 s24, s22, s13
	s_mul_hi_u32 s19, s22, s9
	;; [unrolled: 1-line block ×3, first 2 shown]
	s_mul_i32 s13, s23, s13
	s_add_u32 s21, s24, s21
	s_addc_u32 s19, 0, s19
	s_mul_hi_u32 s25, s23, s9
	s_add_u32 s13, s21, s13
	s_mul_i32 s9, s23, s9
	s_addc_u32 s13, s19, s29
	s_addc_u32 s19, s25, 0
	s_add_u32 s9, s13, s9
	s_addc_u32 s13, 0, s19
	s_mul_hi_u32 s19, s0, s9
	s_mul_i32 s13, s0, s13
	s_mul_i32 s21, s1, s9
	;; [unrolled: 1-line block ×3, first 2 shown]
	s_add_i32 s13, s19, s13
	v_sub_co_u32 v1, s9, s22, s9
	s_add_i32 s13, s13, s21
	s_delay_alu instid0(SALU_CYCLE_1) | instskip(SKIP_1) | instid1(VALU_DEP_1)
	s_sub_i32 s19, s23, s13
	s_cmp_lg_u32 s9, 0
	v_sub_co_u32 v2, s21, v1, s0
	s_subb_u32 s19, s19, s1
	s_cmp_lg_u32 s21, 0
	s_subb_u32 s22, s19, 0
	s_delay_alu instid0(VALU_DEP_1)
	v_cmp_le_u32_e32 vcc_lo, s0, v2
	s_cmp_ge_u32 s22, s1
	s_cselect_b32 s24, -1, 0
	s_cmp_eq_u32 s22, s1
	v_cndmask_b32_e64 v3, 0, -1, vcc_lo
	s_cselect_b32 vcc_lo, -1, 0
	s_cmp_lg_u32 s21, 0
	v_sub_co_u32 v4, s21, v2, s0
	s_subb_u32 s19, s19, s1
	s_cmp_lg_u32 s21, 0
	v_cndmask_b32_e32 v3, s24, v3, vcc_lo
	s_subb_u32 s19, s19, 0
	s_cmp_lg_u32 s9, 0
	v_cmp_le_u32_e32 vcc_lo, s0, v1
	s_subb_u32 s9, s23, s13
	s_delay_alu instid0(SALU_CYCLE_1)
	s_cmp_ge_u32 s9, s1
	v_cndmask_b32_e64 v5, 0, -1, vcc_lo
	s_cselect_b32 s13, -1, 0
	s_cmp_eq_u32 s9, s1
	v_cmp_ne_u32_e32 vcc_lo, 0, v3
	v_mov_b32_e32 v3, s19
	s_cselect_b32 s0, -1, 0
	s_delay_alu instid0(SALU_CYCLE_1) | instskip(SKIP_1) | instid1(VALU_DEP_3)
	v_cndmask_b32_e64 v5, s13, v5, s0
	v_cndmask_b32_e32 v2, v2, v4, vcc_lo
	v_cndmask_b32_e32 v3, s22, v3, vcc_lo
	s_delay_alu instid0(VALU_DEP_3) | instskip(NEXT) | instid1(VALU_DEP_3)
	v_cmp_ne_u32_e32 vcc_lo, 0, v5
	v_cndmask_b32_e32 v1, v1, v2, vcc_lo
	s_delay_alu instid0(VALU_DEP_3) | instskip(NEXT) | instid1(VALU_DEP_2)
	v_cndmask_b32_e32 v3, s9, v3, vcc_lo
	v_xor_b32_e32 v1, s20, v1
	s_delay_alu instid0(VALU_DEP_2) | instskip(NEXT) | instid1(VALU_DEP_2)
	v_xor_b32_e32 v2, s20, v3
	v_sub_co_u32 v1, vcc_lo, v1, s20
	s_delay_alu instid0(VALU_DEP_2)
	v_subrev_co_ci_u32_e32 v2, vcc_lo, s20, v2, vcc_lo
	s_and_not1_b32 vcc_lo, exec_lo, s18
	s_cbranch_vccnz .LBB49_57
.LBB49_56:
	v_cvt_f32_u32_e32 v1, s12
	s_sub_i32 s0, 0, s12
	s_delay_alu instid0(VALU_DEP_1) | instskip(SKIP_2) | instid1(VALU_DEP_1)
	v_rcp_iflag_f32_e32 v1, v1
	s_waitcnt_depctr 0xfff
	v_mul_f32_e32 v1, 0x4f7ffffe, v1
	v_cvt_u32_f32_e32 v1, v1
	s_delay_alu instid0(VALU_DEP_1) | instskip(NEXT) | instid1(VALU_DEP_1)
	v_mul_lo_u32 v2, s0, v1
	v_mul_hi_u32 v2, v1, v2
	s_delay_alu instid0(VALU_DEP_1) | instskip(NEXT) | instid1(VALU_DEP_1)
	v_add_nc_u32_e32 v1, v1, v2
	v_mul_hi_u32 v1, s2, v1
	s_delay_alu instid0(VALU_DEP_1) | instskip(NEXT) | instid1(VALU_DEP_1)
	v_mul_lo_u32 v1, v1, s12
	v_sub_nc_u32_e32 v1, s2, v1
	s_delay_alu instid0(VALU_DEP_1) | instskip(SKIP_1) | instid1(VALU_DEP_2)
	v_subrev_nc_u32_e32 v2, s12, v1
	v_cmp_le_u32_e32 vcc_lo, s12, v1
	v_cndmask_b32_e32 v1, v1, v2, vcc_lo
	s_delay_alu instid0(VALU_DEP_1) | instskip(SKIP_1) | instid1(VALU_DEP_2)
	v_subrev_nc_u32_e32 v2, s12, v1
	v_cmp_le_u32_e32 vcc_lo, s12, v1
	v_dual_cndmask_b32 v1, v1, v2 :: v_dual_mov_b32 v2, 0
.LBB49_57:
	s_mul_i32 s0, s15, s16
	s_mul_hi_u32 s1, s14, s16
	s_mul_i32 s9, s14, s16
	s_add_i32 s1, s1, s0
	v_sub_co_u32 v9, vcc_lo, s2, v1
	s_add_u32 s0, s4, s9
	s_addc_u32 s1, s5, s1
	s_lshl_b64 s[4:5], s[16:17], 2
	v_sub_co_ci_u32_e32 v10, vcc_lo, s3, v2, vcc_lo
	v_mov_b32_e32 v1, 0
	s_add_u32 s4, s6, s4
	s_addc_u32 s5, s7, s5
	s_mul_i32 s2, s28, 3
	s_lshl_b32 s3, s28, 1
	s_mov_b32 s6, 0
	s_mov_b32 s7, 0x43600000
	s_branch .LBB49_63
.LBB49_58:                              ;   in Loop: Header=BB49_63 Depth=1
	s_or_b32 exec_lo, exec_lo, s16
.LBB49_59:                              ;   in Loop: Header=BB49_63 Depth=1
	s_delay_alu instid0(SALU_CYCLE_1)
	s_or_b32 exec_lo, exec_lo, s14
	v_lshlrev_b32_e32 v6, 16, v5
	v_lshlrev_b64 v[4:5], 2, v[0:1]
	v_lshlrev_b32_e32 v8, 8, v8
	s_add_i32 s14, s28, s28
	v_and_b32_e32 v7, 0xff, v7
	v_add3_u32 v0, s14, s28, v2
	v_perm_b32 v6, v3, v6, 0x4020c0c
	v_and_b32_e32 v8, 0xff00, v8
	v_add_co_u32 v2, vcc_lo, s0, v4
	v_add_co_ci_u32_e32 v3, vcc_lo, s1, v5, vcc_lo
	v_cmp_le_u32_e32 vcc_lo, s8, v0
	s_delay_alu instid0(VALU_DEP_4)
	v_or3_b32 v4, v6, v8, v7
	s_or_not1_b32 s14, vcc_lo, exec_lo
	global_store_b32 v[2:3], v4, off
.LBB49_60:                              ;   in Loop: Header=BB49_63 Depth=1
	s_or_b32 exec_lo, exec_lo, s13
	s_delay_alu instid0(SALU_CYCLE_1)
	s_or_not1_b32 s13, s14, exec_lo
.LBB49_61:                              ;   in Loop: Header=BB49_63 Depth=1
	s_or_b32 exec_lo, exec_lo, s12
	s_delay_alu instid0(SALU_CYCLE_1)
	s_or_not1_b32 s12, s13, exec_lo
.LBB49_62:                              ;   in Loop: Header=BB49_63 Depth=1
	s_or_b32 exec_lo, exec_lo, s9
	s_delay_alu instid0(SALU_CYCLE_1) | instskip(NEXT) | instid1(SALU_CYCLE_1)
	s_and_b32 s9, exec_lo, s12
	s_or_b32 s6, s9, s6
	s_delay_alu instid0(SALU_CYCLE_1)
	s_and_not1_b32 exec_lo, exec_lo, s6
	s_cbranch_execz .LBB49_193
.LBB49_63:                              ; =>This Inner Loop Header: Depth=1
	v_bfe_u32 v3, v0, 5, 25
	v_lshlrev_b64 v[6:7], 3, v[0:1]
	s_mov_b32 s9, exec_lo
	s_delay_alu instid0(VALU_DEP_2) | instskip(NEXT) | instid1(VALU_DEP_1)
	v_mad_u64_u32 v[4:5], null, v9, v3, 0
	v_mov_b32_e32 v2, v5
	s_delay_alu instid0(VALU_DEP_1) | instskip(NEXT) | instid1(VALU_DEP_4)
	v_mad_u64_u32 v[11:12], null, v10, v3, v[2:3]
	v_add_co_u32 v2, vcc_lo, s26, v6
	v_add_co_ci_u32_e32 v3, vcc_lo, s27, v7, vcc_lo
	v_add_co_u32 v6, vcc_lo, s10, v6
	s_delay_alu instid0(VALU_DEP_4)
	v_mov_b32_e32 v5, v11
	v_add_co_ci_u32_e32 v7, vcc_lo, s11, v7, vcc_lo
	global_load_b64 v[2:3], v[2:3], off
	v_lshlrev_b64 v[11:12], 2, v[4:5]
	global_load_b64 v[4:5], v[6:7], off
	v_add_co_u32 v6, vcc_lo, s4, v11
	v_add_co_ci_u32_e32 v7, vcc_lo, s5, v12, vcc_lo
	global_load_b32 v8, v[6:7], off
	s_waitcnt vmcnt(2)
	v_fma_mixlo_f16 v6, v28, v2, 0 op_sel_hi:[0,1,0]
	s_waitcnt vmcnt(1)
	s_delay_alu instid0(VALU_DEP_1) | instskip(NEXT) | instid1(VALU_DEP_1)
	v_mul_f16_e32 v6, v4, v6
	v_cvt_f32_f16_e32 v6, v6
	s_waitcnt vmcnt(0)
	s_delay_alu instid0(VALU_DEP_1) | instskip(SKIP_1) | instid1(VALU_DEP_2)
	v_div_scale_f32 v7, null, v8, v8, v6
	v_div_scale_f32 v13, vcc_lo, v6, v8, v6
	v_rcp_f32_e32 v11, v7
	s_waitcnt_depctr 0xfff
	v_fma_f32 v12, -v7, v11, 1.0
	s_delay_alu instid0(VALU_DEP_1) | instskip(NEXT) | instid1(VALU_DEP_1)
	v_fmac_f32_e32 v11, v12, v11
	v_mul_f32_e32 v12, v13, v11
	s_delay_alu instid0(VALU_DEP_1) | instskip(NEXT) | instid1(VALU_DEP_1)
	v_fma_f32 v14, -v7, v12, v13
	v_fmac_f32_e32 v12, v14, v11
	s_delay_alu instid0(VALU_DEP_1) | instskip(NEXT) | instid1(VALU_DEP_1)
	v_fma_f32 v7, -v7, v12, v13
	v_div_fmas_f32 v7, v7, v11, v12
	s_delay_alu instid0(VALU_DEP_1) | instskip(SKIP_1) | instid1(VALU_DEP_2)
	v_div_fixup_f32 v6, v7, v8, v6
	v_mov_b32_e32 v7, 0x80
	v_minmax_f32 v11, v6, s7, 0xc3600000
	v_mov_b32_e32 v6, 0x80
	s_delay_alu instid0(VALU_DEP_2) | instskip(NEXT) | instid1(VALU_DEP_1)
	v_and_b32_e32 v12, 0x7fffffff, v11
	v_cmpx_gt_u32_e32 0x43800000, v12
	s_cbranch_execz .LBB49_69
; %bb.64:                               ;   in Loop: Header=BB49_63 Depth=1
	v_cmp_lt_u32_e32 vcc_lo, 0x3bffffff, v12
	s_mov_b32 s12, 0
                                        ; implicit-def: $vgpr12
	s_and_saveexec_b32 s13, vcc_lo
	s_delay_alu instid0(SALU_CYCLE_1)
	s_xor_b32 s13, exec_lo, s13
	s_cbranch_execnz .LBB49_160
; %bb.65:                               ;   in Loop: Header=BB49_63 Depth=1
	s_or_saveexec_b32 s13, s13
                                        ; implicit-def: $sgpr14
	s_delay_alu instid0(SALU_CYCLE_1)
	s_xor_b32 exec_lo, exec_lo, s13
	s_cbranch_execnz .LBB49_161
.LBB49_66:                              ;   in Loop: Header=BB49_63 Depth=1
	s_or_b32 exec_lo, exec_lo, s13
	v_mov_b32_e32 v7, s14
	s_and_saveexec_b32 s13, s12
.LBB49_67:                              ;   in Loop: Header=BB49_63 Depth=1
	v_lshrrev_b32_e32 v7, 24, v11
	s_delay_alu instid0(VALU_DEP_1)
	v_and_or_b32 v7, 0x80, v7, v12
.LBB49_68:                              ;   in Loop: Header=BB49_63 Depth=1
	s_or_b32 exec_lo, exec_lo, s13
.LBB49_69:                              ;   in Loop: Header=BB49_63 Depth=1
	s_delay_alu instid0(SALU_CYCLE_1) | instskip(SKIP_3) | instid1(VALU_DEP_1)
	s_or_b32 exec_lo, exec_lo, s9
	v_lshrrev_b32_e32 v4, 16, v4
	v_fma_mixlo_f16 v2, v28, v2, 0 op_sel:[0,1,0] op_sel_hi:[0,1,0]
	s_mov_b32 s9, exec_lo
	v_mul_f16_e32 v2, v4, v2
	s_delay_alu instid0(VALU_DEP_1) | instskip(NEXT) | instid1(VALU_DEP_1)
	v_cvt_f32_f16_e32 v2, v2
	v_div_scale_f32 v4, null, v8, v8, v2
	s_delay_alu instid0(VALU_DEP_1) | instskip(SKIP_2) | instid1(VALU_DEP_1)
	v_rcp_f32_e32 v11, v4
	s_waitcnt_depctr 0xfff
	v_fma_f32 v12, -v4, v11, 1.0
	v_fmac_f32_e32 v11, v12, v11
	v_div_scale_f32 v12, vcc_lo, v2, v8, v2
	s_delay_alu instid0(VALU_DEP_1) | instskip(NEXT) | instid1(VALU_DEP_1)
	v_mul_f32_e32 v13, v12, v11
	v_fma_f32 v14, -v4, v13, v12
	s_delay_alu instid0(VALU_DEP_1) | instskip(NEXT) | instid1(VALU_DEP_1)
	v_fmac_f32_e32 v13, v14, v11
	v_fma_f32 v4, -v4, v13, v12
	s_delay_alu instid0(VALU_DEP_1) | instskip(NEXT) | instid1(VALU_DEP_1)
	v_div_fmas_f32 v4, v4, v11, v13
	v_div_fixup_f32 v2, v4, v8, v2
	s_delay_alu instid0(VALU_DEP_1) | instskip(NEXT) | instid1(VALU_DEP_1)
	v_minmax_f32 v2, v2, s7, 0xc3600000
	v_and_b32_e32 v4, 0x7fffffff, v2
	s_delay_alu instid0(VALU_DEP_1)
	v_cmpx_gt_u32_e32 0x43800000, v4
	s_cbranch_execz .LBB49_75
; %bb.70:                               ;   in Loop: Header=BB49_63 Depth=1
	v_cmp_lt_u32_e32 vcc_lo, 0x3bffffff, v4
	s_mov_b32 s12, 0
                                        ; implicit-def: $vgpr4
	s_and_saveexec_b32 s13, vcc_lo
	s_delay_alu instid0(SALU_CYCLE_1)
	s_xor_b32 s13, exec_lo, s13
	s_cbranch_execnz .LBB49_162
; %bb.71:                               ;   in Loop: Header=BB49_63 Depth=1
	s_or_saveexec_b32 s13, s13
                                        ; implicit-def: $sgpr14
	s_delay_alu instid0(SALU_CYCLE_1)
	s_xor_b32 exec_lo, exec_lo, s13
	s_cbranch_execnz .LBB49_163
.LBB49_72:                              ;   in Loop: Header=BB49_63 Depth=1
	s_or_b32 exec_lo, exec_lo, s13
	v_mov_b32_e32 v6, s14
	s_and_saveexec_b32 s13, s12
.LBB49_73:                              ;   in Loop: Header=BB49_63 Depth=1
	v_lshrrev_b32_e32 v2, 24, v2
	s_delay_alu instid0(VALU_DEP_1)
	v_and_or_b32 v6, 0x80, v2, v4
.LBB49_74:                              ;   in Loop: Header=BB49_63 Depth=1
	s_or_b32 exec_lo, exec_lo, s13
.LBB49_75:                              ;   in Loop: Header=BB49_63 Depth=1
	s_delay_alu instid0(SALU_CYCLE_1) | instskip(SKIP_2) | instid1(VALU_DEP_1)
	s_or_b32 exec_lo, exec_lo, s9
	v_fma_mixlo_f16 v2, v28, v3, 0 op_sel_hi:[0,1,0]
	s_mov_b32 s9, exec_lo
	v_mul_f16_e32 v2, v5, v2
	s_delay_alu instid0(VALU_DEP_1) | instskip(NEXT) | instid1(VALU_DEP_1)
	v_cvt_f32_f16_e32 v2, v2
	v_div_scale_f32 v4, null, v8, v8, v2
	v_div_scale_f32 v13, vcc_lo, v2, v8, v2
	s_delay_alu instid0(VALU_DEP_2) | instskip(SKIP_2) | instid1(VALU_DEP_1)
	v_rcp_f32_e32 v11, v4
	s_waitcnt_depctr 0xfff
	v_fma_f32 v12, -v4, v11, 1.0
	v_fmac_f32_e32 v11, v12, v11
	s_delay_alu instid0(VALU_DEP_1) | instskip(NEXT) | instid1(VALU_DEP_1)
	v_mul_f32_e32 v12, v13, v11
	v_fma_f32 v14, -v4, v12, v13
	s_delay_alu instid0(VALU_DEP_1) | instskip(NEXT) | instid1(VALU_DEP_1)
	v_fmac_f32_e32 v12, v14, v11
	v_fma_f32 v4, -v4, v12, v13
	s_delay_alu instid0(VALU_DEP_1) | instskip(NEXT) | instid1(VALU_DEP_1)
	v_div_fmas_f32 v4, v4, v11, v12
	v_div_fixup_f32 v2, v4, v8, v2
	v_mov_b32_e32 v4, 0x80
	s_delay_alu instid0(VALU_DEP_2) | instskip(SKIP_1) | instid1(VALU_DEP_2)
	v_minmax_f32 v11, v2, s7, 0xc3600000
	v_mov_b32_e32 v2, 0x80
	v_and_b32_e32 v12, 0x7fffffff, v11
	s_delay_alu instid0(VALU_DEP_1)
	v_cmpx_gt_u32_e32 0x43800000, v12
	s_cbranch_execz .LBB49_81
; %bb.76:                               ;   in Loop: Header=BB49_63 Depth=1
	v_cmp_lt_u32_e32 vcc_lo, 0x3bffffff, v12
	s_mov_b32 s12, 0
                                        ; implicit-def: $vgpr12
	s_and_saveexec_b32 s13, vcc_lo
	s_delay_alu instid0(SALU_CYCLE_1)
	s_xor_b32 s13, exec_lo, s13
	s_cbranch_execnz .LBB49_164
; %bb.77:                               ;   in Loop: Header=BB49_63 Depth=1
	s_or_saveexec_b32 s13, s13
                                        ; implicit-def: $sgpr14
	s_delay_alu instid0(SALU_CYCLE_1)
	s_xor_b32 exec_lo, exec_lo, s13
	s_cbranch_execnz .LBB49_165
.LBB49_78:                              ;   in Loop: Header=BB49_63 Depth=1
	s_or_b32 exec_lo, exec_lo, s13
	v_mov_b32_e32 v4, s14
	s_and_saveexec_b32 s13, s12
.LBB49_79:                              ;   in Loop: Header=BB49_63 Depth=1
	v_lshrrev_b32_e32 v4, 24, v11
	s_delay_alu instid0(VALU_DEP_1)
	v_and_or_b32 v4, 0x80, v4, v12
.LBB49_80:                              ;   in Loop: Header=BB49_63 Depth=1
	s_or_b32 exec_lo, exec_lo, s13
.LBB49_81:                              ;   in Loop: Header=BB49_63 Depth=1
	s_delay_alu instid0(SALU_CYCLE_1) | instskip(SKIP_3) | instid1(VALU_DEP_1)
	s_or_b32 exec_lo, exec_lo, s9
	v_lshrrev_b32_e32 v5, 16, v5
	v_fma_mixlo_f16 v3, v28, v3, 0 op_sel:[0,1,0] op_sel_hi:[0,1,0]
	s_mov_b32 s9, exec_lo
	v_mul_f16_e32 v3, v5, v3
	s_delay_alu instid0(VALU_DEP_1) | instskip(NEXT) | instid1(VALU_DEP_1)
	v_cvt_f32_f16_e32 v3, v3
	v_div_scale_f32 v5, null, v8, v8, v3
	s_delay_alu instid0(VALU_DEP_1) | instskip(SKIP_2) | instid1(VALU_DEP_1)
	v_rcp_f32_e32 v11, v5
	s_waitcnt_depctr 0xfff
	v_fma_f32 v12, -v5, v11, 1.0
	v_fmac_f32_e32 v11, v12, v11
	v_div_scale_f32 v12, vcc_lo, v3, v8, v3
	s_delay_alu instid0(VALU_DEP_1) | instskip(NEXT) | instid1(VALU_DEP_1)
	v_mul_f32_e32 v13, v12, v11
	v_fma_f32 v14, -v5, v13, v12
	s_delay_alu instid0(VALU_DEP_1) | instskip(NEXT) | instid1(VALU_DEP_1)
	v_fmac_f32_e32 v13, v14, v11
	v_fma_f32 v5, -v5, v13, v12
	s_delay_alu instid0(VALU_DEP_1) | instskip(NEXT) | instid1(VALU_DEP_1)
	v_div_fmas_f32 v5, v5, v11, v13
	v_div_fixup_f32 v3, v5, v8, v3
	s_delay_alu instid0(VALU_DEP_1) | instskip(NEXT) | instid1(VALU_DEP_1)
	v_minmax_f32 v3, v3, s7, 0xc3600000
	v_and_b32_e32 v5, 0x7fffffff, v3
	s_delay_alu instid0(VALU_DEP_1)
	v_cmpx_gt_u32_e32 0x43800000, v5
	s_cbranch_execz .LBB49_87
; %bb.82:                               ;   in Loop: Header=BB49_63 Depth=1
	v_cmp_lt_u32_e32 vcc_lo, 0x3bffffff, v5
	s_mov_b32 s12, 0
                                        ; implicit-def: $vgpr5
	s_and_saveexec_b32 s13, vcc_lo
	s_delay_alu instid0(SALU_CYCLE_1)
	s_xor_b32 s13, exec_lo, s13
	s_cbranch_execnz .LBB49_166
; %bb.83:                               ;   in Loop: Header=BB49_63 Depth=1
	s_or_saveexec_b32 s13, s13
                                        ; implicit-def: $sgpr14
	s_delay_alu instid0(SALU_CYCLE_1)
	s_xor_b32 exec_lo, exec_lo, s13
	s_cbranch_execnz .LBB49_167
.LBB49_84:                              ;   in Loop: Header=BB49_63 Depth=1
	s_or_b32 exec_lo, exec_lo, s13
	v_mov_b32_e32 v2, s14
	s_and_saveexec_b32 s13, s12
.LBB49_85:                              ;   in Loop: Header=BB49_63 Depth=1
	v_lshrrev_b32_e32 v2, 24, v3
	s_delay_alu instid0(VALU_DEP_1)
	v_and_or_b32 v2, 0x80, v2, v5
.LBB49_86:                              ;   in Loop: Header=BB49_63 Depth=1
	s_or_b32 exec_lo, exec_lo, s13
.LBB49_87:                              ;   in Loop: Header=BB49_63 Depth=1
	s_delay_alu instid0(SALU_CYCLE_1)
	s_or_b32 exec_lo, exec_lo, s9
	v_lshlrev_b32_e32 v5, 16, v4
	v_lshlrev_b32_e32 v6, 8, v6
	v_lshlrev_b64 v[3:4], 2, v[0:1]
	v_and_b32_e32 v7, 0xff, v7
	s_mov_b32 s12, -1
	v_perm_b32 v5, v2, v5, 0x4020c0c
	v_and_b32_e32 v6, 0xff00, v6
	v_add_nc_u32_e32 v2, s28, v0
	v_add_co_u32 v3, vcc_lo, s0, v3
	v_add_co_ci_u32_e32 v4, vcc_lo, s1, v4, vcc_lo
	s_delay_alu instid0(VALU_DEP_4)
	v_or3_b32 v5, v5, v6, v7
	s_mov_b32 s9, exec_lo
	global_store_b32 v[3:4], v5, off
	v_cmpx_gt_u32_e64 s8, v2
	s_cbranch_execz .LBB49_62
; %bb.88:                               ;   in Loop: Header=BB49_63 Depth=1
	v_bfe_u32 v5, v2, 5, 25
	s_mov_b32 s12, exec_lo
	s_delay_alu instid0(VALU_DEP_1) | instskip(NEXT) | instid1(VALU_DEP_1)
	v_mad_u64_u32 v[6:7], null, v9, v5, 0
	v_dual_mov_b32 v3, v1 :: v_dual_mov_b32 v4, v7
	s_delay_alu instid0(VALU_DEP_1) | instskip(NEXT) | instid1(VALU_DEP_2)
	v_lshlrev_b64 v[11:12], 3, v[2:3]
	v_mad_u64_u32 v[7:8], null, v10, v5, v[4:5]
	s_delay_alu instid0(VALU_DEP_2) | instskip(NEXT) | instid1(VALU_DEP_3)
	v_add_co_u32 v4, vcc_lo, s26, v11
	v_add_co_ci_u32_e32 v5, vcc_lo, s27, v12, vcc_lo
	v_add_co_u32 v11, vcc_lo, s10, v11
	v_add_co_ci_u32_e32 v12, vcc_lo, s11, v12, vcc_lo
	global_load_b64 v[4:5], v[4:5], off
	v_lshlrev_b64 v[13:14], 2, v[6:7]
	global_load_b64 v[6:7], v[11:12], off
	v_add_co_u32 v11, vcc_lo, s4, v13
	v_add_co_ci_u32_e32 v12, vcc_lo, s5, v14, vcc_lo
	global_load_b32 v12, v[11:12], off
	s_waitcnt vmcnt(2)
	v_fma_mixlo_f16 v8, v28, v4, 0 op_sel_hi:[0,1,0]
	s_waitcnt vmcnt(1)
	s_delay_alu instid0(VALU_DEP_1) | instskip(NEXT) | instid1(VALU_DEP_1)
	v_mul_f16_e32 v8, v6, v8
	v_cvt_f32_f16_e32 v8, v8
	s_waitcnt vmcnt(0)
	s_delay_alu instid0(VALU_DEP_1) | instskip(SKIP_1) | instid1(VALU_DEP_2)
	v_div_scale_f32 v11, null, v12, v12, v8
	v_div_scale_f32 v15, vcc_lo, v8, v12, v8
	v_rcp_f32_e32 v13, v11
	s_waitcnt_depctr 0xfff
	v_fma_f32 v14, -v11, v13, 1.0
	s_delay_alu instid0(VALU_DEP_1) | instskip(NEXT) | instid1(VALU_DEP_1)
	v_fmac_f32_e32 v13, v14, v13
	v_mul_f32_e32 v14, v15, v13
	s_delay_alu instid0(VALU_DEP_1) | instskip(NEXT) | instid1(VALU_DEP_1)
	v_fma_f32 v16, -v11, v14, v15
	v_fmac_f32_e32 v14, v16, v13
	s_delay_alu instid0(VALU_DEP_1) | instskip(NEXT) | instid1(VALU_DEP_1)
	v_fma_f32 v11, -v11, v14, v15
	v_div_fmas_f32 v11, v11, v13, v14
	s_delay_alu instid0(VALU_DEP_1) | instskip(SKIP_1) | instid1(VALU_DEP_2)
	v_div_fixup_f32 v8, v11, v12, v8
	v_mov_b32_e32 v11, 0x80
	v_minmax_f32 v13, v8, s7, 0xc3600000
	v_mov_b32_e32 v8, 0x80
	s_delay_alu instid0(VALU_DEP_2) | instskip(NEXT) | instid1(VALU_DEP_1)
	v_and_b32_e32 v14, 0x7fffffff, v13
	v_cmpx_gt_u32_e32 0x43800000, v14
	s_cbranch_execz .LBB49_94
; %bb.89:                               ;   in Loop: Header=BB49_63 Depth=1
	v_cmp_lt_u32_e32 vcc_lo, 0x3bffffff, v14
	s_mov_b32 s13, 0
                                        ; implicit-def: $vgpr14
	s_and_saveexec_b32 s14, vcc_lo
	s_delay_alu instid0(SALU_CYCLE_1)
	s_xor_b32 s14, exec_lo, s14
	s_cbranch_execnz .LBB49_168
; %bb.90:                               ;   in Loop: Header=BB49_63 Depth=1
	s_or_saveexec_b32 s14, s14
                                        ; implicit-def: $sgpr15
	s_delay_alu instid0(SALU_CYCLE_1)
	s_xor_b32 exec_lo, exec_lo, s14
	s_cbranch_execnz .LBB49_169
.LBB49_91:                              ;   in Loop: Header=BB49_63 Depth=1
	s_or_b32 exec_lo, exec_lo, s14
	v_mov_b32_e32 v8, s15
	s_and_saveexec_b32 s14, s13
.LBB49_92:                              ;   in Loop: Header=BB49_63 Depth=1
	v_lshrrev_b32_e32 v8, 24, v13
	s_delay_alu instid0(VALU_DEP_1)
	v_and_or_b32 v8, 0x80, v8, v14
.LBB49_93:                              ;   in Loop: Header=BB49_63 Depth=1
	s_or_b32 exec_lo, exec_lo, s14
.LBB49_94:                              ;   in Loop: Header=BB49_63 Depth=1
	s_delay_alu instid0(SALU_CYCLE_1) | instskip(SKIP_3) | instid1(VALU_DEP_1)
	s_or_b32 exec_lo, exec_lo, s12
	v_lshrrev_b32_e32 v6, 16, v6
	v_fma_mixlo_f16 v4, v28, v4, 0 op_sel:[0,1,0] op_sel_hi:[0,1,0]
	s_mov_b32 s12, exec_lo
	v_mul_f16_e32 v4, v6, v4
	s_delay_alu instid0(VALU_DEP_1) | instskip(NEXT) | instid1(VALU_DEP_1)
	v_cvt_f32_f16_e32 v4, v4
	v_div_scale_f32 v6, null, v12, v12, v4
	s_delay_alu instid0(VALU_DEP_1) | instskip(SKIP_2) | instid1(VALU_DEP_1)
	v_rcp_f32_e32 v13, v6
	s_waitcnt_depctr 0xfff
	v_fma_f32 v14, -v6, v13, 1.0
	v_fmac_f32_e32 v13, v14, v13
	v_div_scale_f32 v14, vcc_lo, v4, v12, v4
	s_delay_alu instid0(VALU_DEP_1) | instskip(NEXT) | instid1(VALU_DEP_1)
	v_mul_f32_e32 v15, v14, v13
	v_fma_f32 v16, -v6, v15, v14
	s_delay_alu instid0(VALU_DEP_1) | instskip(NEXT) | instid1(VALU_DEP_1)
	v_fmac_f32_e32 v15, v16, v13
	v_fma_f32 v6, -v6, v15, v14
	s_delay_alu instid0(VALU_DEP_1) | instskip(NEXT) | instid1(VALU_DEP_1)
	v_div_fmas_f32 v6, v6, v13, v15
	v_div_fixup_f32 v4, v6, v12, v4
	s_delay_alu instid0(VALU_DEP_1) | instskip(NEXT) | instid1(VALU_DEP_1)
	v_minmax_f32 v4, v4, s7, 0xc3600000
	v_and_b32_e32 v6, 0x7fffffff, v4
	s_delay_alu instid0(VALU_DEP_1)
	v_cmpx_gt_u32_e32 0x43800000, v6
	s_cbranch_execz .LBB49_100
; %bb.95:                               ;   in Loop: Header=BB49_63 Depth=1
	v_cmp_lt_u32_e32 vcc_lo, 0x3bffffff, v6
	s_mov_b32 s13, 0
                                        ; implicit-def: $vgpr6
	s_and_saveexec_b32 s14, vcc_lo
	s_delay_alu instid0(SALU_CYCLE_1)
	s_xor_b32 s14, exec_lo, s14
	s_cbranch_execnz .LBB49_170
; %bb.96:                               ;   in Loop: Header=BB49_63 Depth=1
	s_or_saveexec_b32 s14, s14
                                        ; implicit-def: $sgpr15
	s_delay_alu instid0(SALU_CYCLE_1)
	s_xor_b32 exec_lo, exec_lo, s14
	s_cbranch_execnz .LBB49_171
.LBB49_97:                              ;   in Loop: Header=BB49_63 Depth=1
	s_or_b32 exec_lo, exec_lo, s14
	v_mov_b32_e32 v11, s15
	s_and_saveexec_b32 s14, s13
.LBB49_98:                              ;   in Loop: Header=BB49_63 Depth=1
	v_lshrrev_b32_e32 v4, 24, v4
	s_delay_alu instid0(VALU_DEP_1)
	v_and_or_b32 v11, 0x80, v4, v6
.LBB49_99:                              ;   in Loop: Header=BB49_63 Depth=1
	s_or_b32 exec_lo, exec_lo, s14
.LBB49_100:                             ;   in Loop: Header=BB49_63 Depth=1
	s_delay_alu instid0(SALU_CYCLE_1) | instskip(SKIP_2) | instid1(VALU_DEP_1)
	s_or_b32 exec_lo, exec_lo, s12
	v_fma_mixlo_f16 v4, v28, v5, 0 op_sel_hi:[0,1,0]
	s_mov_b32 s12, exec_lo
	v_mul_f16_e32 v4, v7, v4
	s_delay_alu instid0(VALU_DEP_1) | instskip(NEXT) | instid1(VALU_DEP_1)
	v_cvt_f32_f16_e32 v4, v4
	v_div_scale_f32 v6, null, v12, v12, v4
	v_div_scale_f32 v15, vcc_lo, v4, v12, v4
	s_delay_alu instid0(VALU_DEP_2) | instskip(SKIP_2) | instid1(VALU_DEP_1)
	v_rcp_f32_e32 v13, v6
	s_waitcnt_depctr 0xfff
	v_fma_f32 v14, -v6, v13, 1.0
	v_fmac_f32_e32 v13, v14, v13
	s_delay_alu instid0(VALU_DEP_1) | instskip(NEXT) | instid1(VALU_DEP_1)
	v_mul_f32_e32 v14, v15, v13
	v_fma_f32 v16, -v6, v14, v15
	s_delay_alu instid0(VALU_DEP_1) | instskip(NEXT) | instid1(VALU_DEP_1)
	v_fmac_f32_e32 v14, v16, v13
	v_fma_f32 v6, -v6, v14, v15
	s_delay_alu instid0(VALU_DEP_1) | instskip(NEXT) | instid1(VALU_DEP_1)
	v_div_fmas_f32 v6, v6, v13, v14
	v_div_fixup_f32 v4, v6, v12, v4
	v_mov_b32_e32 v6, 0x80
	s_delay_alu instid0(VALU_DEP_2) | instskip(SKIP_1) | instid1(VALU_DEP_2)
	v_minmax_f32 v13, v4, s7, 0xc3600000
	v_mov_b32_e32 v4, 0x80
	v_and_b32_e32 v14, 0x7fffffff, v13
	s_delay_alu instid0(VALU_DEP_1)
	v_cmpx_gt_u32_e32 0x43800000, v14
	s_cbranch_execz .LBB49_106
; %bb.101:                              ;   in Loop: Header=BB49_63 Depth=1
	v_cmp_lt_u32_e32 vcc_lo, 0x3bffffff, v14
	s_mov_b32 s13, 0
                                        ; implicit-def: $vgpr14
	s_and_saveexec_b32 s14, vcc_lo
	s_delay_alu instid0(SALU_CYCLE_1)
	s_xor_b32 s14, exec_lo, s14
	s_cbranch_execnz .LBB49_172
; %bb.102:                              ;   in Loop: Header=BB49_63 Depth=1
	s_or_saveexec_b32 s14, s14
                                        ; implicit-def: $sgpr15
	s_delay_alu instid0(SALU_CYCLE_1)
	s_xor_b32 exec_lo, exec_lo, s14
	s_cbranch_execnz .LBB49_173
.LBB49_103:                             ;   in Loop: Header=BB49_63 Depth=1
	s_or_b32 exec_lo, exec_lo, s14
	v_mov_b32_e32 v6, s15
	s_and_saveexec_b32 s14, s13
.LBB49_104:                             ;   in Loop: Header=BB49_63 Depth=1
	v_lshrrev_b32_e32 v6, 24, v13
	s_delay_alu instid0(VALU_DEP_1)
	v_and_or_b32 v6, 0x80, v6, v14
.LBB49_105:                             ;   in Loop: Header=BB49_63 Depth=1
	s_or_b32 exec_lo, exec_lo, s14
.LBB49_106:                             ;   in Loop: Header=BB49_63 Depth=1
	s_delay_alu instid0(SALU_CYCLE_1) | instskip(SKIP_3) | instid1(VALU_DEP_1)
	s_or_b32 exec_lo, exec_lo, s12
	v_lshrrev_b32_e32 v7, 16, v7
	v_fma_mixlo_f16 v5, v28, v5, 0 op_sel:[0,1,0] op_sel_hi:[0,1,0]
	s_mov_b32 s12, exec_lo
	v_mul_f16_e32 v5, v7, v5
	s_delay_alu instid0(VALU_DEP_1) | instskip(NEXT) | instid1(VALU_DEP_1)
	v_cvt_f32_f16_e32 v5, v5
	v_div_scale_f32 v7, null, v12, v12, v5
	s_delay_alu instid0(VALU_DEP_1) | instskip(SKIP_2) | instid1(VALU_DEP_1)
	v_rcp_f32_e32 v13, v7
	s_waitcnt_depctr 0xfff
	v_fma_f32 v14, -v7, v13, 1.0
	v_fmac_f32_e32 v13, v14, v13
	v_div_scale_f32 v14, vcc_lo, v5, v12, v5
	s_delay_alu instid0(VALU_DEP_1) | instskip(NEXT) | instid1(VALU_DEP_1)
	v_mul_f32_e32 v15, v14, v13
	v_fma_f32 v16, -v7, v15, v14
	s_delay_alu instid0(VALU_DEP_1) | instskip(NEXT) | instid1(VALU_DEP_1)
	v_fmac_f32_e32 v15, v16, v13
	v_fma_f32 v7, -v7, v15, v14
	s_delay_alu instid0(VALU_DEP_1) | instskip(NEXT) | instid1(VALU_DEP_1)
	v_div_fmas_f32 v7, v7, v13, v15
	v_div_fixup_f32 v5, v7, v12, v5
	s_delay_alu instid0(VALU_DEP_1) | instskip(NEXT) | instid1(VALU_DEP_1)
	v_minmax_f32 v5, v5, s7, 0xc3600000
	v_and_b32_e32 v7, 0x7fffffff, v5
	s_delay_alu instid0(VALU_DEP_1)
	v_cmpx_gt_u32_e32 0x43800000, v7
	s_cbranch_execz .LBB49_112
; %bb.107:                              ;   in Loop: Header=BB49_63 Depth=1
	v_cmp_lt_u32_e32 vcc_lo, 0x3bffffff, v7
	s_mov_b32 s13, 0
                                        ; implicit-def: $vgpr7
	s_and_saveexec_b32 s14, vcc_lo
	s_delay_alu instid0(SALU_CYCLE_1)
	s_xor_b32 s14, exec_lo, s14
	s_cbranch_execnz .LBB49_174
; %bb.108:                              ;   in Loop: Header=BB49_63 Depth=1
	s_or_saveexec_b32 s14, s14
                                        ; implicit-def: $sgpr15
	s_delay_alu instid0(SALU_CYCLE_1)
	s_xor_b32 exec_lo, exec_lo, s14
	s_cbranch_execnz .LBB49_175
.LBB49_109:                             ;   in Loop: Header=BB49_63 Depth=1
	s_or_b32 exec_lo, exec_lo, s14
	v_mov_b32_e32 v4, s15
	s_and_saveexec_b32 s14, s13
.LBB49_110:                             ;   in Loop: Header=BB49_63 Depth=1
	v_lshrrev_b32_e32 v4, 24, v5
	s_delay_alu instid0(VALU_DEP_1)
	v_and_or_b32 v4, 0x80, v4, v7
.LBB49_111:                             ;   in Loop: Header=BB49_63 Depth=1
	s_or_b32 exec_lo, exec_lo, s14
.LBB49_112:                             ;   in Loop: Header=BB49_63 Depth=1
	s_delay_alu instid0(SALU_CYCLE_1)
	s_or_b32 exec_lo, exec_lo, s12
	v_lshlrev_b32_e32 v7, 16, v6
	v_lshlrev_b32_e32 v11, 8, v11
	v_lshlrev_b64 v[5:6], 2, v[2:3]
	v_and_b32_e32 v8, 0xff, v8
	v_add_nc_u32_e32 v3, s3, v0
	v_perm_b32 v7, v4, v7, 0x4020c0c
	v_and_b32_e32 v11, 0xff00, v11
	s_mov_b32 s13, -1
	v_add_co_u32 v4, vcc_lo, s0, v5
	v_add_co_ci_u32_e32 v5, vcc_lo, s1, v6, vcc_lo
	s_delay_alu instid0(VALU_DEP_3)
	v_or3_b32 v6, v7, v11, v8
	s_mov_b32 s12, exec_lo
	global_store_b32 v[4:5], v6, off
	v_cmpx_gt_u32_e64 s8, v3
	s_cbranch_execz .LBB49_61
; %bb.113:                              ;   in Loop: Header=BB49_63 Depth=1
	v_bfe_u32 v6, v3, 5, 25
	s_mov_b32 s13, exec_lo
	s_delay_alu instid0(VALU_DEP_1) | instskip(NEXT) | instid1(VALU_DEP_1)
	v_mad_u64_u32 v[7:8], null, v9, v6, 0
	v_dual_mov_b32 v4, v1 :: v_dual_mov_b32 v5, v8
	s_delay_alu instid0(VALU_DEP_1) | instskip(NEXT) | instid1(VALU_DEP_2)
	v_lshlrev_b64 v[11:12], 3, v[3:4]
	v_mad_u64_u32 v[13:14], null, v10, v6, v[5:6]
	s_delay_alu instid0(VALU_DEP_2) | instskip(NEXT) | instid1(VALU_DEP_3)
	v_add_co_u32 v5, vcc_lo, s26, v11
	v_add_co_ci_u32_e32 v6, vcc_lo, s27, v12, vcc_lo
	v_add_co_u32 v11, vcc_lo, s10, v11
	s_delay_alu instid0(VALU_DEP_4)
	v_mov_b32_e32 v8, v13
	v_add_co_ci_u32_e32 v12, vcc_lo, s11, v12, vcc_lo
	global_load_b64 v[5:6], v[5:6], off
	v_lshlrev_b64 v[13:14], 2, v[7:8]
	global_load_b64 v[7:8], v[11:12], off
	v_add_co_u32 v11, vcc_lo, s4, v13
	v_add_co_ci_u32_e32 v12, vcc_lo, s5, v14, vcc_lo
	global_load_b32 v13, v[11:12], off
	s_waitcnt vmcnt(2)
	v_fma_mixlo_f16 v11, v28, v5, 0 op_sel_hi:[0,1,0]
	s_waitcnt vmcnt(1)
	s_delay_alu instid0(VALU_DEP_1) | instskip(NEXT) | instid1(VALU_DEP_1)
	v_mul_f16_e32 v11, v7, v11
	v_cvt_f32_f16_e32 v11, v11
	s_waitcnt vmcnt(0)
	s_delay_alu instid0(VALU_DEP_1) | instskip(SKIP_1) | instid1(VALU_DEP_2)
	v_div_scale_f32 v12, null, v13, v13, v11
	v_div_scale_f32 v16, vcc_lo, v11, v13, v11
	v_rcp_f32_e32 v14, v12
	s_waitcnt_depctr 0xfff
	v_fma_f32 v15, -v12, v14, 1.0
	s_delay_alu instid0(VALU_DEP_1) | instskip(NEXT) | instid1(VALU_DEP_1)
	v_fmac_f32_e32 v14, v15, v14
	v_mul_f32_e32 v15, v16, v14
	s_delay_alu instid0(VALU_DEP_1) | instskip(NEXT) | instid1(VALU_DEP_1)
	v_fma_f32 v17, -v12, v15, v16
	v_fmac_f32_e32 v15, v17, v14
	s_delay_alu instid0(VALU_DEP_1) | instskip(NEXT) | instid1(VALU_DEP_1)
	v_fma_f32 v12, -v12, v15, v16
	v_div_fmas_f32 v12, v12, v14, v15
	s_delay_alu instid0(VALU_DEP_1) | instskip(SKIP_1) | instid1(VALU_DEP_2)
	v_div_fixup_f32 v11, v12, v13, v11
	v_mov_b32_e32 v12, 0x80
	v_minmax_f32 v14, v11, s7, 0xc3600000
	v_mov_b32_e32 v11, 0x80
	s_delay_alu instid0(VALU_DEP_2) | instskip(NEXT) | instid1(VALU_DEP_1)
	v_and_b32_e32 v15, 0x7fffffff, v14
	v_cmpx_gt_u32_e32 0x43800000, v15
	s_cbranch_execz .LBB49_119
; %bb.114:                              ;   in Loop: Header=BB49_63 Depth=1
	v_cmp_lt_u32_e32 vcc_lo, 0x3bffffff, v15
	s_mov_b32 s14, 0
                                        ; implicit-def: $vgpr15
	s_and_saveexec_b32 s15, vcc_lo
	s_delay_alu instid0(SALU_CYCLE_1)
	s_xor_b32 s15, exec_lo, s15
	s_cbranch_execnz .LBB49_176
; %bb.115:                              ;   in Loop: Header=BB49_63 Depth=1
	s_or_saveexec_b32 s15, s15
                                        ; implicit-def: $sgpr16
	s_delay_alu instid0(SALU_CYCLE_1)
	s_xor_b32 exec_lo, exec_lo, s15
	s_cbranch_execnz .LBB49_177
.LBB49_116:                             ;   in Loop: Header=BB49_63 Depth=1
	s_or_b32 exec_lo, exec_lo, s15
	v_mov_b32_e32 v11, s16
	s_and_saveexec_b32 s15, s14
.LBB49_117:                             ;   in Loop: Header=BB49_63 Depth=1
	v_lshrrev_b32_e32 v11, 24, v14
	s_delay_alu instid0(VALU_DEP_1)
	v_and_or_b32 v11, 0x80, v11, v15
.LBB49_118:                             ;   in Loop: Header=BB49_63 Depth=1
	s_or_b32 exec_lo, exec_lo, s15
.LBB49_119:                             ;   in Loop: Header=BB49_63 Depth=1
	s_delay_alu instid0(SALU_CYCLE_1) | instskip(SKIP_3) | instid1(VALU_DEP_1)
	s_or_b32 exec_lo, exec_lo, s13
	v_lshrrev_b32_e32 v7, 16, v7
	v_fma_mixlo_f16 v5, v28, v5, 0 op_sel:[0,1,0] op_sel_hi:[0,1,0]
	s_mov_b32 s13, exec_lo
	v_mul_f16_e32 v5, v7, v5
	s_delay_alu instid0(VALU_DEP_1) | instskip(NEXT) | instid1(VALU_DEP_1)
	v_cvt_f32_f16_e32 v5, v5
	v_div_scale_f32 v7, null, v13, v13, v5
	s_delay_alu instid0(VALU_DEP_1) | instskip(SKIP_2) | instid1(VALU_DEP_1)
	v_rcp_f32_e32 v14, v7
	s_waitcnt_depctr 0xfff
	v_fma_f32 v15, -v7, v14, 1.0
	v_fmac_f32_e32 v14, v15, v14
	v_div_scale_f32 v15, vcc_lo, v5, v13, v5
	s_delay_alu instid0(VALU_DEP_1) | instskip(NEXT) | instid1(VALU_DEP_1)
	v_mul_f32_e32 v16, v15, v14
	v_fma_f32 v17, -v7, v16, v15
	s_delay_alu instid0(VALU_DEP_1) | instskip(NEXT) | instid1(VALU_DEP_1)
	v_fmac_f32_e32 v16, v17, v14
	v_fma_f32 v7, -v7, v16, v15
	s_delay_alu instid0(VALU_DEP_1) | instskip(NEXT) | instid1(VALU_DEP_1)
	v_div_fmas_f32 v7, v7, v14, v16
	v_div_fixup_f32 v5, v7, v13, v5
	s_delay_alu instid0(VALU_DEP_1) | instskip(NEXT) | instid1(VALU_DEP_1)
	v_minmax_f32 v5, v5, s7, 0xc3600000
	v_and_b32_e32 v7, 0x7fffffff, v5
	s_delay_alu instid0(VALU_DEP_1)
	v_cmpx_gt_u32_e32 0x43800000, v7
	s_cbranch_execz .LBB49_125
; %bb.120:                              ;   in Loop: Header=BB49_63 Depth=1
	v_cmp_lt_u32_e32 vcc_lo, 0x3bffffff, v7
	s_mov_b32 s14, 0
                                        ; implicit-def: $vgpr7
	s_and_saveexec_b32 s15, vcc_lo
	s_delay_alu instid0(SALU_CYCLE_1)
	s_xor_b32 s15, exec_lo, s15
	s_cbranch_execnz .LBB49_178
; %bb.121:                              ;   in Loop: Header=BB49_63 Depth=1
	s_or_saveexec_b32 s15, s15
                                        ; implicit-def: $sgpr16
	s_delay_alu instid0(SALU_CYCLE_1)
	s_xor_b32 exec_lo, exec_lo, s15
	s_cbranch_execnz .LBB49_179
.LBB49_122:                             ;   in Loop: Header=BB49_63 Depth=1
	s_or_b32 exec_lo, exec_lo, s15
	v_mov_b32_e32 v12, s16
	s_and_saveexec_b32 s15, s14
.LBB49_123:                             ;   in Loop: Header=BB49_63 Depth=1
	v_lshrrev_b32_e32 v5, 24, v5
	s_delay_alu instid0(VALU_DEP_1)
	v_and_or_b32 v12, 0x80, v5, v7
.LBB49_124:                             ;   in Loop: Header=BB49_63 Depth=1
	s_or_b32 exec_lo, exec_lo, s15
.LBB49_125:                             ;   in Loop: Header=BB49_63 Depth=1
	s_delay_alu instid0(SALU_CYCLE_1) | instskip(SKIP_2) | instid1(VALU_DEP_1)
	s_or_b32 exec_lo, exec_lo, s13
	v_fma_mixlo_f16 v5, v28, v6, 0 op_sel_hi:[0,1,0]
	s_mov_b32 s13, exec_lo
	v_mul_f16_e32 v5, v8, v5
	s_delay_alu instid0(VALU_DEP_1) | instskip(NEXT) | instid1(VALU_DEP_1)
	v_cvt_f32_f16_e32 v5, v5
	v_div_scale_f32 v7, null, v13, v13, v5
	v_div_scale_f32 v16, vcc_lo, v5, v13, v5
	s_delay_alu instid0(VALU_DEP_2) | instskip(SKIP_2) | instid1(VALU_DEP_1)
	v_rcp_f32_e32 v14, v7
	s_waitcnt_depctr 0xfff
	v_fma_f32 v15, -v7, v14, 1.0
	v_fmac_f32_e32 v14, v15, v14
	s_delay_alu instid0(VALU_DEP_1) | instskip(NEXT) | instid1(VALU_DEP_1)
	v_mul_f32_e32 v15, v16, v14
	v_fma_f32 v17, -v7, v15, v16
	s_delay_alu instid0(VALU_DEP_1) | instskip(NEXT) | instid1(VALU_DEP_1)
	v_fmac_f32_e32 v15, v17, v14
	v_fma_f32 v7, -v7, v15, v16
	s_delay_alu instid0(VALU_DEP_1) | instskip(NEXT) | instid1(VALU_DEP_1)
	v_div_fmas_f32 v7, v7, v14, v15
	v_div_fixup_f32 v5, v7, v13, v5
	v_mov_b32_e32 v7, 0x80
	s_delay_alu instid0(VALU_DEP_2) | instskip(SKIP_1) | instid1(VALU_DEP_2)
	v_minmax_f32 v14, v5, s7, 0xc3600000
	v_mov_b32_e32 v5, 0x80
	v_and_b32_e32 v15, 0x7fffffff, v14
	s_delay_alu instid0(VALU_DEP_1)
	v_cmpx_gt_u32_e32 0x43800000, v15
	s_cbranch_execz .LBB49_131
; %bb.126:                              ;   in Loop: Header=BB49_63 Depth=1
	v_cmp_lt_u32_e32 vcc_lo, 0x3bffffff, v15
	s_mov_b32 s14, 0
                                        ; implicit-def: $vgpr15
	s_and_saveexec_b32 s15, vcc_lo
	s_delay_alu instid0(SALU_CYCLE_1)
	s_xor_b32 s15, exec_lo, s15
	s_cbranch_execnz .LBB49_180
; %bb.127:                              ;   in Loop: Header=BB49_63 Depth=1
	s_or_saveexec_b32 s15, s15
                                        ; implicit-def: $sgpr16
	s_delay_alu instid0(SALU_CYCLE_1)
	s_xor_b32 exec_lo, exec_lo, s15
	s_cbranch_execnz .LBB49_181
.LBB49_128:                             ;   in Loop: Header=BB49_63 Depth=1
	s_or_b32 exec_lo, exec_lo, s15
	v_mov_b32_e32 v7, s16
	s_and_saveexec_b32 s15, s14
.LBB49_129:                             ;   in Loop: Header=BB49_63 Depth=1
	v_lshrrev_b32_e32 v7, 24, v14
	s_delay_alu instid0(VALU_DEP_1)
	v_and_or_b32 v7, 0x80, v7, v15
.LBB49_130:                             ;   in Loop: Header=BB49_63 Depth=1
	s_or_b32 exec_lo, exec_lo, s15
.LBB49_131:                             ;   in Loop: Header=BB49_63 Depth=1
	s_delay_alu instid0(SALU_CYCLE_1) | instskip(SKIP_3) | instid1(VALU_DEP_1)
	s_or_b32 exec_lo, exec_lo, s13
	v_lshrrev_b32_e32 v8, 16, v8
	v_fma_mixlo_f16 v6, v28, v6, 0 op_sel:[0,1,0] op_sel_hi:[0,1,0]
	s_mov_b32 s13, exec_lo
	v_mul_f16_e32 v6, v8, v6
	s_delay_alu instid0(VALU_DEP_1) | instskip(NEXT) | instid1(VALU_DEP_1)
	v_cvt_f32_f16_e32 v6, v6
	v_div_scale_f32 v8, null, v13, v13, v6
	s_delay_alu instid0(VALU_DEP_1) | instskip(SKIP_2) | instid1(VALU_DEP_1)
	v_rcp_f32_e32 v14, v8
	s_waitcnt_depctr 0xfff
	v_fma_f32 v15, -v8, v14, 1.0
	v_fmac_f32_e32 v14, v15, v14
	v_div_scale_f32 v15, vcc_lo, v6, v13, v6
	s_delay_alu instid0(VALU_DEP_1) | instskip(NEXT) | instid1(VALU_DEP_1)
	v_mul_f32_e32 v16, v15, v14
	v_fma_f32 v17, -v8, v16, v15
	s_delay_alu instid0(VALU_DEP_1) | instskip(NEXT) | instid1(VALU_DEP_1)
	v_fmac_f32_e32 v16, v17, v14
	v_fma_f32 v8, -v8, v16, v15
	s_delay_alu instid0(VALU_DEP_1) | instskip(NEXT) | instid1(VALU_DEP_1)
	v_div_fmas_f32 v8, v8, v14, v16
	v_div_fixup_f32 v6, v8, v13, v6
	s_delay_alu instid0(VALU_DEP_1) | instskip(NEXT) | instid1(VALU_DEP_1)
	v_minmax_f32 v6, v6, s7, 0xc3600000
	v_and_b32_e32 v8, 0x7fffffff, v6
	s_delay_alu instid0(VALU_DEP_1)
	v_cmpx_gt_u32_e32 0x43800000, v8
	s_cbranch_execz .LBB49_137
; %bb.132:                              ;   in Loop: Header=BB49_63 Depth=1
	v_cmp_lt_u32_e32 vcc_lo, 0x3bffffff, v8
	s_mov_b32 s14, 0
                                        ; implicit-def: $vgpr8
	s_and_saveexec_b32 s15, vcc_lo
	s_delay_alu instid0(SALU_CYCLE_1)
	s_xor_b32 s15, exec_lo, s15
	s_cbranch_execnz .LBB49_182
; %bb.133:                              ;   in Loop: Header=BB49_63 Depth=1
	s_or_saveexec_b32 s15, s15
                                        ; implicit-def: $sgpr16
	s_delay_alu instid0(SALU_CYCLE_1)
	s_xor_b32 exec_lo, exec_lo, s15
	s_cbranch_execnz .LBB49_183
.LBB49_134:                             ;   in Loop: Header=BB49_63 Depth=1
	s_or_b32 exec_lo, exec_lo, s15
	v_mov_b32_e32 v5, s16
	s_and_saveexec_b32 s15, s14
.LBB49_135:                             ;   in Loop: Header=BB49_63 Depth=1
	v_lshrrev_b32_e32 v5, 24, v6
	s_delay_alu instid0(VALU_DEP_1)
	v_and_or_b32 v5, 0x80, v5, v8
.LBB49_136:                             ;   in Loop: Header=BB49_63 Depth=1
	s_or_b32 exec_lo, exec_lo, s15
.LBB49_137:                             ;   in Loop: Header=BB49_63 Depth=1
	s_delay_alu instid0(SALU_CYCLE_1)
	s_or_b32 exec_lo, exec_lo, s13
	v_lshlrev_b32_e32 v6, 16, v7
	v_lshlrev_b32_e32 v7, 8, v12
	v_lshlrev_b64 v[3:4], 2, v[3:4]
	v_and_b32_e32 v8, 0xff, v11
	v_add_nc_u32_e32 v0, s2, v0
	v_perm_b32 v5, v5, v6, 0x4020c0c
	v_and_b32_e32 v6, 0xff00, v7
	s_mov_b32 s14, -1
	v_add_co_u32 v3, vcc_lo, s0, v3
	v_add_co_ci_u32_e32 v4, vcc_lo, s1, v4, vcc_lo
	s_delay_alu instid0(VALU_DEP_3)
	v_or3_b32 v5, v5, v6, v8
	s_mov_b32 s13, exec_lo
	global_store_b32 v[3:4], v5, off
	v_cmpx_gt_u32_e64 s8, v0
	s_cbranch_execz .LBB49_60
; %bb.138:                              ;   in Loop: Header=BB49_63 Depth=1
	v_bfe_u32 v4, v0, 5, 25
	v_lshlrev_b64 v[7:8], 3, v[0:1]
	s_mov_b32 s14, exec_lo
	s_delay_alu instid0(VALU_DEP_2) | instskip(NEXT) | instid1(VALU_DEP_1)
	v_mad_u64_u32 v[5:6], null, v9, v4, 0
	v_mov_b32_e32 v3, v6
	s_delay_alu instid0(VALU_DEP_1) | instskip(NEXT) | instid1(VALU_DEP_4)
	v_mad_u64_u32 v[11:12], null, v10, v4, v[3:4]
	v_add_co_u32 v3, vcc_lo, s26, v7
	v_add_co_ci_u32_e32 v4, vcc_lo, s27, v8, vcc_lo
	v_add_co_u32 v7, vcc_lo, s10, v7
	s_delay_alu instid0(VALU_DEP_4)
	v_mov_b32_e32 v6, v11
	v_add_co_ci_u32_e32 v8, vcc_lo, s11, v8, vcc_lo
	global_load_b64 v[3:4], v[3:4], off
	v_lshlrev_b64 v[11:12], 2, v[5:6]
	global_load_b64 v[5:6], v[7:8], off
	v_add_co_u32 v7, vcc_lo, s4, v11
	v_add_co_ci_u32_e32 v8, vcc_lo, s5, v12, vcc_lo
	global_load_b32 v11, v[7:8], off
	s_waitcnt vmcnt(2)
	v_fma_mixlo_f16 v7, v28, v3, 0 op_sel_hi:[0,1,0]
	s_waitcnt vmcnt(1)
	s_delay_alu instid0(VALU_DEP_1) | instskip(NEXT) | instid1(VALU_DEP_1)
	v_mul_f16_e32 v7, v5, v7
	v_cvt_f32_f16_e32 v7, v7
	s_waitcnt vmcnt(0)
	s_delay_alu instid0(VALU_DEP_1) | instskip(SKIP_1) | instid1(VALU_DEP_2)
	v_div_scale_f32 v8, null, v11, v11, v7
	v_div_scale_f32 v14, vcc_lo, v7, v11, v7
	v_rcp_f32_e32 v12, v8
	s_waitcnt_depctr 0xfff
	v_fma_f32 v13, -v8, v12, 1.0
	s_delay_alu instid0(VALU_DEP_1) | instskip(NEXT) | instid1(VALU_DEP_1)
	v_fmac_f32_e32 v12, v13, v12
	v_mul_f32_e32 v13, v14, v12
	s_delay_alu instid0(VALU_DEP_1) | instskip(NEXT) | instid1(VALU_DEP_1)
	v_fma_f32 v15, -v8, v13, v14
	v_fmac_f32_e32 v13, v15, v12
	s_delay_alu instid0(VALU_DEP_1) | instskip(NEXT) | instid1(VALU_DEP_1)
	v_fma_f32 v8, -v8, v13, v14
	v_div_fmas_f32 v8, v8, v12, v13
	s_delay_alu instid0(VALU_DEP_1) | instskip(SKIP_1) | instid1(VALU_DEP_2)
	v_div_fixup_f32 v7, v8, v11, v7
	v_mov_b32_e32 v8, 0x80
	v_minmax_f32 v12, v7, s7, 0xc3600000
	v_mov_b32_e32 v7, 0x80
	s_delay_alu instid0(VALU_DEP_2) | instskip(NEXT) | instid1(VALU_DEP_1)
	v_and_b32_e32 v13, 0x7fffffff, v12
	v_cmpx_gt_u32_e32 0x43800000, v13
	s_cbranch_execz .LBB49_144
; %bb.139:                              ;   in Loop: Header=BB49_63 Depth=1
	v_cmp_lt_u32_e32 vcc_lo, 0x3bffffff, v13
	s_mov_b32 s15, 0
                                        ; implicit-def: $vgpr13
	s_and_saveexec_b32 s16, vcc_lo
	s_delay_alu instid0(SALU_CYCLE_1)
	s_xor_b32 s16, exec_lo, s16
	s_cbranch_execnz .LBB49_184
; %bb.140:                              ;   in Loop: Header=BB49_63 Depth=1
	s_or_saveexec_b32 s16, s16
                                        ; implicit-def: $sgpr17
	s_delay_alu instid0(SALU_CYCLE_1)
	s_xor_b32 exec_lo, exec_lo, s16
	s_cbranch_execnz .LBB49_185
.LBB49_141:                             ;   in Loop: Header=BB49_63 Depth=1
	s_or_b32 exec_lo, exec_lo, s16
	v_mov_b32_e32 v7, s17
	s_and_saveexec_b32 s16, s15
.LBB49_142:                             ;   in Loop: Header=BB49_63 Depth=1
	v_lshrrev_b32_e32 v7, 24, v12
	s_delay_alu instid0(VALU_DEP_1)
	v_and_or_b32 v7, 0x80, v7, v13
.LBB49_143:                             ;   in Loop: Header=BB49_63 Depth=1
	s_or_b32 exec_lo, exec_lo, s16
.LBB49_144:                             ;   in Loop: Header=BB49_63 Depth=1
	s_delay_alu instid0(SALU_CYCLE_1) | instskip(SKIP_3) | instid1(VALU_DEP_1)
	s_or_b32 exec_lo, exec_lo, s14
	v_lshrrev_b32_e32 v5, 16, v5
	v_fma_mixlo_f16 v3, v28, v3, 0 op_sel:[0,1,0] op_sel_hi:[0,1,0]
	s_mov_b32 s14, exec_lo
	v_mul_f16_e32 v3, v5, v3
	s_delay_alu instid0(VALU_DEP_1) | instskip(NEXT) | instid1(VALU_DEP_1)
	v_cvt_f32_f16_e32 v3, v3
	v_div_scale_f32 v5, null, v11, v11, v3
	s_delay_alu instid0(VALU_DEP_1) | instskip(SKIP_2) | instid1(VALU_DEP_1)
	v_rcp_f32_e32 v12, v5
	s_waitcnt_depctr 0xfff
	v_fma_f32 v13, -v5, v12, 1.0
	v_fmac_f32_e32 v12, v13, v12
	v_div_scale_f32 v13, vcc_lo, v3, v11, v3
	s_delay_alu instid0(VALU_DEP_1) | instskip(NEXT) | instid1(VALU_DEP_1)
	v_mul_f32_e32 v14, v13, v12
	v_fma_f32 v15, -v5, v14, v13
	s_delay_alu instid0(VALU_DEP_1) | instskip(NEXT) | instid1(VALU_DEP_1)
	v_fmac_f32_e32 v14, v15, v12
	v_fma_f32 v5, -v5, v14, v13
	s_delay_alu instid0(VALU_DEP_1) | instskip(NEXT) | instid1(VALU_DEP_1)
	v_div_fmas_f32 v5, v5, v12, v14
	v_div_fixup_f32 v3, v5, v11, v3
	s_delay_alu instid0(VALU_DEP_1) | instskip(NEXT) | instid1(VALU_DEP_1)
	v_minmax_f32 v3, v3, s7, 0xc3600000
	v_and_b32_e32 v5, 0x7fffffff, v3
	s_delay_alu instid0(VALU_DEP_1)
	v_cmpx_gt_u32_e32 0x43800000, v5
	s_cbranch_execz .LBB49_150
; %bb.145:                              ;   in Loop: Header=BB49_63 Depth=1
	v_cmp_lt_u32_e32 vcc_lo, 0x3bffffff, v5
	s_mov_b32 s15, 0
                                        ; implicit-def: $vgpr5
	s_and_saveexec_b32 s16, vcc_lo
	s_delay_alu instid0(SALU_CYCLE_1)
	s_xor_b32 s16, exec_lo, s16
	s_cbranch_execnz .LBB49_186
; %bb.146:                              ;   in Loop: Header=BB49_63 Depth=1
	s_or_saveexec_b32 s16, s16
                                        ; implicit-def: $sgpr17
	s_delay_alu instid0(SALU_CYCLE_1)
	s_xor_b32 exec_lo, exec_lo, s16
	s_cbranch_execnz .LBB49_187
.LBB49_147:                             ;   in Loop: Header=BB49_63 Depth=1
	s_or_b32 exec_lo, exec_lo, s16
	v_mov_b32_e32 v8, s17
	s_and_saveexec_b32 s16, s15
.LBB49_148:                             ;   in Loop: Header=BB49_63 Depth=1
	v_lshrrev_b32_e32 v3, 24, v3
	s_delay_alu instid0(VALU_DEP_1)
	v_and_or_b32 v8, 0x80, v3, v5
.LBB49_149:                             ;   in Loop: Header=BB49_63 Depth=1
	s_or_b32 exec_lo, exec_lo, s16
.LBB49_150:                             ;   in Loop: Header=BB49_63 Depth=1
	s_delay_alu instid0(SALU_CYCLE_1) | instskip(SKIP_2) | instid1(VALU_DEP_1)
	s_or_b32 exec_lo, exec_lo, s14
	v_fma_mixlo_f16 v3, v28, v4, 0 op_sel_hi:[0,1,0]
	s_mov_b32 s14, exec_lo
	v_mul_f16_e32 v3, v6, v3
	s_delay_alu instid0(VALU_DEP_1) | instskip(NEXT) | instid1(VALU_DEP_1)
	v_cvt_f32_f16_e32 v3, v3
	v_div_scale_f32 v5, null, v11, v11, v3
	v_div_scale_f32 v14, vcc_lo, v3, v11, v3
	s_delay_alu instid0(VALU_DEP_2) | instskip(SKIP_2) | instid1(VALU_DEP_1)
	v_rcp_f32_e32 v12, v5
	s_waitcnt_depctr 0xfff
	v_fma_f32 v13, -v5, v12, 1.0
	v_fmac_f32_e32 v12, v13, v12
	s_delay_alu instid0(VALU_DEP_1) | instskip(NEXT) | instid1(VALU_DEP_1)
	v_mul_f32_e32 v13, v14, v12
	v_fma_f32 v15, -v5, v13, v14
	s_delay_alu instid0(VALU_DEP_1) | instskip(NEXT) | instid1(VALU_DEP_1)
	v_fmac_f32_e32 v13, v15, v12
	v_fma_f32 v5, -v5, v13, v14
	s_delay_alu instid0(VALU_DEP_1) | instskip(NEXT) | instid1(VALU_DEP_1)
	v_div_fmas_f32 v5, v5, v12, v13
	v_div_fixup_f32 v3, v5, v11, v3
	v_mov_b32_e32 v5, 0x80
	s_delay_alu instid0(VALU_DEP_2) | instskip(SKIP_1) | instid1(VALU_DEP_2)
	v_minmax_f32 v12, v3, s7, 0xc3600000
	v_mov_b32_e32 v3, 0x80
	v_and_b32_e32 v13, 0x7fffffff, v12
	s_delay_alu instid0(VALU_DEP_1)
	v_cmpx_gt_u32_e32 0x43800000, v13
	s_cbranch_execz .LBB49_156
; %bb.151:                              ;   in Loop: Header=BB49_63 Depth=1
	v_cmp_lt_u32_e32 vcc_lo, 0x3bffffff, v13
	s_mov_b32 s15, 0
                                        ; implicit-def: $vgpr13
	s_and_saveexec_b32 s16, vcc_lo
	s_delay_alu instid0(SALU_CYCLE_1)
	s_xor_b32 s16, exec_lo, s16
	s_cbranch_execnz .LBB49_188
; %bb.152:                              ;   in Loop: Header=BB49_63 Depth=1
	s_or_saveexec_b32 s16, s16
                                        ; implicit-def: $sgpr17
	s_delay_alu instid0(SALU_CYCLE_1)
	s_xor_b32 exec_lo, exec_lo, s16
	s_cbranch_execnz .LBB49_189
.LBB49_153:                             ;   in Loop: Header=BB49_63 Depth=1
	s_or_b32 exec_lo, exec_lo, s16
	v_mov_b32_e32 v5, s17
	s_and_saveexec_b32 s16, s15
.LBB49_154:                             ;   in Loop: Header=BB49_63 Depth=1
	v_lshrrev_b32_e32 v5, 24, v12
	s_delay_alu instid0(VALU_DEP_1)
	v_and_or_b32 v5, 0x80, v5, v13
.LBB49_155:                             ;   in Loop: Header=BB49_63 Depth=1
	s_or_b32 exec_lo, exec_lo, s16
.LBB49_156:                             ;   in Loop: Header=BB49_63 Depth=1
	s_delay_alu instid0(SALU_CYCLE_1) | instskip(SKIP_3) | instid1(VALU_DEP_1)
	s_or_b32 exec_lo, exec_lo, s14
	v_lshrrev_b32_e32 v6, 16, v6
	v_fma_mixlo_f16 v4, v28, v4, 0 op_sel:[0,1,0] op_sel_hi:[0,1,0]
	s_mov_b32 s14, exec_lo
	v_mul_f16_e32 v4, v6, v4
	s_delay_alu instid0(VALU_DEP_1) | instskip(NEXT) | instid1(VALU_DEP_1)
	v_cvt_f32_f16_e32 v4, v4
	v_div_scale_f32 v6, null, v11, v11, v4
	s_delay_alu instid0(VALU_DEP_1) | instskip(SKIP_2) | instid1(VALU_DEP_1)
	v_rcp_f32_e32 v12, v6
	s_waitcnt_depctr 0xfff
	v_fma_f32 v13, -v6, v12, 1.0
	v_fmac_f32_e32 v12, v13, v12
	v_div_scale_f32 v13, vcc_lo, v4, v11, v4
	s_delay_alu instid0(VALU_DEP_1) | instskip(NEXT) | instid1(VALU_DEP_1)
	v_mul_f32_e32 v14, v13, v12
	v_fma_f32 v15, -v6, v14, v13
	s_delay_alu instid0(VALU_DEP_1) | instskip(NEXT) | instid1(VALU_DEP_1)
	v_fmac_f32_e32 v14, v15, v12
	v_fma_f32 v6, -v6, v14, v13
	s_delay_alu instid0(VALU_DEP_1) | instskip(NEXT) | instid1(VALU_DEP_1)
	v_div_fmas_f32 v6, v6, v12, v14
	v_div_fixup_f32 v4, v6, v11, v4
	s_delay_alu instid0(VALU_DEP_1) | instskip(NEXT) | instid1(VALU_DEP_1)
	v_minmax_f32 v4, v4, s7, 0xc3600000
	v_and_b32_e32 v6, 0x7fffffff, v4
	s_delay_alu instid0(VALU_DEP_1)
	v_cmpx_gt_u32_e32 0x43800000, v6
	s_cbranch_execz .LBB49_59
; %bb.157:                              ;   in Loop: Header=BB49_63 Depth=1
	v_cmp_lt_u32_e32 vcc_lo, 0x3bffffff, v6
	s_mov_b32 s15, 0
                                        ; implicit-def: $vgpr6
	s_and_saveexec_b32 s16, vcc_lo
	s_delay_alu instid0(SALU_CYCLE_1)
	s_xor_b32 s16, exec_lo, s16
	s_cbranch_execnz .LBB49_190
; %bb.158:                              ;   in Loop: Header=BB49_63 Depth=1
	s_or_saveexec_b32 s16, s16
                                        ; implicit-def: $sgpr17
	s_delay_alu instid0(SALU_CYCLE_1)
	s_xor_b32 exec_lo, exec_lo, s16
	s_cbranch_execnz .LBB49_191
.LBB49_159:                             ;   in Loop: Header=BB49_63 Depth=1
	s_or_b32 exec_lo, exec_lo, s16
	v_mov_b32_e32 v3, s17
	s_and_saveexec_b32 s16, s15
	s_cbranch_execz .LBB49_58
	s_branch .LBB49_192
.LBB49_160:                             ;   in Loop: Header=BB49_63 Depth=1
	v_bfe_u32 v7, v11, 20, 1
	s_mov_b32 s12, exec_lo
	s_delay_alu instid0(VALU_DEP_1) | instskip(NEXT) | instid1(VALU_DEP_1)
	v_add3_u32 v7, v11, v7, 0x487ffff
	v_lshrrev_b32_e32 v12, 20, v7
	s_or_saveexec_b32 s13, s13
                                        ; implicit-def: $sgpr14
	s_delay_alu instid0(SALU_CYCLE_1)
	s_xor_b32 exec_lo, exec_lo, s13
	s_cbranch_execz .LBB49_66
.LBB49_161:                             ;   in Loop: Header=BB49_63 Depth=1
	v_add_f32_e64 v7, 0x46000000, |v11|
	s_and_not1_b32 s12, s12, exec_lo
	s_mov_b32 s14, 0
	s_delay_alu instid0(VALU_DEP_1) | instskip(NEXT) | instid1(VALU_DEP_1)
	v_and_b32_e32 v12, 0xff, v7
	v_cmp_ne_u32_e32 vcc_lo, 0, v12
	s_and_b32 s15, vcc_lo, exec_lo
	s_delay_alu instid0(SALU_CYCLE_1)
	s_or_b32 s12, s12, s15
	s_or_b32 exec_lo, exec_lo, s13
	v_mov_b32_e32 v7, s14
	s_and_saveexec_b32 s13, s12
	s_cbranch_execnz .LBB49_67
	s_branch .LBB49_68
.LBB49_162:                             ;   in Loop: Header=BB49_63 Depth=1
	v_bfe_u32 v4, v2, 20, 1
	s_mov_b32 s12, exec_lo
	s_delay_alu instid0(VALU_DEP_1) | instskip(NEXT) | instid1(VALU_DEP_1)
	v_add3_u32 v4, v2, v4, 0x487ffff
	v_lshrrev_b32_e32 v4, 20, v4
	s_or_saveexec_b32 s13, s13
                                        ; implicit-def: $sgpr14
	s_delay_alu instid0(SALU_CYCLE_1)
	s_xor_b32 exec_lo, exec_lo, s13
	s_cbranch_execz .LBB49_72
.LBB49_163:                             ;   in Loop: Header=BB49_63 Depth=1
	v_add_f32_e64 v4, 0x46000000, |v2|
	s_and_not1_b32 s12, s12, exec_lo
	s_mov_b32 s14, 0
	s_delay_alu instid0(VALU_DEP_1) | instskip(NEXT) | instid1(VALU_DEP_1)
	v_and_b32_e32 v4, 0xff, v4
	v_cmp_ne_u32_e32 vcc_lo, 0, v4
	s_and_b32 s15, vcc_lo, exec_lo
	s_delay_alu instid0(SALU_CYCLE_1)
	s_or_b32 s12, s12, s15
	s_or_b32 exec_lo, exec_lo, s13
	v_mov_b32_e32 v6, s14
	s_and_saveexec_b32 s13, s12
	s_cbranch_execnz .LBB49_73
	s_branch .LBB49_74
.LBB49_164:                             ;   in Loop: Header=BB49_63 Depth=1
	v_bfe_u32 v4, v11, 20, 1
	s_mov_b32 s12, exec_lo
	s_delay_alu instid0(VALU_DEP_1) | instskip(NEXT) | instid1(VALU_DEP_1)
	v_add3_u32 v4, v11, v4, 0x487ffff
	v_lshrrev_b32_e32 v12, 20, v4
	s_or_saveexec_b32 s13, s13
                                        ; implicit-def: $sgpr14
	s_delay_alu instid0(SALU_CYCLE_1)
	s_xor_b32 exec_lo, exec_lo, s13
	s_cbranch_execz .LBB49_78
.LBB49_165:                             ;   in Loop: Header=BB49_63 Depth=1
	v_add_f32_e64 v4, 0x46000000, |v11|
	s_and_not1_b32 s12, s12, exec_lo
	s_mov_b32 s14, 0
	s_delay_alu instid0(VALU_DEP_1) | instskip(NEXT) | instid1(VALU_DEP_1)
	v_and_b32_e32 v12, 0xff, v4
	v_cmp_ne_u32_e32 vcc_lo, 0, v12
	s_and_b32 s15, vcc_lo, exec_lo
	s_delay_alu instid0(SALU_CYCLE_1)
	s_or_b32 s12, s12, s15
	s_or_b32 exec_lo, exec_lo, s13
	v_mov_b32_e32 v4, s14
	s_and_saveexec_b32 s13, s12
	s_cbranch_execnz .LBB49_79
	s_branch .LBB49_80
.LBB49_166:                             ;   in Loop: Header=BB49_63 Depth=1
	v_bfe_u32 v2, v3, 20, 1
	s_mov_b32 s12, exec_lo
	s_delay_alu instid0(VALU_DEP_1) | instskip(NEXT) | instid1(VALU_DEP_1)
	v_add3_u32 v2, v3, v2, 0x487ffff
	v_lshrrev_b32_e32 v5, 20, v2
	s_or_saveexec_b32 s13, s13
                                        ; implicit-def: $sgpr14
	s_delay_alu instid0(SALU_CYCLE_1)
	s_xor_b32 exec_lo, exec_lo, s13
	s_cbranch_execz .LBB49_84
.LBB49_167:                             ;   in Loop: Header=BB49_63 Depth=1
	v_add_f32_e64 v2, 0x46000000, |v3|
	s_and_not1_b32 s12, s12, exec_lo
	s_mov_b32 s14, 0
	s_delay_alu instid0(VALU_DEP_1) | instskip(NEXT) | instid1(VALU_DEP_1)
	v_and_b32_e32 v5, 0xff, v2
	v_cmp_ne_u32_e32 vcc_lo, 0, v5
	s_and_b32 s15, vcc_lo, exec_lo
	s_delay_alu instid0(SALU_CYCLE_1)
	s_or_b32 s12, s12, s15
	s_or_b32 exec_lo, exec_lo, s13
	v_mov_b32_e32 v2, s14
	s_and_saveexec_b32 s13, s12
	s_cbranch_execnz .LBB49_85
	s_branch .LBB49_86
.LBB49_168:                             ;   in Loop: Header=BB49_63 Depth=1
	v_bfe_u32 v8, v13, 20, 1
	s_mov_b32 s13, exec_lo
	s_delay_alu instid0(VALU_DEP_1) | instskip(NEXT) | instid1(VALU_DEP_1)
	v_add3_u32 v8, v13, v8, 0x487ffff
	v_lshrrev_b32_e32 v14, 20, v8
	s_or_saveexec_b32 s14, s14
                                        ; implicit-def: $sgpr15
	s_delay_alu instid0(SALU_CYCLE_1)
	s_xor_b32 exec_lo, exec_lo, s14
	s_cbranch_execz .LBB49_91
.LBB49_169:                             ;   in Loop: Header=BB49_63 Depth=1
	v_add_f32_e64 v8, 0x46000000, |v13|
	s_and_not1_b32 s13, s13, exec_lo
	s_mov_b32 s15, 0
	s_delay_alu instid0(VALU_DEP_1) | instskip(NEXT) | instid1(VALU_DEP_1)
	v_and_b32_e32 v14, 0xff, v8
	v_cmp_ne_u32_e32 vcc_lo, 0, v14
	s_and_b32 s16, vcc_lo, exec_lo
	s_delay_alu instid0(SALU_CYCLE_1)
	s_or_b32 s13, s13, s16
	s_or_b32 exec_lo, exec_lo, s14
	v_mov_b32_e32 v8, s15
	s_and_saveexec_b32 s14, s13
	s_cbranch_execnz .LBB49_92
	s_branch .LBB49_93
.LBB49_170:                             ;   in Loop: Header=BB49_63 Depth=1
	v_bfe_u32 v6, v4, 20, 1
	s_mov_b32 s13, exec_lo
	s_delay_alu instid0(VALU_DEP_1) | instskip(NEXT) | instid1(VALU_DEP_1)
	v_add3_u32 v6, v4, v6, 0x487ffff
	v_lshrrev_b32_e32 v6, 20, v6
	s_or_saveexec_b32 s14, s14
                                        ; implicit-def: $sgpr15
	s_delay_alu instid0(SALU_CYCLE_1)
	s_xor_b32 exec_lo, exec_lo, s14
	s_cbranch_execz .LBB49_97
.LBB49_171:                             ;   in Loop: Header=BB49_63 Depth=1
	v_add_f32_e64 v6, 0x46000000, |v4|
	s_and_not1_b32 s13, s13, exec_lo
	s_mov_b32 s15, 0
	s_delay_alu instid0(VALU_DEP_1) | instskip(NEXT) | instid1(VALU_DEP_1)
	v_and_b32_e32 v6, 0xff, v6
	v_cmp_ne_u32_e32 vcc_lo, 0, v6
	s_and_b32 s16, vcc_lo, exec_lo
	s_delay_alu instid0(SALU_CYCLE_1)
	s_or_b32 s13, s13, s16
	s_or_b32 exec_lo, exec_lo, s14
	v_mov_b32_e32 v11, s15
	s_and_saveexec_b32 s14, s13
	s_cbranch_execnz .LBB49_98
	s_branch .LBB49_99
.LBB49_172:                             ;   in Loop: Header=BB49_63 Depth=1
	v_bfe_u32 v6, v13, 20, 1
	s_mov_b32 s13, exec_lo
	s_delay_alu instid0(VALU_DEP_1) | instskip(NEXT) | instid1(VALU_DEP_1)
	v_add3_u32 v6, v13, v6, 0x487ffff
	v_lshrrev_b32_e32 v14, 20, v6
	s_or_saveexec_b32 s14, s14
                                        ; implicit-def: $sgpr15
	s_delay_alu instid0(SALU_CYCLE_1)
	s_xor_b32 exec_lo, exec_lo, s14
	s_cbranch_execz .LBB49_103
.LBB49_173:                             ;   in Loop: Header=BB49_63 Depth=1
	v_add_f32_e64 v6, 0x46000000, |v13|
	s_and_not1_b32 s13, s13, exec_lo
	s_mov_b32 s15, 0
	s_delay_alu instid0(VALU_DEP_1) | instskip(NEXT) | instid1(VALU_DEP_1)
	v_and_b32_e32 v14, 0xff, v6
	v_cmp_ne_u32_e32 vcc_lo, 0, v14
	s_and_b32 s16, vcc_lo, exec_lo
	s_delay_alu instid0(SALU_CYCLE_1)
	s_or_b32 s13, s13, s16
	s_or_b32 exec_lo, exec_lo, s14
	v_mov_b32_e32 v6, s15
	s_and_saveexec_b32 s14, s13
	s_cbranch_execnz .LBB49_104
	s_branch .LBB49_105
.LBB49_174:                             ;   in Loop: Header=BB49_63 Depth=1
	v_bfe_u32 v4, v5, 20, 1
	s_mov_b32 s13, exec_lo
	s_delay_alu instid0(VALU_DEP_1) | instskip(NEXT) | instid1(VALU_DEP_1)
	v_add3_u32 v4, v5, v4, 0x487ffff
	v_lshrrev_b32_e32 v7, 20, v4
	s_or_saveexec_b32 s14, s14
                                        ; implicit-def: $sgpr15
	s_delay_alu instid0(SALU_CYCLE_1)
	s_xor_b32 exec_lo, exec_lo, s14
	s_cbranch_execz .LBB49_109
.LBB49_175:                             ;   in Loop: Header=BB49_63 Depth=1
	v_add_f32_e64 v4, 0x46000000, |v5|
	s_and_not1_b32 s13, s13, exec_lo
	s_mov_b32 s15, 0
	s_delay_alu instid0(VALU_DEP_1) | instskip(NEXT) | instid1(VALU_DEP_1)
	v_and_b32_e32 v7, 0xff, v4
	v_cmp_ne_u32_e32 vcc_lo, 0, v7
	s_and_b32 s16, vcc_lo, exec_lo
	s_delay_alu instid0(SALU_CYCLE_1)
	s_or_b32 s13, s13, s16
	s_or_b32 exec_lo, exec_lo, s14
	v_mov_b32_e32 v4, s15
	s_and_saveexec_b32 s14, s13
	s_cbranch_execnz .LBB49_110
	s_branch .LBB49_111
.LBB49_176:                             ;   in Loop: Header=BB49_63 Depth=1
	v_bfe_u32 v11, v14, 20, 1
	s_mov_b32 s14, exec_lo
	s_delay_alu instid0(VALU_DEP_1) | instskip(NEXT) | instid1(VALU_DEP_1)
	v_add3_u32 v11, v14, v11, 0x487ffff
	v_lshrrev_b32_e32 v15, 20, v11
	s_or_saveexec_b32 s15, s15
                                        ; implicit-def: $sgpr16
	s_delay_alu instid0(SALU_CYCLE_1)
	s_xor_b32 exec_lo, exec_lo, s15
	s_cbranch_execz .LBB49_116
.LBB49_177:                             ;   in Loop: Header=BB49_63 Depth=1
	v_add_f32_e64 v11, 0x46000000, |v14|
	s_and_not1_b32 s14, s14, exec_lo
	s_mov_b32 s16, 0
	s_delay_alu instid0(VALU_DEP_1) | instskip(NEXT) | instid1(VALU_DEP_1)
	v_and_b32_e32 v15, 0xff, v11
	v_cmp_ne_u32_e32 vcc_lo, 0, v15
	s_and_b32 s17, vcc_lo, exec_lo
	s_delay_alu instid0(SALU_CYCLE_1)
	s_or_b32 s14, s14, s17
	s_or_b32 exec_lo, exec_lo, s15
	v_mov_b32_e32 v11, s16
	s_and_saveexec_b32 s15, s14
	s_cbranch_execnz .LBB49_117
	s_branch .LBB49_118
.LBB49_178:                             ;   in Loop: Header=BB49_63 Depth=1
	v_bfe_u32 v7, v5, 20, 1
	s_mov_b32 s14, exec_lo
	s_delay_alu instid0(VALU_DEP_1) | instskip(NEXT) | instid1(VALU_DEP_1)
	v_add3_u32 v7, v5, v7, 0x487ffff
	v_lshrrev_b32_e32 v7, 20, v7
	s_or_saveexec_b32 s15, s15
                                        ; implicit-def: $sgpr16
	s_delay_alu instid0(SALU_CYCLE_1)
	s_xor_b32 exec_lo, exec_lo, s15
	s_cbranch_execz .LBB49_122
.LBB49_179:                             ;   in Loop: Header=BB49_63 Depth=1
	v_add_f32_e64 v7, 0x46000000, |v5|
	s_and_not1_b32 s14, s14, exec_lo
	s_mov_b32 s16, 0
	s_delay_alu instid0(VALU_DEP_1) | instskip(NEXT) | instid1(VALU_DEP_1)
	v_and_b32_e32 v7, 0xff, v7
	v_cmp_ne_u32_e32 vcc_lo, 0, v7
	s_and_b32 s17, vcc_lo, exec_lo
	s_delay_alu instid0(SALU_CYCLE_1)
	s_or_b32 s14, s14, s17
	s_or_b32 exec_lo, exec_lo, s15
	v_mov_b32_e32 v12, s16
	s_and_saveexec_b32 s15, s14
	s_cbranch_execnz .LBB49_123
	s_branch .LBB49_124
.LBB49_180:                             ;   in Loop: Header=BB49_63 Depth=1
	v_bfe_u32 v7, v14, 20, 1
	s_mov_b32 s14, exec_lo
	s_delay_alu instid0(VALU_DEP_1) | instskip(NEXT) | instid1(VALU_DEP_1)
	v_add3_u32 v7, v14, v7, 0x487ffff
	v_lshrrev_b32_e32 v15, 20, v7
	s_or_saveexec_b32 s15, s15
                                        ; implicit-def: $sgpr16
	s_delay_alu instid0(SALU_CYCLE_1)
	s_xor_b32 exec_lo, exec_lo, s15
	s_cbranch_execz .LBB49_128
.LBB49_181:                             ;   in Loop: Header=BB49_63 Depth=1
	v_add_f32_e64 v7, 0x46000000, |v14|
	s_and_not1_b32 s14, s14, exec_lo
	s_mov_b32 s16, 0
	s_delay_alu instid0(VALU_DEP_1) | instskip(NEXT) | instid1(VALU_DEP_1)
	v_and_b32_e32 v15, 0xff, v7
	v_cmp_ne_u32_e32 vcc_lo, 0, v15
	s_and_b32 s17, vcc_lo, exec_lo
	s_delay_alu instid0(SALU_CYCLE_1)
	s_or_b32 s14, s14, s17
	s_or_b32 exec_lo, exec_lo, s15
	v_mov_b32_e32 v7, s16
	s_and_saveexec_b32 s15, s14
	s_cbranch_execnz .LBB49_129
	s_branch .LBB49_130
.LBB49_182:                             ;   in Loop: Header=BB49_63 Depth=1
	v_bfe_u32 v5, v6, 20, 1
	s_mov_b32 s14, exec_lo
	s_delay_alu instid0(VALU_DEP_1) | instskip(NEXT) | instid1(VALU_DEP_1)
	v_add3_u32 v5, v6, v5, 0x487ffff
	v_lshrrev_b32_e32 v8, 20, v5
	s_or_saveexec_b32 s15, s15
                                        ; implicit-def: $sgpr16
	s_delay_alu instid0(SALU_CYCLE_1)
	s_xor_b32 exec_lo, exec_lo, s15
	s_cbranch_execz .LBB49_134
.LBB49_183:                             ;   in Loop: Header=BB49_63 Depth=1
	v_add_f32_e64 v5, 0x46000000, |v6|
	s_and_not1_b32 s14, s14, exec_lo
	s_mov_b32 s16, 0
	s_delay_alu instid0(VALU_DEP_1) | instskip(NEXT) | instid1(VALU_DEP_1)
	v_and_b32_e32 v8, 0xff, v5
	v_cmp_ne_u32_e32 vcc_lo, 0, v8
	s_and_b32 s17, vcc_lo, exec_lo
	s_delay_alu instid0(SALU_CYCLE_1)
	s_or_b32 s14, s14, s17
	s_or_b32 exec_lo, exec_lo, s15
	v_mov_b32_e32 v5, s16
	s_and_saveexec_b32 s15, s14
	s_cbranch_execnz .LBB49_135
	s_branch .LBB49_136
.LBB49_184:                             ;   in Loop: Header=BB49_63 Depth=1
	v_bfe_u32 v7, v12, 20, 1
	s_mov_b32 s15, exec_lo
	s_delay_alu instid0(VALU_DEP_1) | instskip(NEXT) | instid1(VALU_DEP_1)
	v_add3_u32 v7, v12, v7, 0x487ffff
	v_lshrrev_b32_e32 v13, 20, v7
	s_or_saveexec_b32 s16, s16
                                        ; implicit-def: $sgpr17
	s_delay_alu instid0(SALU_CYCLE_1)
	s_xor_b32 exec_lo, exec_lo, s16
	s_cbranch_execz .LBB49_141
.LBB49_185:                             ;   in Loop: Header=BB49_63 Depth=1
	v_add_f32_e64 v7, 0x46000000, |v12|
	s_and_not1_b32 s15, s15, exec_lo
	s_mov_b32 s17, 0
	s_delay_alu instid0(VALU_DEP_1) | instskip(NEXT) | instid1(VALU_DEP_1)
	v_and_b32_e32 v13, 0xff, v7
	v_cmp_ne_u32_e32 vcc_lo, 0, v13
	s_and_b32 s18, vcc_lo, exec_lo
	s_delay_alu instid0(SALU_CYCLE_1)
	s_or_b32 s15, s15, s18
	s_or_b32 exec_lo, exec_lo, s16
	v_mov_b32_e32 v7, s17
	s_and_saveexec_b32 s16, s15
	s_cbranch_execnz .LBB49_142
	s_branch .LBB49_143
.LBB49_186:                             ;   in Loop: Header=BB49_63 Depth=1
	v_bfe_u32 v5, v3, 20, 1
	s_mov_b32 s15, exec_lo
	s_delay_alu instid0(VALU_DEP_1) | instskip(NEXT) | instid1(VALU_DEP_1)
	v_add3_u32 v5, v3, v5, 0x487ffff
	v_lshrrev_b32_e32 v5, 20, v5
	s_or_saveexec_b32 s16, s16
                                        ; implicit-def: $sgpr17
	s_delay_alu instid0(SALU_CYCLE_1)
	s_xor_b32 exec_lo, exec_lo, s16
	s_cbranch_execz .LBB49_147
.LBB49_187:                             ;   in Loop: Header=BB49_63 Depth=1
	v_add_f32_e64 v5, 0x46000000, |v3|
	s_and_not1_b32 s15, s15, exec_lo
	s_mov_b32 s17, 0
	s_delay_alu instid0(VALU_DEP_1) | instskip(NEXT) | instid1(VALU_DEP_1)
	v_and_b32_e32 v5, 0xff, v5
	v_cmp_ne_u32_e32 vcc_lo, 0, v5
	s_and_b32 s18, vcc_lo, exec_lo
	s_delay_alu instid0(SALU_CYCLE_1)
	s_or_b32 s15, s15, s18
	s_or_b32 exec_lo, exec_lo, s16
	v_mov_b32_e32 v8, s17
	s_and_saveexec_b32 s16, s15
	s_cbranch_execnz .LBB49_148
	s_branch .LBB49_149
.LBB49_188:                             ;   in Loop: Header=BB49_63 Depth=1
	v_bfe_u32 v5, v12, 20, 1
	s_mov_b32 s15, exec_lo
	s_delay_alu instid0(VALU_DEP_1) | instskip(NEXT) | instid1(VALU_DEP_1)
	v_add3_u32 v5, v12, v5, 0x487ffff
	v_lshrrev_b32_e32 v13, 20, v5
	s_or_saveexec_b32 s16, s16
                                        ; implicit-def: $sgpr17
	s_delay_alu instid0(SALU_CYCLE_1)
	s_xor_b32 exec_lo, exec_lo, s16
	s_cbranch_execz .LBB49_153
.LBB49_189:                             ;   in Loop: Header=BB49_63 Depth=1
	v_add_f32_e64 v5, 0x46000000, |v12|
	s_and_not1_b32 s15, s15, exec_lo
	s_mov_b32 s17, 0
	s_delay_alu instid0(VALU_DEP_1) | instskip(NEXT) | instid1(VALU_DEP_1)
	v_and_b32_e32 v13, 0xff, v5
	v_cmp_ne_u32_e32 vcc_lo, 0, v13
	s_and_b32 s18, vcc_lo, exec_lo
	s_delay_alu instid0(SALU_CYCLE_1)
	s_or_b32 s15, s15, s18
	s_or_b32 exec_lo, exec_lo, s16
	v_mov_b32_e32 v5, s17
	s_and_saveexec_b32 s16, s15
	s_cbranch_execnz .LBB49_154
	s_branch .LBB49_155
.LBB49_190:                             ;   in Loop: Header=BB49_63 Depth=1
	v_bfe_u32 v3, v4, 20, 1
	s_mov_b32 s15, exec_lo
	s_delay_alu instid0(VALU_DEP_1) | instskip(NEXT) | instid1(VALU_DEP_1)
	v_add3_u32 v3, v4, v3, 0x487ffff
	v_lshrrev_b32_e32 v6, 20, v3
	s_or_saveexec_b32 s16, s16
                                        ; implicit-def: $sgpr17
	s_delay_alu instid0(SALU_CYCLE_1)
	s_xor_b32 exec_lo, exec_lo, s16
	s_cbranch_execz .LBB49_159
.LBB49_191:                             ;   in Loop: Header=BB49_63 Depth=1
	v_add_f32_e64 v3, 0x46000000, |v4|
	s_and_not1_b32 s15, s15, exec_lo
	s_mov_b32 s17, 0
	s_delay_alu instid0(VALU_DEP_1) | instskip(NEXT) | instid1(VALU_DEP_1)
	v_and_b32_e32 v6, 0xff, v3
	v_cmp_ne_u32_e32 vcc_lo, 0, v6
	s_and_b32 s18, vcc_lo, exec_lo
	s_delay_alu instid0(SALU_CYCLE_1)
	s_or_b32 s15, s15, s18
	s_or_b32 exec_lo, exec_lo, s16
	v_mov_b32_e32 v3, s17
	s_and_saveexec_b32 s16, s15
	s_cbranch_execz .LBB49_58
.LBB49_192:                             ;   in Loop: Header=BB49_63 Depth=1
	v_lshrrev_b32_e32 v3, 24, v4
	s_delay_alu instid0(VALU_DEP_1)
	v_and_or_b32 v3, 0x80, v3, v6
	s_branch .LBB49_58
.LBB49_193:
	s_nop 0
	s_sendmsg sendmsg(MSG_DEALLOC_VGPRS)
	s_endpgm
.LBB49_194:
                                        ; implicit-def: $vgpr3_vgpr4
	s_branch .LBB49_51
.LBB49_195:
                                        ; implicit-def: $vgpr1_vgpr2
	s_branch .LBB49_56
	.section	.rodata,"a",@progbits
	.p2align	6, 0x0
	.amdhsa_kernel _ZN4vllm31rms_norm_per_block_quant_kernelIN3c104HalfENS1_15Float8_e4m3fnuzELb0ELb1ELi128EEEvPT0_PfPKT_S9_PKffiiPS7_l
		.amdhsa_group_segment_fixed_size 4228
		.amdhsa_private_segment_fixed_size 0
		.amdhsa_kernarg_size 328
		.amdhsa_user_sgpr_count 15
		.amdhsa_user_sgpr_dispatch_ptr 0
		.amdhsa_user_sgpr_queue_ptr 0
		.amdhsa_user_sgpr_kernarg_segment_ptr 1
		.amdhsa_user_sgpr_dispatch_id 0
		.amdhsa_user_sgpr_private_segment_size 0
		.amdhsa_wavefront_size32 1
		.amdhsa_uses_dynamic_stack 0
		.amdhsa_enable_private_segment 0
		.amdhsa_system_sgpr_workgroup_id_x 1
		.amdhsa_system_sgpr_workgroup_id_y 0
		.amdhsa_system_sgpr_workgroup_id_z 0
		.amdhsa_system_sgpr_workgroup_info 0
		.amdhsa_system_vgpr_workitem_id 0
		.amdhsa_next_free_vgpr 35
		.amdhsa_next_free_sgpr 38
		.amdhsa_reserve_vcc 1
		.amdhsa_float_round_mode_32 0
		.amdhsa_float_round_mode_16_64 0
		.amdhsa_float_denorm_mode_32 3
		.amdhsa_float_denorm_mode_16_64 3
		.amdhsa_dx10_clamp 1
		.amdhsa_ieee_mode 1
		.amdhsa_fp16_overflow 0
		.amdhsa_workgroup_processor_mode 1
		.amdhsa_memory_ordered 1
		.amdhsa_forward_progress 0
		.amdhsa_shared_vgpr_count 0
		.amdhsa_exception_fp_ieee_invalid_op 0
		.amdhsa_exception_fp_denorm_src 0
		.amdhsa_exception_fp_ieee_div_zero 0
		.amdhsa_exception_fp_ieee_overflow 0
		.amdhsa_exception_fp_ieee_underflow 0
		.amdhsa_exception_fp_ieee_inexact 0
		.amdhsa_exception_int_div_zero 0
	.end_amdhsa_kernel
	.section	.text._ZN4vllm31rms_norm_per_block_quant_kernelIN3c104HalfENS1_15Float8_e4m3fnuzELb0ELb1ELi128EEEvPT0_PfPKT_S9_PKffiiPS7_l,"axG",@progbits,_ZN4vllm31rms_norm_per_block_quant_kernelIN3c104HalfENS1_15Float8_e4m3fnuzELb0ELb1ELi128EEEvPT0_PfPKT_S9_PKffiiPS7_l,comdat
.Lfunc_end49:
	.size	_ZN4vllm31rms_norm_per_block_quant_kernelIN3c104HalfENS1_15Float8_e4m3fnuzELb0ELb1ELi128EEEvPT0_PfPKT_S9_PKffiiPS7_l, .Lfunc_end49-_ZN4vllm31rms_norm_per_block_quant_kernelIN3c104HalfENS1_15Float8_e4m3fnuzELb0ELb1ELi128EEEvPT0_PfPKT_S9_PKffiiPS7_l
                                        ; -- End function
	.section	.AMDGPU.csdata,"",@progbits
; Kernel info:
; codeLenInByte = 12968
; NumSgprs: 40
; NumVgprs: 35
; ScratchSize: 0
; MemoryBound: 0
; FloatMode: 240
; IeeeMode: 1
; LDSByteSize: 4228 bytes/workgroup (compile time only)
; SGPRBlocks: 4
; VGPRBlocks: 4
; NumSGPRsForWavesPerEU: 40
; NumVGPRsForWavesPerEU: 35
; Occupancy: 16
; WaveLimiterHint : 0
; COMPUTE_PGM_RSRC2:SCRATCH_EN: 0
; COMPUTE_PGM_RSRC2:USER_SGPR: 15
; COMPUTE_PGM_RSRC2:TRAP_HANDLER: 0
; COMPUTE_PGM_RSRC2:TGID_X_EN: 1
; COMPUTE_PGM_RSRC2:TGID_Y_EN: 0
; COMPUTE_PGM_RSRC2:TGID_Z_EN: 0
; COMPUTE_PGM_RSRC2:TIDIG_COMP_CNT: 0
	.section	.text._ZN4vllm31rms_norm_per_block_quant_kernelIN3c104HalfEaLb0ELb1ELi128EEEvPT0_PfPKT_S8_PKffiiPS6_l,"axG",@progbits,_ZN4vllm31rms_norm_per_block_quant_kernelIN3c104HalfEaLb0ELb1ELi128EEEvPT0_PfPKT_S8_PKffiiPS6_l,comdat
	.protected	_ZN4vllm31rms_norm_per_block_quant_kernelIN3c104HalfEaLb0ELb1ELi128EEEvPT0_PfPKT_S8_PKffiiPS6_l ; -- Begin function _ZN4vllm31rms_norm_per_block_quant_kernelIN3c104HalfEaLb0ELb1ELi128EEEvPT0_PfPKT_S8_PKffiiPS6_l
	.globl	_ZN4vllm31rms_norm_per_block_quant_kernelIN3c104HalfEaLb0ELb1ELi128EEEvPT0_PfPKT_S8_PKffiiPS6_l
	.p2align	8
	.type	_ZN4vllm31rms_norm_per_block_quant_kernelIN3c104HalfEaLb0ELb1ELi128EEEvPT0_PfPKT_S8_PKffiiPS6_l,@function
_ZN4vllm31rms_norm_per_block_quant_kernelIN3c104HalfEaLb0ELb1ELi128EEEvPT0_PfPKT_S8_PKffiiPS6_l: ; @_ZN4vllm31rms_norm_per_block_quant_kernelIN3c104HalfEaLb0ELb1ELi128EEEvPT0_PfPKT_S8_PKffiiPS6_l
; %bb.0:
	s_mov_b32 s16, s15
	s_clause 0x2
	s_load_b128 s[12:15], s[0:1], 0x28
	s_load_b256 s[4:11], s[0:1], 0x0
	s_load_b32 s29, s[0:1], 0x48
	v_mov_b32_e32 v6, 0
	s_mov_b32 s17, 0
	s_waitcnt lgkmcnt(0)
	s_ashr_i32 s2, s14, 31
	s_mul_hi_u32 s3, s14, s16
	s_mul_i32 s15, s2, s16
	s_mul_i32 s2, s14, s16
	s_add_i32 s3, s3, s15
	s_mov_b32 s14, s13
	s_lshl_b64 s[2:3], s[2:3], 1
	s_delay_alu instid0(SALU_CYCLE_1)
	s_add_u32 s26, s8, s2
	s_addc_u32 s27, s9, s3
	s_ashr_i32 s8, s13, 2
	s_add_u32 s18, s0, 0x48
	v_cmp_gt_u32_e64 s2, s8, v0
	s_addc_u32 s19, s1, 0
	s_delay_alu instid0(VALU_DEP_1)
	s_and_saveexec_b32 s3, s2
	s_cbranch_execz .LBB50_10
; %bb.1:
	s_cmp_lt_u32 s16, s29
	v_mov_b32_e32 v2, 0
	s_cselect_b32 s9, 12, 18
                                        ; implicit-def: $sgpr15
	v_mov_b32_e32 v1, v0
	s_add_u32 s20, s18, s9
	s_addc_u32 s21, s19, 0
	s_mov_b32 s9, s17
	global_load_u16 v7, v2, s[20:21]
	s_waitcnt vmcnt(0)
	v_lshlrev_b32_e32 v9, 1, v7
	v_mul_lo_u32 v8, v7, 3
	v_add_nc_u32_e32 v10, v7, v7
	v_mov_b32_e32 v6, v2
	s_branch .LBB50_5
.LBB50_2:                               ;   in Loop: Header=BB50_5 Depth=1
	s_or_b32 exec_lo, exec_lo, s22
	s_delay_alu instid0(SALU_CYCLE_1)
	s_or_not1_b32 s22, s23, exec_lo
.LBB50_3:                               ;   in Loop: Header=BB50_5 Depth=1
	s_or_b32 exec_lo, exec_lo, s21
	s_delay_alu instid0(SALU_CYCLE_1) | instskip(SKIP_1) | instid1(SALU_CYCLE_1)
	s_and_not1_b32 s15, s15, exec_lo
	s_and_b32 s21, s22, exec_lo
	s_or_b32 s15, s15, s21
.LBB50_4:                               ;   in Loop: Header=BB50_5 Depth=1
	s_or_b32 exec_lo, exec_lo, s20
	s_delay_alu instid0(SALU_CYCLE_1) | instskip(NEXT) | instid1(SALU_CYCLE_1)
	s_and_b32 s20, exec_lo, s15
	s_or_b32 s9, s20, s9
	s_delay_alu instid0(SALU_CYCLE_1)
	s_and_not1_b32 exec_lo, exec_lo, s9
	s_cbranch_execz .LBB50_9
.LBB50_5:                               ; =>This Inner Loop Header: Depth=1
	v_lshlrev_b64 v[3:4], 3, v[1:2]
	s_or_b32 s15, s15, exec_lo
	s_mov_b32 s20, exec_lo
	s_delay_alu instid0(VALU_DEP_1) | instskip(NEXT) | instid1(VALU_DEP_2)
	v_add_co_u32 v3, vcc_lo, s26, v3
	v_add_co_ci_u32_e32 v4, vcc_lo, s27, v4, vcc_lo
	global_load_b64 v[3:4], v[3:4], off
	s_waitcnt vmcnt(0)
	v_fma_mix_f32 v5, v3, v3, v6 op_sel_hi:[1,1,0]
	s_delay_alu instid0(VALU_DEP_1) | instskip(NEXT) | instid1(VALU_DEP_1)
	v_fma_mix_f32 v3, v3, v3, v5 op_sel:[1,1,0] op_sel_hi:[1,1,0]
	v_fma_mix_f32 v5, v4, v4, v3 op_sel_hi:[1,1,0]
	v_add_nc_u32_e32 v3, v1, v7
	s_delay_alu instid0(VALU_DEP_2) | instskip(NEXT) | instid1(VALU_DEP_2)
	v_fma_mix_f32 v6, v4, v4, v5 op_sel:[1,1,0] op_sel_hi:[1,1,0]
	v_cmpx_gt_u32_e64 s8, v3
	s_cbranch_execz .LBB50_4
; %bb.6:                                ;   in Loop: Header=BB50_5 Depth=1
	v_mov_b32_e32 v4, v2
	s_mov_b32 s22, -1
	s_mov_b32 s21, exec_lo
	s_delay_alu instid0(VALU_DEP_1) | instskip(NEXT) | instid1(VALU_DEP_1)
	v_lshlrev_b64 v[4:5], 3, v[3:4]
	v_add_co_u32 v4, vcc_lo, s26, v4
	s_delay_alu instid0(VALU_DEP_2) | instskip(SKIP_3) | instid1(VALU_DEP_1)
	v_add_co_ci_u32_e32 v5, vcc_lo, s27, v5, vcc_lo
	global_load_b64 v[4:5], v[4:5], off
	s_waitcnt vmcnt(0)
	v_fma_mix_f32 v6, v4, v4, v6 op_sel_hi:[1,1,0]
	v_fma_mix_f32 v4, v4, v4, v6 op_sel:[1,1,0] op_sel_hi:[1,1,0]
	s_delay_alu instid0(VALU_DEP_1) | instskip(SKIP_1) | instid1(VALU_DEP_2)
	v_fma_mix_f32 v6, v5, v5, v4 op_sel_hi:[1,1,0]
	v_add_nc_u32_e32 v4, v9, v1
	v_fma_mix_f32 v6, v5, v5, v6 op_sel:[1,1,0] op_sel_hi:[1,1,0]
	s_delay_alu instid0(VALU_DEP_2)
	v_cmpx_gt_u32_e64 s8, v4
	s_cbranch_execz .LBB50_3
; %bb.7:                                ;   in Loop: Header=BB50_5 Depth=1
	v_mov_b32_e32 v5, v2
	v_add_nc_u32_e32 v1, v8, v1
	s_mov_b32 s23, -1
	s_mov_b32 s22, exec_lo
	s_delay_alu instid0(VALU_DEP_2) | instskip(NEXT) | instid1(VALU_DEP_1)
	v_lshlrev_b64 v[4:5], 3, v[4:5]
	v_add_co_u32 v4, vcc_lo, s26, v4
	s_delay_alu instid0(VALU_DEP_2) | instskip(SKIP_3) | instid1(VALU_DEP_1)
	v_add_co_ci_u32_e32 v5, vcc_lo, s27, v5, vcc_lo
	global_load_b64 v[4:5], v[4:5], off
	s_waitcnt vmcnt(0)
	v_fma_mix_f32 v6, v4, v4, v6 op_sel_hi:[1,1,0]
	v_fma_mix_f32 v4, v4, v4, v6 op_sel:[1,1,0] op_sel_hi:[1,1,0]
	s_delay_alu instid0(VALU_DEP_1) | instskip(NEXT) | instid1(VALU_DEP_1)
	v_fma_mix_f32 v4, v5, v5, v4 op_sel_hi:[1,1,0]
	v_fma_mix_f32 v6, v5, v5, v4 op_sel:[1,1,0] op_sel_hi:[1,1,0]
	v_cmpx_gt_u32_e64 s8, v1
	s_xor_b32 s22, exec_lo, s22
	s_cbranch_execz .LBB50_2
; %bb.8:                                ;   in Loop: Header=BB50_5 Depth=1
	v_lshlrev_b64 v[4:5], 3, v[1:2]
	s_delay_alu instid0(VALU_DEP_1) | instskip(NEXT) | instid1(VALU_DEP_2)
	v_add_co_u32 v4, vcc_lo, s26, v4
	v_add_co_ci_u32_e32 v5, vcc_lo, s27, v5, vcc_lo
	global_load_b64 v[4:5], v[4:5], off
	s_waitcnt vmcnt(0)
	v_fma_mix_f32 v1, v4, v4, v6 op_sel_hi:[1,1,0]
	s_delay_alu instid0(VALU_DEP_1) | instskip(SKIP_1) | instid1(VALU_DEP_2)
	v_fma_mix_f32 v4, v4, v4, v1 op_sel:[1,1,0] op_sel_hi:[1,1,0]
	v_add3_u32 v1, v10, v7, v3
	v_fma_mix_f32 v3, v5, v5, v4 op_sel_hi:[1,1,0]
	s_delay_alu instid0(VALU_DEP_2) | instskip(NEXT) | instid1(VALU_DEP_2)
	v_cmp_le_u32_e32 vcc_lo, s8, v1
	v_fma_mix_f32 v6, v5, v5, v3 op_sel:[1,1,0] op_sel_hi:[1,1,0]
	s_or_not1_b32 s23, vcc_lo, exec_lo
	s_branch .LBB50_2
.LBB50_9:
	s_or_b32 exec_lo, exec_lo, s9
.LBB50_10:
	s_delay_alu instid0(SALU_CYCLE_1) | instskip(SKIP_4) | instid1(VALU_DEP_2)
	s_or_b32 exec_lo, exec_lo, s3
	v_mbcnt_lo_u32_b32 v1, -1, 0
	s_load_b32 s3, s[18:19], 0xc
	v_and_b32_e32 v7, 0x3e0, v0
	s_mov_b32 s9, exec_lo
	v_cmp_ne_u32_e32 vcc_lo, 31, v1
	v_add_nc_u32_e32 v3, 1, v1
	v_add_co_ci_u32_e32 v2, vcc_lo, 0, v1, vcc_lo
	v_cmp_gt_u32_e32 vcc_lo, 30, v1
	s_delay_alu instid0(VALU_DEP_2)
	v_lshlrev_b32_e32 v2, 2, v2
	v_cndmask_b32_e64 v5, 0, 1, vcc_lo
	ds_bpermute_b32 v4, v2, v6
	s_waitcnt lgkmcnt(0)
	s_and_b32 s3, s3, 0xffff
	v_lshlrev_b32_e32 v5, 1, v5
	v_sub_nc_u32_e64 v12, s3, v7 clamp
	s_delay_alu instid0(VALU_DEP_1) | instskip(SKIP_1) | instid1(VALU_DEP_4)
	v_cmp_lt_u32_e32 vcc_lo, v3, v12
	v_add_f32_e32 v7, v6, v4
	v_add_lshl_u32 v4, v5, v1, 2
	s_delay_alu instid0(VALU_DEP_2) | instskip(SKIP_2) | instid1(VALU_DEP_1)
	v_cndmask_b32_e32 v7, v6, v7, vcc_lo
	v_cmp_gt_u32_e32 vcc_lo, 28, v1
	v_cndmask_b32_e64 v5, 0, 1, vcc_lo
	v_lshlrev_b32_e32 v8, 2, v5
	ds_bpermute_b32 v6, v4, v7
	v_add_nc_u32_e32 v5, 2, v1
	s_delay_alu instid0(VALU_DEP_1) | instskip(SKIP_3) | instid1(VALU_DEP_2)
	v_cmp_lt_u32_e32 vcc_lo, v5, v12
	s_waitcnt lgkmcnt(0)
	v_add_f32_e32 v9, v7, v6
	v_add_lshl_u32 v6, v8, v1, 2
	v_cndmask_b32_e32 v9, v7, v9, vcc_lo
	v_cmp_gt_u32_e32 vcc_lo, 24, v1
	ds_bpermute_b32 v8, v6, v9
	v_cndmask_b32_e64 v7, 0, 1, vcc_lo
	s_delay_alu instid0(VALU_DEP_1) | instskip(SKIP_1) | instid1(VALU_DEP_1)
	v_lshlrev_b32_e32 v10, 3, v7
	v_add_nc_u32_e32 v7, 4, v1
	v_cmp_lt_u32_e32 vcc_lo, v7, v12
	s_waitcnt lgkmcnt(0)
	v_add_f32_e32 v11, v9, v8
	v_add_lshl_u32 v8, v10, v1, 2
	s_delay_alu instid0(VALU_DEP_2) | instskip(SKIP_3) | instid1(VALU_DEP_1)
	v_cndmask_b32_e32 v11, v9, v11, vcc_lo
	v_cmp_gt_u32_e32 vcc_lo, 16, v1
	ds_bpermute_b32 v10, v8, v11
	v_cndmask_b32_e64 v9, 0, 1, vcc_lo
	v_lshlrev_b32_e32 v13, 4, v9
	v_add_nc_u32_e32 v9, 8, v1
	s_delay_alu instid0(VALU_DEP_1) | instskip(SKIP_3) | instid1(VALU_DEP_2)
	v_cmp_lt_u32_e32 vcc_lo, v9, v12
	s_waitcnt lgkmcnt(0)
	v_add_f32_e32 v14, v11, v10
	v_add_lshl_u32 v10, v13, v1, 2
	v_cndmask_b32_e32 v13, v11, v14, vcc_lo
	v_add_nc_u32_e32 v11, 16, v1
	ds_bpermute_b32 v14, v10, v13
	v_cmp_lt_u32_e32 vcc_lo, v11, v12
	s_waitcnt lgkmcnt(0)
	v_add_f32_e32 v14, v13, v14
	s_delay_alu instid0(VALU_DEP_1)
	v_cndmask_b32_e32 v12, v13, v14, vcc_lo
	v_cmpx_eq_u32_e32 0, v1
	s_cbranch_execz .LBB50_12
; %bb.11:
	v_lshrrev_b32_e32 v13, 3, v0
	s_delay_alu instid0(VALU_DEP_1)
	v_and_b32_e32 v13, 0x7c, v13
	ds_store_b32 v13, v12 offset:4096
.LBB50_12:
	s_or_b32 exec_lo, exec_lo, s9
	s_delay_alu instid0(SALU_CYCLE_1)
	s_mov_b32 s9, exec_lo
	s_waitcnt lgkmcnt(0)
	s_barrier
	buffer_gl0_inv
	v_cmpx_gt_u32_e32 32, v0
	s_cbranch_execz .LBB50_14
; %bb.13:
	v_lshlrev_b32_e32 v1, 2, v1
	s_add_i32 s3, s3, 31
	s_delay_alu instid0(SALU_CYCLE_1) | instskip(NEXT) | instid1(SALU_CYCLE_1)
	s_lshr_b32 s3, s3, 5
	v_cmp_gt_u32_e32 vcc_lo, s3, v3
	ds_load_b32 v1, v1 offset:4096
	s_waitcnt lgkmcnt(0)
	ds_bpermute_b32 v2, v2, v1
	s_waitcnt lgkmcnt(0)
	v_add_f32_e32 v2, v1, v2
	s_delay_alu instid0(VALU_DEP_1) | instskip(SKIP_4) | instid1(VALU_DEP_1)
	v_cndmask_b32_e32 v1, v1, v2, vcc_lo
	v_cmp_gt_u32_e32 vcc_lo, s3, v5
	ds_bpermute_b32 v2, v4, v1
	s_waitcnt lgkmcnt(0)
	v_add_f32_e32 v2, v1, v2
	v_cndmask_b32_e32 v1, v1, v2, vcc_lo
	v_cmp_gt_u32_e32 vcc_lo, s3, v7
	ds_bpermute_b32 v2, v6, v1
	s_waitcnt lgkmcnt(0)
	v_add_f32_e32 v2, v1, v2
	s_delay_alu instid0(VALU_DEP_1) | instskip(SKIP_4) | instid1(VALU_DEP_1)
	v_cndmask_b32_e32 v1, v1, v2, vcc_lo
	v_cmp_gt_u32_e32 vcc_lo, s3, v9
	ds_bpermute_b32 v2, v8, v1
	s_waitcnt lgkmcnt(0)
	v_add_f32_e32 v2, v1, v2
	v_cndmask_b32_e32 v1, v1, v2, vcc_lo
	v_cmp_gt_u32_e32 vcc_lo, s3, v11
	ds_bpermute_b32 v2, v10, v1
	s_waitcnt lgkmcnt(0)
	v_add_f32_e32 v2, v1, v2
	s_delay_alu instid0(VALU_DEP_1)
	v_cndmask_b32_e32 v12, v1, v2, vcc_lo
.LBB50_14:
	s_or_b32 exec_lo, exec_lo, s9
	s_delay_alu instid0(SALU_CYCLE_1)
	s_mov_b32 s3, exec_lo
	v_cmpx_eq_u32_e32 0, v0
	s_cbranch_execz .LBB50_16
; %bb.15:
	v_cvt_f32_i32_e32 v1, s13
	s_delay_alu instid0(VALU_DEP_1) | instskip(SKIP_1) | instid1(VALU_DEP_2)
	v_div_scale_f32 v2, null, v1, v1, v12
	v_div_scale_f32 v5, vcc_lo, v12, v1, v12
	v_rcp_f32_e32 v3, v2
	s_waitcnt_depctr 0xfff
	v_fma_f32 v4, -v2, v3, 1.0
	s_delay_alu instid0(VALU_DEP_1) | instskip(NEXT) | instid1(VALU_DEP_1)
	v_fmac_f32_e32 v3, v4, v3
	v_mul_f32_e32 v4, v5, v3
	s_delay_alu instid0(VALU_DEP_1) | instskip(NEXT) | instid1(VALU_DEP_1)
	v_fma_f32 v6, -v2, v4, v5
	v_fmac_f32_e32 v4, v6, v3
	s_delay_alu instid0(VALU_DEP_1) | instskip(NEXT) | instid1(VALU_DEP_1)
	v_fma_f32 v2, -v2, v4, v5
	v_div_fmas_f32 v2, v2, v3, v4
	s_delay_alu instid0(VALU_DEP_1) | instskip(NEXT) | instid1(VALU_DEP_1)
	v_div_fixup_f32 v1, v2, v1, v12
	v_add_f32_e32 v1, s12, v1
	s_delay_alu instid0(VALU_DEP_1) | instskip(SKIP_1) | instid1(VALU_DEP_2)
	v_mul_f32_e32 v2, 0x4b800000, v1
	v_cmp_gt_f32_e32 vcc_lo, 0x800000, v1
	v_cndmask_b32_e32 v1, v1, v2, vcc_lo
	s_delay_alu instid0(VALU_DEP_1) | instskip(SKIP_2) | instid1(VALU_DEP_1)
	v_rsq_f32_e32 v1, v1
	s_waitcnt_depctr 0xfff
	v_mul_f32_e32 v2, 0x45800000, v1
	v_dual_cndmask_b32 v1, v1, v2 :: v_dual_mov_b32 v2, 0
	ds_store_b32 v2, v1 offset:4224
.LBB50_16:
	s_or_b32 exec_lo, exec_lo, s3
	s_ashr_i32 s15, s13, 31
	v_mov_b32_e32 v4, 0
	s_lshr_b32 s3, s15, 25
	s_waitcnt lgkmcnt(0)
	s_add_i32 s3, s13, s3
	s_barrier
	s_ashr_i32 s12, s3, 7
	s_cmp_lt_u32 s16, s29
	buffer_gl0_inv
	s_cselect_b32 s9, 12, 18
	ds_load_b32 v28, v4 offset:4224
	s_add_u32 s18, s18, s9
	s_addc_u32 s19, s19, 0
	s_abs_i32 s9, s12
	global_load_u16 v1, v4, s[18:19]
	v_cvt_f32_u32_e32 v2, s9
	s_sub_i32 s18, 0, s9
	s_ashr_i32 s3, s3, 31
	s_delay_alu instid0(VALU_DEP_1) | instskip(SKIP_2) | instid1(VALU_DEP_1)
	v_rcp_iflag_f32_e32 v2, v2
	s_waitcnt_depctr 0xfff
	v_mul_f32_e32 v2, 0x4f7ffffe, v2
	v_cvt_u32_f32_e32 v2, v2
	s_delay_alu instid0(VALU_DEP_1) | instskip(NEXT) | instid1(VALU_DEP_1)
	v_readfirstlane_b32 s13, v2
	s_mul_i32 s18, s18, s13
	s_delay_alu instid0(SALU_CYCLE_1) | instskip(NEXT) | instid1(SALU_CYCLE_1)
	s_mul_hi_u32 s18, s13, s18
	s_add_i32 s13, s13, s18
	s_waitcnt vmcnt(0)
	v_readfirstlane_b32 s28, v1
	s_delay_alu instid0(VALU_DEP_1) | instskip(NEXT) | instid1(SALU_CYCLE_1)
	s_mul_hi_u32 s13, s28, s13
	s_mul_i32 s18, s13, s9
	s_add_i32 s19, s13, 1
	s_sub_i32 s18, s28, s18
	s_delay_alu instid0(SALU_CYCLE_1)
	s_sub_i32 s20, s18, s9
	s_cmp_ge_u32 s18, s9
	s_cselect_b32 s13, s19, s13
	s_cselect_b32 s18, s20, s18
	s_add_i32 s19, s13, 1
	s_cmp_ge_u32 s18, s9
	s_cselect_b32 s9, s19, s13
	s_delay_alu instid0(SALU_CYCLE_1) | instskip(NEXT) | instid1(SALU_CYCLE_1)
	s_xor_b32 s9, s9, s3
	s_sub_i32 s18, s9, s3
	s_delay_alu instid0(SALU_CYCLE_1) | instskip(SKIP_3) | instid1(VALU_DEP_1)
	s_abs_i32 s3, s18
	s_ashr_i32 s19, s18, 31
	v_cvt_f32_u32_e32 v1, s3
	s_sub_i32 s9, 0, s3
	v_rcp_iflag_f32_e32 v1, v1
	s_waitcnt_depctr 0xfff
	v_mul_f32_e32 v1, 0x4f7ffffe, v1
	s_delay_alu instid0(VALU_DEP_1) | instskip(NEXT) | instid1(VALU_DEP_1)
	v_cvt_u32_f32_e32 v1, v1
	v_mul_lo_u32 v2, s9, v1
	s_ashr_i32 s9, s8, 31
	s_delay_alu instid0(VALU_DEP_1) | instskip(NEXT) | instid1(VALU_DEP_1)
	v_mul_hi_u32 v2, v1, v2
	v_add_nc_u32_e32 v1, v1, v2
	s_delay_alu instid0(VALU_DEP_1) | instskip(NEXT) | instid1(VALU_DEP_1)
	v_mul_hi_u32 v1, v0, v1
	v_mul_lo_u32 v2, v1, s3
	v_add_nc_u32_e32 v3, 1, v1
	s_delay_alu instid0(VALU_DEP_2) | instskip(NEXT) | instid1(VALU_DEP_1)
	v_sub_nc_u32_e32 v2, v0, v2
	v_subrev_nc_u32_e32 v5, s3, v2
	v_cmp_le_u32_e32 vcc_lo, s3, v2
	s_delay_alu instid0(VALU_DEP_2) | instskip(NEXT) | instid1(VALU_DEP_1)
	v_dual_cndmask_b32 v2, v2, v5 :: v_dual_cndmask_b32 v1, v1, v3
	v_cmp_le_u32_e32 vcc_lo, s3, v2
	s_delay_alu instid0(VALU_DEP_2) | instskip(NEXT) | instid1(VALU_DEP_1)
	v_add_nc_u32_e32 v3, 1, v1
	v_cndmask_b32_e32 v1, v1, v3, vcc_lo
	s_delay_alu instid0(VALU_DEP_1) | instskip(NEXT) | instid1(VALU_DEP_1)
	v_xor_b32_e32 v1, s19, v1
	v_subrev_nc_u32_e32 v1, s19, v1
	s_delay_alu instid0(VALU_DEP_1) | instskip(SKIP_1) | instid1(VALU_DEP_2)
	v_ashrrev_i32_e32 v2, 31, v1
	v_mul_lo_u32 v3, v1, s18
	v_lshlrev_b64 v[7:8], 5, v[1:2]
	s_delay_alu instid0(VALU_DEP_2) | instskip(NEXT) | instid1(VALU_DEP_2)
	v_sub_nc_u32_e32 v3, v0, v3
	v_add_co_u32 v5, vcc_lo, v7, 32
	s_delay_alu instid0(VALU_DEP_3) | instskip(NEXT) | instid1(VALU_DEP_1)
	v_add_co_ci_u32_e32 v6, vcc_lo, 0, v8, vcc_lo
	v_cmp_gt_i64_e32 vcc_lo, s[8:9], v[5:6]
	v_cndmask_b32_e32 v6, s9, v6, vcc_lo
	v_cndmask_b32_e32 v5, s8, v5, vcc_lo
	v_add_co_u32 v7, vcc_lo, v7, v3
	v_add_co_ci_u32_e32 v8, vcc_lo, 0, v8, vcc_lo
	s_delay_alu instid0(VALU_DEP_3) | instskip(SKIP_2) | instid1(VALU_DEP_1)
	v_ashrrev_i32_e32 v10, 31, v5
	v_mov_b32_e32 v9, v5
	s_mov_b32 s9, exec_lo
	v_cmpx_lt_i64_e64 v[7:8], v[9:10]
	s_cbranch_execz .LBB50_26
; %bb.17:
	v_lshlrev_b64 v[11:12], 8, v[1:2]
	v_lshlrev_b64 v[13:14], 3, v[3:4]
	v_mov_b32_e32 v4, 0
	s_lshl_b64 s[20:21], s[18:19], 5
	s_mul_hi_i32 s13, s18, 3
	s_mul_i32 s30, s18, 3
	s_lshl_b64 s[22:23], s[18:19], 1
	v_add_co_u32 v19, vcc_lo, v11, v13
	v_add_co_ci_u32_e32 v20, vcc_lo, v12, v14, vcc_lo
	v_dual_mov_b32 v12, v8 :: v_dual_mov_b32 v11, v7
	s_lshl_b64 s[24:25], s[18:19], 3
	s_mov_b32 s31, 0
                                        ; implicit-def: $sgpr33
	s_branch .LBB50_21
.LBB50_18:                              ;   in Loop: Header=BB50_21 Depth=1
	s_or_b32 exec_lo, exec_lo, s36
	s_delay_alu instid0(SALU_CYCLE_1)
	s_or_not1_b32 s3, s3, exec_lo
.LBB50_19:                              ;   in Loop: Header=BB50_21 Depth=1
	s_or_b32 exec_lo, exec_lo, s35
	s_delay_alu instid0(SALU_CYCLE_1) | instskip(SKIP_1) | instid1(SALU_CYCLE_1)
	s_and_not1_b32 s33, s33, exec_lo
	s_and_b32 s3, s3, exec_lo
	s_or_b32 s33, s33, s3
.LBB50_20:                              ;   in Loop: Header=BB50_21 Depth=1
	s_or_b32 exec_lo, exec_lo, s34
	s_delay_alu instid0(SALU_CYCLE_1) | instskip(NEXT) | instid1(SALU_CYCLE_1)
	s_and_b32 s3, exec_lo, s33
	s_or_b32 s31, s3, s31
	s_delay_alu instid0(SALU_CYCLE_1)
	s_and_not1_b32 exec_lo, exec_lo, s31
	s_cbranch_execz .LBB50_25
.LBB50_21:                              ; =>This Inner Loop Header: Depth=1
	v_add_co_u32 v17, vcc_lo, s10, v19
	v_add_co_ci_u32_e32 v18, vcc_lo, s11, v20, vcc_lo
	v_add_co_u32 v15, vcc_lo, s26, v19
	v_add_co_ci_u32_e32 v16, vcc_lo, s27, v20, vcc_lo
	s_or_b32 s33, s33, exec_lo
	global_load_b64 v[13:14], v[17:18], off
	global_load_b64 v[21:22], v[15:16], off
	s_mov_b32 s34, exec_lo
	s_waitcnt vmcnt(1)
	v_lshrrev_b32_e32 v23, 16, v13
	s_waitcnt vmcnt(0) lgkmcnt(0)
	v_fma_mixlo_f16 v24, v28, v21, 0 op_sel_hi:[0,1,0]
	v_fma_mixlo_f16 v21, v28, v21, 0 op_sel:[0,1,0] op_sel_hi:[0,1,0]
	v_lshrrev_b32_e32 v25, 16, v14
	v_fma_mixlo_f16 v26, v28, v22, 0 op_sel_hi:[0,1,0]
	v_fma_mixlo_f16 v22, v28, v22, 0 op_sel:[0,1,0] op_sel_hi:[0,1,0]
	v_mul_f16_e32 v13, v13, v24
	v_mul_f16_e32 v21, v23, v21
	s_delay_alu instid0(VALU_DEP_4) | instskip(NEXT) | instid1(VALU_DEP_4)
	v_mul_f16_e32 v23, v14, v26
	v_mul_f16_e32 v22, v25, v22
	s_delay_alu instid0(VALU_DEP_4) | instskip(NEXT) | instid1(VALU_DEP_4)
	v_cvt_f32_f16_e64 v24, |v13|
	v_cvt_f32_f16_e64 v21, |v21|
	v_add_co_u32 v13, vcc_lo, v11, s18
	v_cvt_f32_f16_e64 v23, |v23|
	v_add_co_ci_u32_e32 v14, vcc_lo, s19, v12, vcc_lo
	s_delay_alu instid0(VALU_DEP_4) | instskip(SKIP_1) | instid1(VALU_DEP_1)
	v_max3_f32 v4, v4, v24, v21
	v_cvt_f32_f16_e64 v21, |v22|
	v_max3_f32 v4, v4, v23, v21
	s_delay_alu instid0(VALU_DEP_4)
	v_cmpx_lt_i64_e64 v[13:14], v[9:10]
	s_cbranch_execz .LBB50_20
; %bb.22:                               ;   in Loop: Header=BB50_21 Depth=1
	v_add_co_u32 v17, vcc_lo, v17, s24
	v_add_co_ci_u32_e32 v18, vcc_lo, s25, v18, vcc_lo
	v_add_co_u32 v15, vcc_lo, v15, s24
	v_add_co_ci_u32_e32 v16, vcc_lo, s25, v16, vcc_lo
	s_mov_b32 s3, -1
	global_load_b64 v[21:22], v[17:18], off
	global_load_b64 v[23:24], v[15:16], off
	s_mov_b32 s35, exec_lo
	s_waitcnt vmcnt(1)
	v_lshrrev_b32_e32 v25, 16, v21
	s_waitcnt vmcnt(0)
	v_fma_mixlo_f16 v26, v28, v23, 0 op_sel_hi:[0,1,0]
	v_fma_mixlo_f16 v23, v28, v23, 0 op_sel:[0,1,0] op_sel_hi:[0,1,0]
	v_lshrrev_b32_e32 v27, 16, v22
	v_fma_mixlo_f16 v29, v28, v24, 0 op_sel_hi:[0,1,0]
	v_fma_mixlo_f16 v24, v28, v24, 0 op_sel:[0,1,0] op_sel_hi:[0,1,0]
	v_mul_f16_e32 v21, v21, v26
	v_mul_f16_e32 v23, v25, v23
	s_delay_alu instid0(VALU_DEP_4) | instskip(NEXT) | instid1(VALU_DEP_4)
	v_mul_f16_e32 v25, v22, v29
	v_mul_f16_e32 v24, v27, v24
	s_delay_alu instid0(VALU_DEP_4) | instskip(NEXT) | instid1(VALU_DEP_4)
	v_cvt_f32_f16_e64 v26, |v21|
	v_cvt_f32_f16_e64 v23, |v23|
	v_add_co_u32 v21, vcc_lo, s22, v11
	v_cvt_f32_f16_e64 v25, |v25|
	v_add_co_ci_u32_e32 v22, vcc_lo, s23, v12, vcc_lo
	s_delay_alu instid0(VALU_DEP_4) | instskip(SKIP_1) | instid1(VALU_DEP_1)
	v_max3_f32 v4, v4, v26, v23
	v_cvt_f32_f16_e64 v23, |v24|
	v_max3_f32 v4, v4, v25, v23
	s_delay_alu instid0(VALU_DEP_4)
	v_cmpx_lt_i64_e64 v[21:22], v[9:10]
	s_cbranch_execz .LBB50_19
; %bb.23:                               ;   in Loop: Header=BB50_21 Depth=1
	v_add_co_u32 v17, vcc_lo, v17, s24
	v_add_co_ci_u32_e32 v18, vcc_lo, s25, v18, vcc_lo
	v_add_co_u32 v15, vcc_lo, v15, s24
	v_add_co_ci_u32_e32 v16, vcc_lo, s25, v16, vcc_lo
	v_add_co_u32 v11, vcc_lo, s30, v11
	global_load_b64 v[21:22], v[17:18], off
	global_load_b64 v[23:24], v[15:16], off
	v_add_co_ci_u32_e32 v12, vcc_lo, s13, v12, vcc_lo
	s_delay_alu instid0(VALU_DEP_1)
	v_cmp_lt_i64_e32 vcc_lo, v[11:12], v[9:10]
                                        ; implicit-def: $vgpr11_vgpr12
	s_waitcnt vmcnt(1)
	v_lshrrev_b32_e32 v25, 16, v21
	s_waitcnt vmcnt(0)
	v_fma_mixlo_f16 v26, v28, v23, 0 op_sel_hi:[0,1,0]
	v_fma_mixlo_f16 v23, v28, v23, 0 op_sel:[0,1,0] op_sel_hi:[0,1,0]
	v_lshrrev_b32_e32 v27, 16, v22
	v_fma_mixlo_f16 v29, v28, v24, 0 op_sel_hi:[0,1,0]
	v_fma_mixlo_f16 v24, v28, v24, 0 op_sel:[0,1,0] op_sel_hi:[0,1,0]
	v_mul_f16_e32 v21, v21, v26
	v_mul_f16_e32 v23, v25, v23
	s_delay_alu instid0(VALU_DEP_4) | instskip(NEXT) | instid1(VALU_DEP_4)
	v_mul_f16_e32 v22, v22, v29
	v_mul_f16_e32 v24, v27, v24
	s_delay_alu instid0(VALU_DEP_4) | instskip(NEXT) | instid1(VALU_DEP_4)
	v_cvt_f32_f16_e64 v21, |v21|
	v_cvt_f32_f16_e64 v23, |v23|
	s_delay_alu instid0(VALU_DEP_4) | instskip(NEXT) | instid1(VALU_DEP_2)
	v_cvt_f32_f16_e64 v22, |v22|
	v_max3_f32 v4, v4, v21, v23
	v_cvt_f32_f16_e64 v21, |v24|
	s_delay_alu instid0(VALU_DEP_1) | instskip(SKIP_1) | instid1(SALU_CYCLE_1)
	v_max3_f32 v4, v4, v22, v21
	s_and_saveexec_b32 s36, vcc_lo
	s_xor_b32 s36, exec_lo, s36
	s_cbranch_execz .LBB50_18
; %bb.24:                               ;   in Loop: Header=BB50_21 Depth=1
	v_add_co_u32 v11, vcc_lo, v17, s24
	v_add_co_ci_u32_e32 v12, vcc_lo, s25, v18, vcc_lo
	v_add_co_u32 v15, vcc_lo, v15, s24
	v_add_co_ci_u32_e32 v16, vcc_lo, s25, v16, vcc_lo
	s_add_u32 s3, s18, s18
	global_load_b64 v[11:12], v[11:12], off
	global_load_b64 v[15:16], v[15:16], off
	s_addc_u32 s37, s19, s19
	s_add_u32 s3, s3, s18
	s_addc_u32 s37, s37, s19
	s_waitcnt vmcnt(1)
	v_lshrrev_b32_e32 v17, 16, v11
	s_waitcnt vmcnt(0)
	v_fma_mixlo_f16 v18, v28, v15, 0 op_sel_hi:[0,1,0]
	v_fma_mixlo_f16 v15, v28, v15, 0 op_sel:[0,1,0] op_sel_hi:[0,1,0]
	v_lshrrev_b32_e32 v21, 16, v12
	v_fma_mixlo_f16 v22, v28, v16, 0 op_sel_hi:[0,1,0]
	v_fma_mixlo_f16 v16, v28, v16, 0 op_sel:[0,1,0] op_sel_hi:[0,1,0]
	v_mul_f16_e32 v11, v11, v18
	v_mul_f16_e32 v15, v17, v15
	s_delay_alu instid0(VALU_DEP_4) | instskip(NEXT) | instid1(VALU_DEP_4)
	v_mul_f16_e32 v17, v12, v22
	v_mul_f16_e32 v16, v21, v16
	s_delay_alu instid0(VALU_DEP_4) | instskip(NEXT) | instid1(VALU_DEP_4)
	v_cvt_f32_f16_e64 v18, |v11|
	v_cvt_f32_f16_e64 v15, |v15|
	v_add_co_u32 v11, vcc_lo, s3, v13
	v_add_co_ci_u32_e32 v12, vcc_lo, s37, v14, vcc_lo
	v_cvt_f32_f16_e64 v13, |v17|
	v_cvt_f32_f16_e64 v14, |v16|
	v_max3_f32 v4, v4, v18, v15
	s_delay_alu instid0(VALU_DEP_4) | instskip(SKIP_1) | instid1(VALU_DEP_1)
	v_cmp_ge_i64_e32 vcc_lo, v[11:12], v[9:10]
	v_add_co_u32 v19, s3, v19, s20
	v_add_co_ci_u32_e64 v20, s3, s21, v20, s3
	s_delay_alu instid0(VALU_DEP_4)
	v_max3_f32 v4, v4, v13, v14
	s_or_not1_b32 s3, vcc_lo, exec_lo
	s_branch .LBB50_18
.LBB50_25:
	s_or_b32 exec_lo, exec_lo, s31
.LBB50_26:
	s_delay_alu instid0(SALU_CYCLE_1)
	s_or_b32 exec_lo, exec_lo, s9
	s_lshr_b32 s9, s28, 5
	v_lshlrev_b32_e32 v29, 2, v0
	v_cvt_f32_u32_e32 v9, s9
	s_sub_i32 s13, 0, s9
	s_add_i32 s20, s12, s9
	s_delay_alu instid0(SALU_CYCLE_1) | instskip(NEXT) | instid1(VALU_DEP_1)
	s_add_i32 s20, s20, -1
	v_rcp_iflag_f32_e32 v9, v9
	s_abs_i32 s21, s20
	s_ashr_i32 s20, s20, 31
	ds_store_b32 v29, v4
	s_waitcnt lgkmcnt(0)
	s_barrier
	buffer_gl0_inv
	v_mul_f32_e32 v9, 0x4f7ffffe, v9
	s_delay_alu instid0(VALU_DEP_1) | instskip(NEXT) | instid1(VALU_DEP_1)
	v_cvt_u32_f32_e32 v9, v9
	v_readfirstlane_b32 s3, v9
	s_delay_alu instid0(VALU_DEP_1) | instskip(NEXT) | instid1(SALU_CYCLE_1)
	s_mul_i32 s13, s13, s3
	s_mul_hi_u32 s13, s3, s13
	s_delay_alu instid0(SALU_CYCLE_1) | instskip(NEXT) | instid1(SALU_CYCLE_1)
	s_add_i32 s3, s3, s13
	s_mul_hi_u32 s3, s21, s3
	s_delay_alu instid0(SALU_CYCLE_1) | instskip(NEXT) | instid1(SALU_CYCLE_1)
	s_mul_i32 s13, s3, s9
	s_sub_i32 s13, s21, s13
	s_add_i32 s21, s3, 1
	s_sub_i32 s22, s13, s9
	s_cmp_ge_u32 s13, s9
	s_cselect_b32 s3, s21, s3
	s_cselect_b32 s13, s22, s13
	s_add_i32 s21, s3, 1
	s_cmp_ge_u32 s13, s9
	s_cselect_b32 s3, s21, s3
	s_delay_alu instid0(SALU_CYCLE_1) | instskip(NEXT) | instid1(SALU_CYCLE_1)
	s_xor_b32 s3, s3, s20
	s_sub_i32 s20, s3, s20
	s_delay_alu instid0(SALU_CYCLE_1) | instskip(NEXT) | instid1(SALU_CYCLE_1)
	s_ashr_i32 s21, s20, 31
	v_cmp_lt_i64_e64 s3, s[20:21], 1
	s_delay_alu instid0(VALU_DEP_1)
	s_and_b32 vcc_lo, exec_lo, s3
	s_cbranch_vccnz .LBB50_46
; %bb.27:
	v_lshrrev_b32_e32 v9, 5, v0
	v_and_b32_e32 v4, 31, v0
	s_ashr_i32 s13, s12, 31
	s_mov_b64 s[22:23], 0
	s_mov_b64 s[24:25], src_shared_base
	v_mul_lo_u32 v19, s18, v9
	v_add_co_u32 v11, s3, v4, 16
	s_delay_alu instid0(VALU_DEP_1) | instskip(SKIP_1) | instid1(VALU_DEP_1)
	v_add_co_ci_u32_e64 v12, null, 0, 0, s3
	v_add_co_u32 v13, s3, v4, 8
	v_add_co_ci_u32_e64 v14, null, 0, 0, s3
	v_add_co_u32 v15, s3, v4, 4
	v_dual_mov_b32 v10, 0 :: v_dual_lshlrev_b32 v21, 2, v19
	v_lshlrev_b32_e32 v22, 2, v4
	v_add_co_ci_u32_e64 v16, null, 0, 0, s3
	v_add_co_u32 v17, s3, v4, 2
	s_delay_alu instid0(VALU_DEP_1) | instskip(SKIP_1) | instid1(VALU_DEP_1)
	v_add_co_ci_u32_e64 v18, null, 0, 0, s3
	v_add_co_u32 v19, s3, v4, 1
	v_add_co_ci_u32_e64 v20, null, 0, 0, s3
	v_add3_u32 v30, v21, v22, 0x80
	s_mul_i32 s3, s18, s9
	s_delay_alu instid0(SALU_CYCLE_1)
	s_lshl_b32 s30, s3, 2
	s_branch .LBB50_30
.LBB50_28:                              ;   in Loop: Header=BB50_30 Depth=1
	s_or_b32 exec_lo, exec_lo, s3
	v_mov_b32_e32 v22, s25
	flat_load_b32 v21, v[21:22] glc dlc
	s_waitcnt vmcnt(0)
.LBB50_29:                              ;   in Loop: Header=BB50_30 Depth=1
	s_or_b32 exec_lo, exec_lo, s24
	s_add_u32 s22, s22, 1
	v_add_nc_u32_e32 v30, s30, v30
	s_addc_u32 s23, s23, 0
	s_delay_alu instid0(SALU_CYCLE_1)
	s_cmp_eq_u64 s[22:23], s[20:21]
	s_cbranch_scc1 .LBB50_46
.LBB50_30:                              ; =>This Loop Header: Depth=1
                                        ;     Child Loop BB50_33 Depth 2
	s_waitcnt lgkmcnt(0)
	v_mad_u64_u32 v[21:22], null, s22, s9, v[9:10]
	s_mov_b32 s24, exec_lo
	s_delay_alu instid0(VALU_DEP_1) | instskip(NEXT) | instid1(VALU_DEP_1)
	v_mad_u64_u32 v[23:24], null, s23, s9, v[22:23]
	v_mov_b32_e32 v22, v23
	s_delay_alu instid0(VALU_DEP_1)
	v_cmpx_gt_i64_e64 s[12:13], v[21:22]
	s_cbranch_execz .LBB50_29
; %bb.31:                               ;   in Loop: Header=BB50_30 Depth=1
	v_mul_lo_u32 v24, v22, s18
	v_mul_lo_u32 v25, v21, s19
	v_mad_u64_u32 v[22:23], null, v21, s18, 0
	s_delay_alu instid0(VALU_DEP_1) | instskip(NEXT) | instid1(VALU_DEP_2)
	v_add3_u32 v23, v23, v25, v24
	v_add_co_u32 v24, vcc_lo, v22, s18
	v_add_co_u32 v31, s3, v22, v4
	s_delay_alu instid0(VALU_DEP_3) | instskip(SKIP_2) | instid1(VALU_DEP_2)
	v_add_co_ci_u32_e32 v25, vcc_lo, s19, v23, vcc_lo
	v_add_co_ci_u32_e64 v21, s3, 0, v23, s3
	s_mov_b32 s3, exec_lo
	v_cmp_gt_i64_e32 vcc_lo, s[14:15], v[24:25]
	v_cndmask_b32_e32 v25, s15, v25, vcc_lo
	v_cndmask_b32_e32 v24, s14, v24, vcc_lo
	v_add_co_u32 v26, vcc_lo, v31, 32
	v_add_co_ci_u32_e32 v27, vcc_lo, 0, v21, vcc_lo
	v_lshlrev_b32_e32 v21, 2, v31
	s_delay_alu instid0(VALU_DEP_2)
	v_cmpx_lt_i64_e64 v[26:27], v[24:25]
	s_cbranch_execz .LBB50_34
; %bb.32:                               ;   in Loop: Header=BB50_30 Depth=1
	ds_load_b32 v33, v21
	v_mov_b32_e32 v32, v30
	s_mov_b32 s31, 0
.LBB50_33:                              ;   Parent Loop BB50_30 Depth=1
                                        ; =>  This Inner Loop Header: Depth=2
	ds_load_b32 v34, v32
	v_add_co_u32 v26, vcc_lo, v26, 32
	v_add_co_ci_u32_e32 v27, vcc_lo, 0, v27, vcc_lo
	s_waitcnt lgkmcnt(1)
	v_dual_max_f32 v33, v33, v33 :: v_dual_add_nc_u32 v32, 0x80, v32
	s_delay_alu instid0(VALU_DEP_2) | instskip(SKIP_3) | instid1(VALU_DEP_1)
	v_cmp_ge_i64_e32 vcc_lo, v[26:27], v[24:25]
	s_or_b32 s31, vcc_lo, s31
	s_waitcnt lgkmcnt(0)
	v_max_f32_e32 v34, v34, v34
	v_max_f32_e32 v33, v33, v34
	ds_store_b32 v21, v33
	s_and_not1_b32 exec_lo, exec_lo, s31
	s_cbranch_execnz .LBB50_33
.LBB50_34:                              ;   in Loop: Header=BB50_30 Depth=1
	s_or_b32 exec_lo, exec_lo, s3
	v_sub_co_u32 v22, vcc_lo, v24, v22
	v_sub_co_ci_u32_e32 v23, vcc_lo, v25, v23, vcc_lo
	s_mov_b32 s3, exec_lo
	s_delay_alu instid0(VALU_DEP_1) | instskip(SKIP_1) | instid1(VALU_DEP_1)
	v_cmp_gt_i64_e32 vcc_lo, 32, v[22:23]
	v_dual_cndmask_b32 v24, 0, v23 :: v_dual_cndmask_b32 v23, 32, v22
	v_cmpx_lt_i64_e64 v[11:12], v[23:24]
	s_cbranch_execz .LBB50_36
; %bb.35:                               ;   in Loop: Header=BB50_30 Depth=1
	v_dual_mov_b32 v22, s25 :: v_dual_add_nc_u32 v25, 64, v21
	v_mov_b32_e32 v26, s25
	flat_load_b32 v27, v[21:22] glc dlc
	s_waitcnt vmcnt(0)
	flat_load_b32 v25, v[25:26] glc dlc
	s_waitcnt vmcnt(0) lgkmcnt(0)
	v_dual_max_f32 v26, v27, v27 :: v_dual_max_f32 v25, v25, v25
	s_delay_alu instid0(VALU_DEP_1)
	v_max_f32_e32 v25, v26, v25
	flat_store_b32 v[21:22], v25 dlc
	s_waitcnt_vscnt null, 0x0
.LBB50_36:                              ;   in Loop: Header=BB50_30 Depth=1
	s_or_b32 exec_lo, exec_lo, s3
	s_delay_alu instid0(SALU_CYCLE_1)
	s_mov_b32 s3, exec_lo
	v_cmpx_lt_i64_e64 v[13:14], v[23:24]
	s_cbranch_execz .LBB50_38
; %bb.37:                               ;   in Loop: Header=BB50_30 Depth=1
	v_dual_mov_b32 v22, s25 :: v_dual_add_nc_u32 v25, 32, v21
	v_mov_b32_e32 v26, s25
	flat_load_b32 v27, v[21:22] glc dlc
	s_waitcnt vmcnt(0)
	flat_load_b32 v25, v[25:26] glc dlc
	s_waitcnt vmcnt(0) lgkmcnt(0)
	v_dual_max_f32 v26, v27, v27 :: v_dual_max_f32 v25, v25, v25
	s_delay_alu instid0(VALU_DEP_1)
	v_max_f32_e32 v25, v26, v25
	flat_store_b32 v[21:22], v25 dlc
	s_waitcnt_vscnt null, 0x0
.LBB50_38:                              ;   in Loop: Header=BB50_30 Depth=1
	s_or_b32 exec_lo, exec_lo, s3
	s_delay_alu instid0(SALU_CYCLE_1)
	s_mov_b32 s3, exec_lo
	v_cmpx_ge_i64_e64 v[15:16], v[23:24]
	s_xor_b32 s3, exec_lo, s3
; %bb.39:                               ;   in Loop: Header=BB50_30 Depth=1
                                        ; implicit-def: $vgpr21
; %bb.40:                               ;   in Loop: Header=BB50_30 Depth=1
	s_delay_alu instid0(SALU_CYCLE_1)
	s_and_not1_saveexec_b32 s3, s3
	s_cbranch_execz .LBB50_42
; %bb.41:                               ;   in Loop: Header=BB50_30 Depth=1
	v_dual_mov_b32 v22, s25 :: v_dual_add_nc_u32 v25, 16, v21
	v_mov_b32_e32 v26, s25
	flat_load_b32 v27, v[21:22] glc dlc
	s_waitcnt vmcnt(0)
	flat_load_b32 v25, v[25:26] glc dlc
	s_waitcnt vmcnt(0) lgkmcnt(0)
	v_dual_max_f32 v26, v27, v27 :: v_dual_max_f32 v25, v25, v25
	s_delay_alu instid0(VALU_DEP_1)
	v_max_f32_e32 v25, v26, v25
	flat_store_b32 v[21:22], v25 dlc
	s_waitcnt_vscnt null, 0x0
.LBB50_42:                              ;   in Loop: Header=BB50_30 Depth=1
	s_or_b32 exec_lo, exec_lo, s3
	v_lshlrev_b32_e32 v21, 2, v31
	s_mov_b32 s3, exec_lo
	v_cmpx_lt_i64_e64 v[17:18], v[23:24]
	s_cbranch_execz .LBB50_44
; %bb.43:                               ;   in Loop: Header=BB50_30 Depth=1
	s_delay_alu instid0(VALU_DEP_2)
	v_dual_mov_b32 v22, s25 :: v_dual_add_nc_u32 v25, 8, v21
	v_mov_b32_e32 v26, s25
	flat_load_b32 v27, v[21:22] glc dlc
	s_waitcnt vmcnt(0)
	flat_load_b32 v25, v[25:26] glc dlc
	s_waitcnt vmcnt(0) lgkmcnt(0)
	v_dual_max_f32 v26, v27, v27 :: v_dual_max_f32 v25, v25, v25
	s_delay_alu instid0(VALU_DEP_1)
	v_max_f32_e32 v25, v26, v25
	flat_store_b32 v[21:22], v25 dlc
	s_waitcnt_vscnt null, 0x0
.LBB50_44:                              ;   in Loop: Header=BB50_30 Depth=1
	s_or_b32 exec_lo, exec_lo, s3
	s_delay_alu instid0(SALU_CYCLE_1)
	s_mov_b32 s3, exec_lo
	v_cmpx_lt_i64_e64 v[19:20], v[23:24]
	s_cbranch_execz .LBB50_28
; %bb.45:                               ;   in Loop: Header=BB50_30 Depth=1
	v_dual_mov_b32 v22, s25 :: v_dual_add_nc_u32 v23, 4, v21
	v_mov_b32_e32 v24, s25
	flat_load_b32 v25, v[21:22] glc dlc
	s_waitcnt vmcnt(0)
	flat_load_b32 v23, v[23:24] glc dlc
	s_waitcnt vmcnt(0) lgkmcnt(0)
	v_dual_max_f32 v24, v25, v25 :: v_dual_max_f32 v23, v23, v23
	s_delay_alu instid0(VALU_DEP_1)
	v_max_f32_e32 v23, v24, v23
	flat_store_b32 v[21:22], v23 dlc
	s_waitcnt_vscnt null, 0x0
	s_branch .LBB50_28
.LBB50_46:
	s_load_b64 s[12:13], s[0:1], 0x40
	v_cmp_lt_i64_e32 vcc_lo, v[7:8], v[5:6]
	v_cmp_eq_u32_e64 s3, 0, v3
	s_waitcnt lgkmcnt(0)
	s_barrier
	buffer_gl0_inv
	s_and_b32 s9, s3, vcc_lo
	s_delay_alu instid0(SALU_CYCLE_1)
	s_and_saveexec_b32 s3, s9
	s_cbranch_execz .LBB50_53
; %bb.47:
	s_load_b64 s[0:1], s[0:1], 0x20
	ds_load_b32 v5, v29
	s_waitcnt lgkmcnt(0)
	s_cmp_eq_u64 s[0:1], 0
	s_cbranch_scc1 .LBB50_49
; %bb.48:
	s_load_b32 s0, s[0:1], 0x0
	v_max_f32_e32 v3, v5, v5
	s_waitcnt lgkmcnt(0)
	v_max_f32_e64 v4, s0, s0
	s_delay_alu instid0(VALU_DEP_1)
	v_min_f32_e32 v5, v3, v4
.LBB50_49:
	s_add_u32 s0, s12, s29
	s_addc_u32 s1, s13, 0
	s_add_u32 s18, s0, -1
	s_addc_u32 s19, s1, -1
	s_delay_alu instid0(SALU_CYCLE_1) | instskip(SKIP_1) | instid1(SALU_CYCLE_1)
	s_or_b64 s[20:21], s[18:19], s[12:13]
	s_mov_b32 s20, 0
	s_cmp_lg_u64 s[20:21], 0
	s_cbranch_scc0 .LBB50_66
; %bb.50:
	s_ashr_i32 s0, s13, 31
	s_delay_alu instid0(SALU_CYCLE_1) | instskip(SKIP_2) | instid1(SALU_CYCLE_1)
	s_add_u32 s22, s12, s0
	s_mov_b32 s1, s0
	s_addc_u32 s23, s13, s0
	s_xor_b64 s[0:1], s[22:23], s[0:1]
	s_delay_alu instid0(SALU_CYCLE_1) | instskip(SKIP_3) | instid1(VALU_DEP_1)
	v_cvt_f32_u32_e32 v3, s0
	v_cvt_f32_u32_e32 v4, s1
	s_sub_u32 s22, 0, s0
	s_subb_u32 s23, 0, s1
	v_fmamk_f32 v3, v4, 0x4f800000, v3
	s_delay_alu instid0(VALU_DEP_1) | instskip(SKIP_2) | instid1(VALU_DEP_1)
	v_rcp_f32_e32 v3, v3
	s_waitcnt_depctr 0xfff
	v_mul_f32_e32 v3, 0x5f7ffffc, v3
	v_mul_f32_e32 v4, 0x2f800000, v3
	s_delay_alu instid0(VALU_DEP_1) | instskip(NEXT) | instid1(VALU_DEP_1)
	v_trunc_f32_e32 v4, v4
	v_fmamk_f32 v3, v4, 0xcf800000, v3
	v_cvt_u32_f32_e32 v4, v4
	s_delay_alu instid0(VALU_DEP_2) | instskip(NEXT) | instid1(VALU_DEP_2)
	v_cvt_u32_f32_e32 v3, v3
	v_readfirstlane_b32 s9, v4
	s_delay_alu instid0(VALU_DEP_2) | instskip(NEXT) | instid1(VALU_DEP_2)
	v_readfirstlane_b32 s21, v3
	s_mul_i32 s24, s22, s9
	s_delay_alu instid0(VALU_DEP_1)
	s_mul_hi_u32 s30, s22, s21
	s_mul_i32 s25, s23, s21
	s_add_i32 s24, s30, s24
	s_mul_i32 s31, s22, s21
	s_add_i32 s24, s24, s25
	s_mul_hi_u32 s30, s21, s31
	s_mul_hi_u32 s33, s9, s31
	s_mul_i32 s25, s9, s31
	s_mul_hi_u32 s31, s21, s24
	s_mul_i32 s21, s21, s24
	s_mul_hi_u32 s34, s9, s24
	s_add_u32 s21, s30, s21
	s_addc_u32 s30, 0, s31
	s_add_u32 s21, s21, s25
	s_mul_i32 s24, s9, s24
	s_addc_u32 s21, s30, s33
	s_addc_u32 s25, s34, 0
	s_add_u32 s21, s21, s24
	s_addc_u32 s24, 0, s25
	v_add_co_u32 v3, s21, v3, s21
	s_delay_alu instid0(VALU_DEP_1) | instskip(SKIP_1) | instid1(VALU_DEP_1)
	s_cmp_lg_u32 s21, 0
	s_addc_u32 s9, s9, s24
	v_readfirstlane_b32 s21, v3
	s_mul_i32 s24, s22, s9
	s_delay_alu instid0(VALU_DEP_1)
	s_mul_hi_u32 s25, s22, s21
	s_mul_i32 s23, s23, s21
	s_add_i32 s24, s25, s24
	s_mul_i32 s22, s22, s21
	s_add_i32 s24, s24, s23
	s_mul_hi_u32 s25, s9, s22
	s_mul_i32 s30, s9, s22
	s_mul_hi_u32 s22, s21, s22
	s_mul_hi_u32 s31, s21, s24
	s_mul_i32 s21, s21, s24
	s_mul_hi_u32 s23, s9, s24
	s_add_u32 s21, s22, s21
	s_addc_u32 s22, 0, s31
	s_add_u32 s21, s21, s30
	s_mul_i32 s24, s9, s24
	s_addc_u32 s21, s22, s25
	s_addc_u32 s22, s23, 0
	s_add_u32 s21, s21, s24
	s_addc_u32 s22, 0, s22
	v_add_co_u32 v3, s21, v3, s21
	s_delay_alu instid0(VALU_DEP_1) | instskip(SKIP_2) | instid1(VALU_DEP_1)
	s_cmp_lg_u32 s21, 0
	s_addc_u32 s9, s9, s22
	s_ashr_i32 s22, s19, 31
	v_readfirstlane_b32 s21, v3
	s_add_u32 s24, s18, s22
	s_mov_b32 s23, s22
	s_addc_u32 s25, s19, s22
	s_delay_alu instid0(SALU_CYCLE_1) | instskip(NEXT) | instid1(SALU_CYCLE_1)
	s_xor_b64 s[24:25], s[24:25], s[22:23]
	s_mul_i32 s30, s24, s9
	s_mul_hi_u32 s31, s24, s21
	s_mul_hi_u32 s23, s24, s9
	;; [unrolled: 1-line block ×3, first 2 shown]
	s_mul_i32 s21, s25, s21
	s_add_u32 s30, s31, s30
	s_addc_u32 s23, 0, s23
	s_mul_hi_u32 s33, s25, s9
	s_add_u32 s21, s30, s21
	s_mul_i32 s9, s25, s9
	s_addc_u32 s21, s23, s34
	s_addc_u32 s23, s33, 0
	s_add_u32 s9, s21, s9
	s_addc_u32 s21, 0, s23
	s_mul_hi_u32 s23, s0, s9
	s_mul_i32 s21, s0, s21
	s_mul_i32 s30, s1, s9
	;; [unrolled: 1-line block ×3, first 2 shown]
	s_add_i32 s21, s23, s21
	v_sub_co_u32 v3, s9, s24, s9
	s_add_i32 s21, s21, s30
	s_delay_alu instid0(SALU_CYCLE_1) | instskip(SKIP_1) | instid1(VALU_DEP_1)
	s_sub_i32 s23, s25, s21
	s_cmp_lg_u32 s9, 0
	v_sub_co_u32 v4, s24, v3, s0
	s_subb_u32 s23, s23, s1
	s_cmp_lg_u32 s24, 0
	s_subb_u32 s30, s23, 0
	s_delay_alu instid0(VALU_DEP_1)
	v_cmp_le_u32_e32 vcc_lo, s0, v4
	s_cmp_ge_u32 s30, s1
	s_cselect_b32 s31, -1, 0
	s_cmp_eq_u32 s30, s1
	v_cndmask_b32_e64 v6, 0, -1, vcc_lo
	s_cselect_b32 vcc_lo, -1, 0
	s_cmp_lg_u32 s24, 0
	v_sub_co_u32 v7, s24, v4, s0
	s_subb_u32 s23, s23, s1
	s_cmp_lg_u32 s24, 0
	v_cndmask_b32_e32 v6, s31, v6, vcc_lo
	s_subb_u32 s23, s23, 0
	s_cmp_lg_u32 s9, 0
	v_cmp_le_u32_e32 vcc_lo, s0, v3
	s_subb_u32 s9, s25, s21
	s_delay_alu instid0(SALU_CYCLE_1)
	s_cmp_ge_u32 s9, s1
	v_cndmask_b32_e64 v8, 0, -1, vcc_lo
	s_cselect_b32 s21, -1, 0
	s_cmp_eq_u32 s9, s1
	v_cmp_ne_u32_e32 vcc_lo, 0, v6
	v_mov_b32_e32 v6, s23
	s_cselect_b32 s0, -1, 0
	s_delay_alu instid0(SALU_CYCLE_1) | instskip(SKIP_1) | instid1(VALU_DEP_3)
	v_cndmask_b32_e64 v8, s21, v8, s0
	v_cndmask_b32_e32 v4, v4, v7, vcc_lo
	v_cndmask_b32_e32 v6, s30, v6, vcc_lo
	s_delay_alu instid0(VALU_DEP_3) | instskip(NEXT) | instid1(VALU_DEP_3)
	v_cmp_ne_u32_e32 vcc_lo, 0, v8
	v_cndmask_b32_e32 v3, v3, v4, vcc_lo
	s_delay_alu instid0(VALU_DEP_3) | instskip(NEXT) | instid1(VALU_DEP_2)
	v_cndmask_b32_e32 v6, s9, v6, vcc_lo
	v_xor_b32_e32 v3, s22, v3
	s_delay_alu instid0(VALU_DEP_2) | instskip(NEXT) | instid1(VALU_DEP_2)
	v_xor_b32_e32 v4, s22, v6
	v_sub_co_u32 v3, vcc_lo, v3, s22
	s_delay_alu instid0(VALU_DEP_2)
	v_subrev_co_ci_u32_e32 v4, vcc_lo, s22, v4, vcc_lo
	s_and_not1_b32 vcc_lo, exec_lo, s20
	s_cbranch_vccnz .LBB50_52
.LBB50_51:
	v_cvt_f32_u32_e32 v3, s12
	s_sub_i32 s0, 0, s12
	s_delay_alu instid0(VALU_DEP_1) | instskip(SKIP_2) | instid1(VALU_DEP_1)
	v_rcp_iflag_f32_e32 v3, v3
	s_waitcnt_depctr 0xfff
	v_mul_f32_e32 v3, 0x4f7ffffe, v3
	v_cvt_u32_f32_e32 v3, v3
	s_delay_alu instid0(VALU_DEP_1) | instskip(NEXT) | instid1(VALU_DEP_1)
	v_mul_lo_u32 v4, s0, v3
	v_mul_hi_u32 v4, v3, v4
	s_delay_alu instid0(VALU_DEP_1) | instskip(NEXT) | instid1(VALU_DEP_1)
	v_add_nc_u32_e32 v3, v3, v4
	v_mul_hi_u32 v3, s18, v3
	s_delay_alu instid0(VALU_DEP_1) | instskip(NEXT) | instid1(VALU_DEP_1)
	v_mul_lo_u32 v3, v3, s12
	v_sub_nc_u32_e32 v3, s18, v3
	s_delay_alu instid0(VALU_DEP_1) | instskip(SKIP_1) | instid1(VALU_DEP_2)
	v_subrev_nc_u32_e32 v4, s12, v3
	v_cmp_le_u32_e32 vcc_lo, s12, v3
	v_cndmask_b32_e32 v3, v3, v4, vcc_lo
	s_delay_alu instid0(VALU_DEP_1) | instskip(SKIP_1) | instid1(VALU_DEP_2)
	v_subrev_nc_u32_e32 v4, s12, v3
	v_cmp_le_u32_e32 vcc_lo, s12, v3
	v_dual_cndmask_b32 v3, v3, v4 :: v_dual_mov_b32 v4, 0
.LBB50_52:
	v_div_scale_f32 v6, null, 0x42fe0000, 0x42fe0000, v5
	v_div_scale_f32 v9, vcc_lo, v5, 0x42fe0000, v5
	s_delay_alu instid0(VALU_DEP_3) | instskip(NEXT) | instid1(VALU_DEP_3)
	v_sub_co_u32 v10, s0, s18, v3
	v_rcp_f32_e32 v7, v6
	v_sub_co_ci_u32_e64 v3, s0, s19, v4, s0
	s_lshl_b64 s[0:1], s[16:17], 2
	s_delay_alu instid0(SALU_CYCLE_1) | instskip(NEXT) | instid1(VALU_DEP_1)
	s_add_u32 s0, s0, s6
	v_mul_lo_u32 v11, v3, v1
	s_addc_u32 s1, s1, s7
	s_waitcnt_depctr 0xfff
	v_fma_f32 v8, -v6, v7, 1.0
	s_delay_alu instid0(VALU_DEP_1) | instskip(NEXT) | instid1(VALU_DEP_1)
	v_fmac_f32_e32 v7, v8, v7
	v_mul_f32_e32 v8, v9, v7
	s_delay_alu instid0(VALU_DEP_1) | instskip(NEXT) | instid1(VALU_DEP_1)
	v_fma_f32 v4, -v6, v8, v9
	v_fmac_f32_e32 v8, v4, v7
	v_mul_lo_u32 v4, v10, v2
	v_mad_u64_u32 v[2:3], null, v10, v1, 0
	s_delay_alu instid0(VALU_DEP_3) | instskip(NEXT) | instid1(VALU_DEP_2)
	v_fma_f32 v1, -v6, v8, v9
	v_add3_u32 v3, v3, v4, v11
	s_delay_alu instid0(VALU_DEP_2) | instskip(NEXT) | instid1(VALU_DEP_1)
	v_div_fmas_f32 v1, v1, v7, v8
	v_div_fixup_f32 v4, v1, 0x42fe0000, v5
	s_delay_alu instid0(VALU_DEP_3) | instskip(NEXT) | instid1(VALU_DEP_2)
	v_lshlrev_b64 v[1:2], 2, v[2:3]
	v_max_f32_e32 v3, 0x34000000, v4
	s_delay_alu instid0(VALU_DEP_2) | instskip(NEXT) | instid1(VALU_DEP_3)
	v_add_co_u32 v1, vcc_lo, s0, v1
	v_add_co_ci_u32_e32 v2, vcc_lo, s1, v2, vcc_lo
	global_store_b32 v[1:2], v3, off
.LBB50_53:
	s_or_b32 exec_lo, exec_lo, s3
	s_waitcnt_vscnt null, 0x0
	s_barrier
	buffer_gl0_inv
	s_and_saveexec_b32 s0, s2
	s_cbranch_execz .LBB50_65
; %bb.54:
	s_add_u32 s0, s12, s29
	s_addc_u32 s1, s13, 0
	s_add_u32 s2, s0, -1
	s_addc_u32 s3, s1, -1
	s_delay_alu instid0(SALU_CYCLE_1) | instskip(SKIP_1) | instid1(SALU_CYCLE_1)
	s_or_b64 s[18:19], s[2:3], s[12:13]
	s_mov_b32 s18, 0
	s_cmp_lg_u64 s[18:19], 0
	s_cbranch_scc0 .LBB50_67
; %bb.55:
	s_ashr_i32 s0, s13, 31
	s_delay_alu instid0(SALU_CYCLE_1) | instskip(SKIP_2) | instid1(SALU_CYCLE_1)
	s_add_u32 s20, s12, s0
	s_mov_b32 s1, s0
	s_addc_u32 s21, s13, s0
	s_xor_b64 s[0:1], s[20:21], s[0:1]
	s_delay_alu instid0(SALU_CYCLE_1) | instskip(SKIP_3) | instid1(VALU_DEP_1)
	v_cvt_f32_u32_e32 v1, s0
	v_cvt_f32_u32_e32 v2, s1
	s_sub_u32 s19, 0, s0
	s_subb_u32 s20, 0, s1
	v_fmamk_f32 v1, v2, 0x4f800000, v1
	s_delay_alu instid0(VALU_DEP_1) | instskip(SKIP_2) | instid1(VALU_DEP_1)
	v_rcp_f32_e32 v1, v1
	s_waitcnt_depctr 0xfff
	v_mul_f32_e32 v1, 0x5f7ffffc, v1
	v_mul_f32_e32 v2, 0x2f800000, v1
	s_delay_alu instid0(VALU_DEP_1) | instskip(NEXT) | instid1(VALU_DEP_1)
	v_trunc_f32_e32 v2, v2
	v_fmamk_f32 v1, v2, 0xcf800000, v1
	v_cvt_u32_f32_e32 v2, v2
	s_delay_alu instid0(VALU_DEP_2) | instskip(NEXT) | instid1(VALU_DEP_2)
	v_cvt_u32_f32_e32 v1, v1
	v_readfirstlane_b32 s9, v2
	s_delay_alu instid0(VALU_DEP_2) | instskip(NEXT) | instid1(VALU_DEP_2)
	v_readfirstlane_b32 s13, v1
	s_mul_i32 s21, s19, s9
	s_delay_alu instid0(VALU_DEP_1)
	s_mul_hi_u32 s23, s19, s13
	s_mul_i32 s22, s20, s13
	s_add_i32 s21, s23, s21
	s_mul_i32 s24, s19, s13
	s_add_i32 s21, s21, s22
	s_mul_hi_u32 s23, s13, s24
	s_mul_hi_u32 s25, s9, s24
	s_mul_i32 s22, s9, s24
	s_mul_hi_u32 s24, s13, s21
	s_mul_i32 s13, s13, s21
	s_mul_hi_u32 s29, s9, s21
	s_add_u32 s13, s23, s13
	s_addc_u32 s23, 0, s24
	s_add_u32 s13, s13, s22
	s_mul_i32 s21, s9, s21
	s_addc_u32 s13, s23, s25
	s_addc_u32 s22, s29, 0
	s_add_u32 s13, s13, s21
	s_addc_u32 s21, 0, s22
	v_add_co_u32 v1, s13, v1, s13
	s_delay_alu instid0(VALU_DEP_1) | instskip(SKIP_1) | instid1(VALU_DEP_1)
	s_cmp_lg_u32 s13, 0
	s_addc_u32 s9, s9, s21
	v_readfirstlane_b32 s13, v1
	s_mul_i32 s21, s19, s9
	s_delay_alu instid0(VALU_DEP_1)
	s_mul_hi_u32 s22, s19, s13
	s_mul_i32 s20, s20, s13
	s_add_i32 s21, s22, s21
	s_mul_i32 s19, s19, s13
	s_add_i32 s21, s21, s20
	s_mul_hi_u32 s22, s9, s19
	s_mul_i32 s23, s9, s19
	s_mul_hi_u32 s19, s13, s19
	s_mul_hi_u32 s24, s13, s21
	s_mul_i32 s13, s13, s21
	s_mul_hi_u32 s20, s9, s21
	s_add_u32 s13, s19, s13
	s_addc_u32 s19, 0, s24
	s_add_u32 s13, s13, s23
	s_mul_i32 s21, s9, s21
	s_addc_u32 s13, s19, s22
	s_addc_u32 s19, s20, 0
	s_add_u32 s13, s13, s21
	s_addc_u32 s19, 0, s19
	v_add_co_u32 v1, s13, v1, s13
	s_delay_alu instid0(VALU_DEP_1) | instskip(SKIP_2) | instid1(VALU_DEP_1)
	s_cmp_lg_u32 s13, 0
	s_addc_u32 s9, s9, s19
	s_ashr_i32 s20, s3, 31
	v_readfirstlane_b32 s13, v1
	s_add_u32 s22, s2, s20
	s_mov_b32 s21, s20
	s_addc_u32 s23, s3, s20
	s_delay_alu instid0(SALU_CYCLE_1) | instskip(NEXT) | instid1(SALU_CYCLE_1)
	s_xor_b64 s[22:23], s[22:23], s[20:21]
	s_mul_i32 s21, s22, s9
	s_mul_hi_u32 s24, s22, s13
	s_mul_hi_u32 s19, s22, s9
	;; [unrolled: 1-line block ×3, first 2 shown]
	s_mul_i32 s13, s23, s13
	s_add_u32 s21, s24, s21
	s_addc_u32 s19, 0, s19
	s_mul_hi_u32 s25, s23, s9
	s_add_u32 s13, s21, s13
	s_mul_i32 s9, s23, s9
	s_addc_u32 s13, s19, s29
	s_addc_u32 s19, s25, 0
	s_add_u32 s9, s13, s9
	s_addc_u32 s13, 0, s19
	s_mul_hi_u32 s19, s0, s9
	s_mul_i32 s13, s0, s13
	s_mul_i32 s21, s1, s9
	;; [unrolled: 1-line block ×3, first 2 shown]
	s_add_i32 s13, s19, s13
	v_sub_co_u32 v1, s9, s22, s9
	s_add_i32 s13, s13, s21
	s_delay_alu instid0(SALU_CYCLE_1) | instskip(SKIP_1) | instid1(VALU_DEP_1)
	s_sub_i32 s19, s23, s13
	s_cmp_lg_u32 s9, 0
	v_sub_co_u32 v2, s21, v1, s0
	s_subb_u32 s19, s19, s1
	s_cmp_lg_u32 s21, 0
	s_subb_u32 s22, s19, 0
	s_delay_alu instid0(VALU_DEP_1)
	v_cmp_le_u32_e32 vcc_lo, s0, v2
	s_cmp_ge_u32 s22, s1
	s_cselect_b32 s24, -1, 0
	s_cmp_eq_u32 s22, s1
	v_cndmask_b32_e64 v3, 0, -1, vcc_lo
	s_cselect_b32 vcc_lo, -1, 0
	s_cmp_lg_u32 s21, 0
	v_sub_co_u32 v4, s21, v2, s0
	s_subb_u32 s19, s19, s1
	s_cmp_lg_u32 s21, 0
	v_cndmask_b32_e32 v3, s24, v3, vcc_lo
	s_subb_u32 s19, s19, 0
	s_cmp_lg_u32 s9, 0
	v_cmp_le_u32_e32 vcc_lo, s0, v1
	s_subb_u32 s9, s23, s13
	s_delay_alu instid0(SALU_CYCLE_1)
	s_cmp_ge_u32 s9, s1
	v_cndmask_b32_e64 v5, 0, -1, vcc_lo
	s_cselect_b32 s13, -1, 0
	s_cmp_eq_u32 s9, s1
	v_cmp_ne_u32_e32 vcc_lo, 0, v3
	v_mov_b32_e32 v3, s19
	s_cselect_b32 s0, -1, 0
	s_delay_alu instid0(SALU_CYCLE_1) | instskip(SKIP_1) | instid1(VALU_DEP_3)
	v_cndmask_b32_e64 v5, s13, v5, s0
	v_cndmask_b32_e32 v2, v2, v4, vcc_lo
	v_cndmask_b32_e32 v3, s22, v3, vcc_lo
	s_delay_alu instid0(VALU_DEP_3) | instskip(NEXT) | instid1(VALU_DEP_3)
	v_cmp_ne_u32_e32 vcc_lo, 0, v5
	v_cndmask_b32_e32 v1, v1, v2, vcc_lo
	s_delay_alu instid0(VALU_DEP_3) | instskip(NEXT) | instid1(VALU_DEP_2)
	v_cndmask_b32_e32 v3, s9, v3, vcc_lo
	v_xor_b32_e32 v1, s20, v1
	s_delay_alu instid0(VALU_DEP_2) | instskip(NEXT) | instid1(VALU_DEP_2)
	v_xor_b32_e32 v2, s20, v3
	v_sub_co_u32 v1, vcc_lo, v1, s20
	s_delay_alu instid0(VALU_DEP_2)
	v_subrev_co_ci_u32_e32 v2, vcc_lo, s20, v2, vcc_lo
	s_and_not1_b32 vcc_lo, exec_lo, s18
	s_cbranch_vccnz .LBB50_57
.LBB50_56:
	v_cvt_f32_u32_e32 v1, s12
	s_sub_i32 s0, 0, s12
	s_delay_alu instid0(VALU_DEP_1) | instskip(SKIP_2) | instid1(VALU_DEP_1)
	v_rcp_iflag_f32_e32 v1, v1
	s_waitcnt_depctr 0xfff
	v_mul_f32_e32 v1, 0x4f7ffffe, v1
	v_cvt_u32_f32_e32 v1, v1
	s_delay_alu instid0(VALU_DEP_1) | instskip(NEXT) | instid1(VALU_DEP_1)
	v_mul_lo_u32 v2, s0, v1
	v_mul_hi_u32 v2, v1, v2
	s_delay_alu instid0(VALU_DEP_1) | instskip(NEXT) | instid1(VALU_DEP_1)
	v_add_nc_u32_e32 v1, v1, v2
	v_mul_hi_u32 v1, s2, v1
	s_delay_alu instid0(VALU_DEP_1) | instskip(NEXT) | instid1(VALU_DEP_1)
	v_mul_lo_u32 v1, v1, s12
	v_sub_nc_u32_e32 v1, s2, v1
	s_delay_alu instid0(VALU_DEP_1) | instskip(SKIP_1) | instid1(VALU_DEP_2)
	v_subrev_nc_u32_e32 v2, s12, v1
	v_cmp_le_u32_e32 vcc_lo, s12, v1
	v_cndmask_b32_e32 v1, v1, v2, vcc_lo
	s_delay_alu instid0(VALU_DEP_1) | instskip(SKIP_1) | instid1(VALU_DEP_2)
	v_subrev_nc_u32_e32 v2, s12, v1
	v_cmp_le_u32_e32 vcc_lo, s12, v1
	v_dual_cndmask_b32 v1, v1, v2 :: v_dual_mov_b32 v2, 0
.LBB50_57:
	s_mul_i32 s0, s15, s16
	s_mul_hi_u32 s1, s14, s16
	s_mul_i32 s9, s14, s16
	s_add_i32 s1, s1, s0
	v_sub_co_u32 v5, vcc_lo, s2, v1
	s_add_u32 s0, s4, s9
	s_addc_u32 s1, s5, s1
	s_lshl_b64 s[4:5], s[16:17], 2
	v_sub_co_ci_u32_e32 v6, vcc_lo, s3, v2, vcc_lo
	v_mov_b32_e32 v1, 0
	s_add_u32 s4, s6, s4
	s_addc_u32 s5, s7, s5
	s_mul_i32 s2, s28, 3
	s_lshl_b32 s3, s28, 1
	s_mov_b32 s6, 0
	s_add_i32 s7, s28, s28
                                        ; implicit-def: $sgpr9
	s_branch .LBB50_61
.LBB50_58:                              ;   in Loop: Header=BB50_61 Depth=1
	s_or_b32 exec_lo, exec_lo, s14
	s_delay_alu instid0(SALU_CYCLE_1)
	s_or_not1_b32 s14, s15, exec_lo
.LBB50_59:                              ;   in Loop: Header=BB50_61 Depth=1
	s_or_b32 exec_lo, exec_lo, s13
	s_delay_alu instid0(SALU_CYCLE_1) | instskip(SKIP_1) | instid1(SALU_CYCLE_1)
	s_and_not1_b32 s9, s9, exec_lo
	s_and_b32 s13, s14, exec_lo
	s_or_b32 s9, s9, s13
.LBB50_60:                              ;   in Loop: Header=BB50_61 Depth=1
	s_or_b32 exec_lo, exec_lo, s12
	s_delay_alu instid0(SALU_CYCLE_1) | instskip(NEXT) | instid1(SALU_CYCLE_1)
	s_and_b32 s12, exec_lo, s9
	s_or_b32 s6, s12, s6
	s_delay_alu instid0(SALU_CYCLE_1)
	s_and_not1_b32 exec_lo, exec_lo, s6
	s_cbranch_execz .LBB50_65
.LBB50_61:                              ; =>This Inner Loop Header: Depth=1
	v_bfe_u32 v4, v0, 5, 25
	s_or_b32 s9, s9, exec_lo
	s_mov_b32 s12, exec_lo
	s_delay_alu instid0(VALU_DEP_1) | instskip(NEXT) | instid1(VALU_DEP_1)
	v_mad_u64_u32 v[2:3], null, v5, v4, 0
	v_mad_u64_u32 v[7:8], null, v6, v4, v[3:4]
	s_delay_alu instid0(VALU_DEP_1) | instskip(NEXT) | instid1(VALU_DEP_1)
	v_mov_b32_e32 v3, v7
	v_lshlrev_b64 v[2:3], 2, v[2:3]
	s_delay_alu instid0(VALU_DEP_1) | instskip(NEXT) | instid1(VALU_DEP_2)
	v_add_co_u32 v2, vcc_lo, s4, v2
	v_add_co_ci_u32_e32 v3, vcc_lo, s5, v3, vcc_lo
	global_load_b32 v4, v[2:3], off
	v_lshlrev_b64 v[2:3], 3, v[0:1]
	s_delay_alu instid0(VALU_DEP_1) | instskip(NEXT) | instid1(VALU_DEP_2)
	v_add_co_u32 v7, vcc_lo, s10, v2
	v_add_co_ci_u32_e32 v8, vcc_lo, s11, v3, vcc_lo
	v_add_co_u32 v2, vcc_lo, s26, v2
	v_add_co_ci_u32_e32 v3, vcc_lo, s27, v3, vcc_lo
	global_load_b64 v[7:8], v[7:8], off
	global_load_b64 v[2:3], v[2:3], off
	s_waitcnt vmcnt(2)
	v_div_scale_f32 v9, null, v4, v4, 1.0
	v_div_scale_f32 v12, vcc_lo, 1.0, v4, 1.0
	s_delay_alu instid0(VALU_DEP_2)
	v_rcp_f32_e32 v10, v9
	s_waitcnt_depctr 0xfff
	v_fma_f32 v11, -v9, v10, 1.0
	s_waitcnt vmcnt(1)
	v_lshrrev_b32_e32 v14, 16, v7
	s_waitcnt vmcnt(0)
	v_fma_mixlo_f16 v16, v28, v2, 0 op_sel_hi:[0,1,0]
	v_fma_mixlo_f16 v15, v28, v3, 0 op_sel_hi:[0,1,0]
	v_fma_mixlo_f16 v2, v28, v2, 0 op_sel:[0,1,0] op_sel_hi:[0,1,0]
	v_fma_mixlo_f16 v3, v28, v3, 0 op_sel:[0,1,0] op_sel_hi:[0,1,0]
	s_delay_alu instid0(VALU_DEP_4) | instskip(NEXT) | instid1(VALU_DEP_3)
	v_mul_f16_e32 v7, v7, v16
	v_mul_f16_e32 v2, v14, v2
	s_delay_alu instid0(VALU_DEP_2) | instskip(SKIP_1) | instid1(VALU_DEP_3)
	v_cvt_f32_f16_e32 v7, v7
	v_fmac_f32_e32 v10, v11, v10
	v_cvt_f32_f16_e32 v2, v2
	s_delay_alu instid0(VALU_DEP_2) | instskip(NEXT) | instid1(VALU_DEP_1)
	v_mul_f32_e32 v11, v12, v10
	v_fma_f32 v13, -v9, v11, v12
	s_delay_alu instid0(VALU_DEP_1) | instskip(SKIP_2) | instid1(VALU_DEP_3)
	v_fmac_f32_e32 v11, v13, v10
	v_lshrrev_b32_e32 v13, 16, v8
	v_mul_f16_e32 v8, v8, v15
	v_fma_f32 v9, -v9, v11, v12
	s_delay_alu instid0(VALU_DEP_3) | instskip(NEXT) | instid1(VALU_DEP_3)
	v_mul_f16_e32 v3, v13, v3
	v_cvt_f32_f16_e32 v8, v8
	s_delay_alu instid0(VALU_DEP_3) | instskip(NEXT) | instid1(VALU_DEP_3)
	v_div_fmas_f32 v9, v9, v10, v11
	v_cvt_f32_f16_e32 v3, v3
	s_delay_alu instid0(VALU_DEP_2) | instskip(NEXT) | instid1(VALU_DEP_1)
	v_div_fixup_f32 v4, v9, v4, 1.0
	v_mul_f32_e32 v8, v4, v8
	v_mul_f32_e32 v7, v4, v7
	s_delay_alu instid0(VALU_DEP_4) | instskip(NEXT) | instid1(VALU_DEP_2)
	v_mul_f32_e32 v3, v4, v3
	v_rndne_f32_e32 v7, v7
	v_mul_f32_e32 v2, v4, v2
	v_rndne_f32_e32 v4, v8
	s_delay_alu instid0(VALU_DEP_1) | instskip(SKIP_4) | instid1(VALU_DEP_1)
	v_cmp_nlt_f32_e32 vcc_lo, 0x42fe0000, v4
	v_cndmask_b32_e32 v8, 0x42fe0000, v4, vcc_lo
	v_cmp_nlt_f32_e32 vcc_lo, 0x42fe0000, v7
	v_cndmask_b32_e32 v9, 0x42fe0000, v7, vcc_lo
	v_rndne_f32_e32 v2, v2
	v_cmp_nlt_f32_e32 vcc_lo, 0x42fe0000, v2
	v_cndmask_b32_e32 v10, 0x42fe0000, v2, vcc_lo
	v_cmp_ngt_f32_e32 vcc_lo, 0xc3000000, v4
	v_rndne_f32_e32 v3, v3
	v_cndmask_b32_e32 v4, 0xc3000000, v8, vcc_lo
	s_delay_alu instid0(VALU_DEP_2) | instskip(NEXT) | instid1(VALU_DEP_2)
	v_cmp_nlt_f32_e32 vcc_lo, 0x42fe0000, v3
	v_cvt_i32_f32_e32 v4, v4
	s_delay_alu instid0(VALU_DEP_1) | instskip(SKIP_4) | instid1(VALU_DEP_2)
	v_and_b32_e32 v4, 0xff, v4
	v_cndmask_b32_e32 v8, 0x42fe0000, v3, vcc_lo
	v_cmp_ngt_f32_e32 vcc_lo, 0xc3000000, v2
	v_cndmask_b32_e32 v2, 0xc3000000, v10, vcc_lo
	v_cmp_ngt_f32_e32 vcc_lo, 0xc3000000, v7
	v_cvt_i32_f32_e32 v2, v2
	s_delay_alu instid0(VALU_DEP_1) | instskip(SKIP_3) | instid1(VALU_DEP_4)
	v_and_b32_e32 v2, 0xff, v2
	v_cndmask_b32_e32 v7, 0xc3000000, v9, vcc_lo
	v_cmp_ngt_f32_e32 vcc_lo, 0xc3000000, v3
	v_lshlrev_b32_e32 v9, 16, v4
	v_lshlrev_b32_e32 v10, 8, v2
	s_delay_alu instid0(VALU_DEP_4) | instskip(SKIP_2) | instid1(VALU_DEP_3)
	v_cvt_i32_f32_e32 v7, v7
	v_cndmask_b32_e32 v3, 0xc3000000, v8, vcc_lo
	v_add_nc_u32_e32 v2, s28, v0
	v_and_b32_e32 v7, 0xff, v7
	s_delay_alu instid0(VALU_DEP_3) | instskip(SKIP_1) | instid1(VALU_DEP_2)
	v_cvt_i32_f32_e32 v8, v3
	v_lshlrev_b64 v[3:4], 2, v[0:1]
	v_lshl_or_b32 v8, v8, 24, v9
	s_delay_alu instid0(VALU_DEP_2) | instskip(NEXT) | instid1(VALU_DEP_3)
	v_add_co_u32 v3, vcc_lo, s0, v3
	v_add_co_ci_u32_e32 v4, vcc_lo, s1, v4, vcc_lo
	s_delay_alu instid0(VALU_DEP_3)
	v_or3_b32 v7, v8, v10, v7
	global_store_b32 v[3:4], v7, off
	v_cmpx_gt_u32_e64 s8, v2
	s_cbranch_execz .LBB50_60
; %bb.62:                               ;   in Loop: Header=BB50_61 Depth=1
	v_bfe_u32 v9, v2, 5, 25
	s_mov_b32 s14, -1
	s_mov_b32 s13, exec_lo
	s_delay_alu instid0(VALU_DEP_1) | instskip(NEXT) | instid1(VALU_DEP_1)
	v_mad_u64_u32 v[3:4], null, v5, v9, 0
	v_mad_u64_u32 v[7:8], null, v6, v9, v[4:5]
	s_delay_alu instid0(VALU_DEP_1) | instskip(NEXT) | instid1(VALU_DEP_1)
	v_mov_b32_e32 v4, v7
	v_lshlrev_b64 v[3:4], 2, v[3:4]
	s_delay_alu instid0(VALU_DEP_1) | instskip(NEXT) | instid1(VALU_DEP_2)
	v_add_co_u32 v3, vcc_lo, s4, v3
	v_add_co_ci_u32_e32 v4, vcc_lo, s5, v4, vcc_lo
	global_load_b32 v4, v[3:4], off
	v_mov_b32_e32 v3, v1
	s_delay_alu instid0(VALU_DEP_1) | instskip(NEXT) | instid1(VALU_DEP_1)
	v_lshlrev_b64 v[7:8], 3, v[2:3]
	v_add_co_u32 v9, vcc_lo, s10, v7
	s_delay_alu instid0(VALU_DEP_2)
	v_add_co_ci_u32_e32 v10, vcc_lo, s11, v8, vcc_lo
	v_add_co_u32 v7, vcc_lo, s26, v7
	v_add_co_ci_u32_e32 v8, vcc_lo, s27, v8, vcc_lo
	global_load_b64 v[9:10], v[9:10], off
	global_load_b64 v[7:8], v[7:8], off
	s_waitcnt vmcnt(2)
	v_div_scale_f32 v11, null, v4, v4, 1.0
	v_div_scale_f32 v14, vcc_lo, 1.0, v4, 1.0
	s_delay_alu instid0(VALU_DEP_2)
	v_rcp_f32_e32 v12, v11
	s_waitcnt_depctr 0xfff
	v_fma_f32 v13, -v11, v12, 1.0
	s_waitcnt vmcnt(1)
	v_lshrrev_b32_e32 v16, 16, v9
	s_waitcnt vmcnt(0)
	v_fma_mixlo_f16 v18, v28, v7, 0 op_sel_hi:[0,1,0]
	v_fma_mixlo_f16 v17, v28, v8, 0 op_sel_hi:[0,1,0]
	v_fma_mixlo_f16 v7, v28, v7, 0 op_sel:[0,1,0] op_sel_hi:[0,1,0]
	v_fma_mixlo_f16 v8, v28, v8, 0 op_sel:[0,1,0] op_sel_hi:[0,1,0]
	s_delay_alu instid0(VALU_DEP_4) | instskip(NEXT) | instid1(VALU_DEP_3)
	v_mul_f16_e32 v9, v9, v18
	v_mul_f16_e32 v7, v16, v7
	s_delay_alu instid0(VALU_DEP_2) | instskip(SKIP_1) | instid1(VALU_DEP_3)
	v_cvt_f32_f16_e32 v9, v9
	v_fmac_f32_e32 v12, v13, v12
	v_cvt_f32_f16_e32 v7, v7
	s_delay_alu instid0(VALU_DEP_2) | instskip(NEXT) | instid1(VALU_DEP_1)
	v_mul_f32_e32 v13, v14, v12
	v_fma_f32 v15, -v11, v13, v14
	s_delay_alu instid0(VALU_DEP_1) | instskip(SKIP_2) | instid1(VALU_DEP_3)
	v_fmac_f32_e32 v13, v15, v12
	v_lshrrev_b32_e32 v15, 16, v10
	v_mul_f16_e32 v10, v10, v17
	v_fma_f32 v11, -v11, v13, v14
	s_delay_alu instid0(VALU_DEP_3) | instskip(NEXT) | instid1(VALU_DEP_3)
	v_mul_f16_e32 v8, v15, v8
	v_cvt_f32_f16_e32 v10, v10
	s_delay_alu instid0(VALU_DEP_3) | instskip(NEXT) | instid1(VALU_DEP_3)
	v_div_fmas_f32 v11, v11, v12, v13
	v_cvt_f32_f16_e32 v8, v8
	s_delay_alu instid0(VALU_DEP_2) | instskip(NEXT) | instid1(VALU_DEP_1)
	v_div_fixup_f32 v4, v11, v4, 1.0
	v_mul_f32_e32 v10, v4, v10
	v_mul_f32_e32 v9, v4, v9
	;; [unrolled: 1-line block ×3, first 2 shown]
	s_delay_alu instid0(VALU_DEP_2) | instskip(SKIP_2) | instid1(VALU_DEP_1)
	v_rndne_f32_e32 v9, v9
	v_mul_f32_e32 v4, v4, v8
	v_rndne_f32_e32 v8, v10
	v_cmp_nlt_f32_e32 vcc_lo, 0x42fe0000, v8
	v_cndmask_b32_e32 v10, 0x42fe0000, v8, vcc_lo
	v_rndne_f32_e32 v7, v7
	v_cmp_nlt_f32_e32 vcc_lo, 0x42fe0000, v9
	v_cndmask_b32_e32 v11, 0x42fe0000, v9, vcc_lo
	s_delay_alu instid0(VALU_DEP_3) | instskip(SKIP_4) | instid1(VALU_DEP_4)
	v_cmp_nlt_f32_e32 vcc_lo, 0x42fe0000, v7
	v_rndne_f32_e32 v4, v4
	v_cndmask_b32_e32 v12, 0x42fe0000, v7, vcc_lo
	v_cmp_ngt_f32_e32 vcc_lo, 0xc3000000, v8
	v_cndmask_b32_e32 v8, 0xc3000000, v10, vcc_lo
	v_cmp_nlt_f32_e32 vcc_lo, 0x42fe0000, v4
	s_delay_alu instid0(VALU_DEP_2) | instskip(SKIP_2) | instid1(VALU_DEP_3)
	v_cvt_i32_f32_e32 v8, v8
	v_cndmask_b32_e32 v10, 0x42fe0000, v4, vcc_lo
	v_cmp_ngt_f32_e32 vcc_lo, 0xc3000000, v7
	v_and_b32_e32 v8, 0xff, v8
	v_cndmask_b32_e32 v7, 0xc3000000, v12, vcc_lo
	v_cmp_ngt_f32_e32 vcc_lo, 0xc3000000, v9
	s_delay_alu instid0(VALU_DEP_2) | instskip(SKIP_3) | instid1(VALU_DEP_3)
	v_cvt_i32_f32_e32 v7, v7
	v_cndmask_b32_e32 v9, 0xc3000000, v11, vcc_lo
	v_cmp_ngt_f32_e32 vcc_lo, 0xc3000000, v4
	v_lshlrev_b32_e32 v11, 16, v8
	v_cvt_i32_f32_e32 v9, v9
	v_cndmask_b32_e32 v4, 0xc3000000, v10, vcc_lo
	v_and_b32_e32 v10, 0xff, v7
	v_lshlrev_b64 v[7:8], 2, v[2:3]
	v_add_nc_u32_e32 v3, s3, v0
	v_and_b32_e32 v9, 0xff, v9
	v_cvt_i32_f32_e32 v4, v4
	v_lshlrev_b32_e32 v10, 8, v10
	v_add_co_u32 v7, vcc_lo, s0, v7
	s_delay_alu instid0(VALU_DEP_3) | instskip(SKIP_1) | instid1(VALU_DEP_2)
	v_lshl_or_b32 v4, v4, 24, v11
	v_add_co_ci_u32_e32 v8, vcc_lo, s1, v8, vcc_lo
	v_or3_b32 v4, v4, v10, v9
	global_store_b32 v[7:8], v4, off
	v_cmpx_gt_u32_e64 s8, v3
	s_cbranch_execz .LBB50_59
; %bb.63:                               ;   in Loop: Header=BB50_61 Depth=1
	v_bfe_u32 v10, v3, 5, 25
	v_add_nc_u32_e32 v0, s2, v0
	s_mov_b32 s15, -1
	s_mov_b32 s14, exec_lo
	s_delay_alu instid0(VALU_DEP_2) | instskip(NEXT) | instid1(VALU_DEP_1)
	v_mad_u64_u32 v[7:8], null, v5, v10, 0
	v_mov_b32_e32 v4, v8
	s_delay_alu instid0(VALU_DEP_1) | instskip(SKIP_1) | instid1(VALU_DEP_2)
	v_mad_u64_u32 v[8:9], null, v6, v10, v[4:5]
	v_mov_b32_e32 v4, v1
	v_lshlrev_b64 v[7:8], 2, v[7:8]
	s_delay_alu instid0(VALU_DEP_1) | instskip(NEXT) | instid1(VALU_DEP_2)
	v_add_co_u32 v7, vcc_lo, s4, v7
	v_add_co_ci_u32_e32 v8, vcc_lo, s5, v8, vcc_lo
	global_load_b32 v11, v[7:8], off
	v_lshlrev_b64 v[7:8], 3, v[3:4]
	s_delay_alu instid0(VALU_DEP_1) | instskip(NEXT) | instid1(VALU_DEP_2)
	v_add_co_u32 v9, vcc_lo, s10, v7
	v_add_co_ci_u32_e32 v10, vcc_lo, s11, v8, vcc_lo
	v_add_co_u32 v7, vcc_lo, s26, v7
	v_add_co_ci_u32_e32 v8, vcc_lo, s27, v8, vcc_lo
	global_load_b64 v[9:10], v[9:10], off
	global_load_b64 v[7:8], v[7:8], off
	s_waitcnt vmcnt(2)
	v_div_scale_f32 v12, null, v11, v11, 1.0
	v_div_scale_f32 v15, vcc_lo, 1.0, v11, 1.0
	s_delay_alu instid0(VALU_DEP_2)
	v_rcp_f32_e32 v13, v12
	s_waitcnt_depctr 0xfff
	v_fma_f32 v14, -v12, v13, 1.0
	s_waitcnt vmcnt(1)
	v_lshrrev_b32_e32 v17, 16, v9
	s_waitcnt vmcnt(0)
	v_fma_mixlo_f16 v19, v28, v7, 0 op_sel_hi:[0,1,0]
	v_fma_mixlo_f16 v7, v28, v7, 0 op_sel:[0,1,0] op_sel_hi:[0,1,0]
	v_fma_mixlo_f16 v18, v28, v8, 0 op_sel_hi:[0,1,0]
	v_fmac_f32_e32 v13, v14, v13
	v_fma_mixlo_f16 v8, v28, v8, 0 op_sel:[0,1,0] op_sel_hi:[0,1,0]
	v_mul_f16_e32 v9, v9, v19
	v_mul_f16_e32 v7, v17, v7
	s_delay_alu instid0(VALU_DEP_4) | instskip(NEXT) | instid1(VALU_DEP_3)
	v_mul_f32_e32 v14, v15, v13
	v_cvt_f32_f16_e32 v9, v9
	s_delay_alu instid0(VALU_DEP_3) | instskip(NEXT) | instid1(VALU_DEP_3)
	v_cvt_f32_f16_e32 v7, v7
	v_fma_f32 v16, -v12, v14, v15
	s_delay_alu instid0(VALU_DEP_1) | instskip(SKIP_2) | instid1(VALU_DEP_3)
	v_fmac_f32_e32 v14, v16, v13
	v_lshrrev_b32_e32 v16, 16, v10
	v_mul_f16_e32 v10, v10, v18
	v_fma_f32 v12, -v12, v14, v15
	s_delay_alu instid0(VALU_DEP_3) | instskip(NEXT) | instid1(VALU_DEP_3)
	v_mul_f16_e32 v8, v16, v8
	v_cvt_f32_f16_e32 v10, v10
	s_delay_alu instid0(VALU_DEP_3) | instskip(NEXT) | instid1(VALU_DEP_3)
	v_div_fmas_f32 v12, v12, v13, v14
	v_cvt_f32_f16_e32 v8, v8
	s_delay_alu instid0(VALU_DEP_2) | instskip(NEXT) | instid1(VALU_DEP_1)
	v_div_fixup_f32 v11, v12, v11, 1.0
	v_mul_f32_e32 v7, v11, v7
	v_mul_f32_e32 v9, v11, v9
	s_delay_alu instid0(VALU_DEP_4) | instskip(SKIP_1) | instid1(VALU_DEP_4)
	v_mul_f32_e32 v8, v11, v8
	v_lshlrev_b64 v[3:4], 2, v[3:4]
	v_rndne_f32_e32 v7, v7
	v_mul_f32_e32 v10, v11, v10
	v_rndne_f32_e32 v9, v9
	v_rndne_f32_e32 v8, v8
	s_delay_alu instid0(VALU_DEP_3) | instskip(NEXT) | instid1(VALU_DEP_1)
	v_rndne_f32_e32 v10, v10
	v_cmp_nlt_f32_e32 vcc_lo, 0x42fe0000, v10
	v_cndmask_b32_e32 v11, 0x42fe0000, v10, vcc_lo
	v_cmp_nlt_f32_e32 vcc_lo, 0x42fe0000, v9
	v_cndmask_b32_e32 v12, 0x42fe0000, v9, vcc_lo
	;; [unrolled: 2-line block ×3, first 2 shown]
	v_cmp_ngt_f32_e32 vcc_lo, 0xc3000000, v10
	v_cndmask_b32_e32 v10, 0xc3000000, v11, vcc_lo
	v_cmp_nlt_f32_e32 vcc_lo, 0x42fe0000, v8
	s_delay_alu instid0(VALU_DEP_2) | instskip(NEXT) | instid1(VALU_DEP_1)
	v_cvt_i32_f32_e32 v10, v10
	v_and_b32_e32 v10, 0xff, v10
	v_cndmask_b32_e32 v11, 0x42fe0000, v8, vcc_lo
	v_cmp_ngt_f32_e32 vcc_lo, 0xc3000000, v7
	s_delay_alu instid0(VALU_DEP_3) | instskip(SKIP_1) | instid1(VALU_DEP_2)
	v_dual_cndmask_b32 v7, 0xc3000000, v13 :: v_dual_lshlrev_b32 v10, 16, v10
	v_cmp_ngt_f32_e32 vcc_lo, 0xc3000000, v9
	v_cvt_i32_f32_e32 v7, v7
	s_delay_alu instid0(VALU_DEP_1) | instskip(NEXT) | instid1(VALU_DEP_1)
	v_and_b32_e32 v7, 0xff, v7
	v_lshlrev_b32_e32 v7, 8, v7
	v_cndmask_b32_e32 v9, 0xc3000000, v12, vcc_lo
	v_cmp_ngt_f32_e32 vcc_lo, 0xc3000000, v8
	s_delay_alu instid0(VALU_DEP_2) | instskip(SKIP_3) | instid1(VALU_DEP_3)
	v_cvt_i32_f32_e32 v9, v9
	v_cndmask_b32_e32 v8, 0xc3000000, v11, vcc_lo
	v_add_co_u32 v3, vcc_lo, s0, v3
	v_add_co_ci_u32_e32 v4, vcc_lo, s1, v4, vcc_lo
	v_cvt_i32_f32_e32 v8, v8
	v_and_b32_e32 v9, 0xff, v9
	s_delay_alu instid0(VALU_DEP_2) | instskip(NEXT) | instid1(VALU_DEP_1)
	v_lshl_or_b32 v8, v8, 24, v10
	v_or3_b32 v7, v8, v7, v9
	global_store_b32 v[3:4], v7, off
	v_cmpx_gt_u32_e64 s8, v0
	s_cbranch_execz .LBB50_58
; %bb.64:                               ;   in Loop: Header=BB50_61 Depth=1
	v_bfe_u32 v9, v0, 5, 25
	s_delay_alu instid0(VALU_DEP_1) | instskip(NEXT) | instid1(VALU_DEP_1)
	v_mad_u64_u32 v[3:4], null, v5, v9, 0
	v_mad_u64_u32 v[7:8], null, v6, v9, v[4:5]
	s_delay_alu instid0(VALU_DEP_1) | instskip(NEXT) | instid1(VALU_DEP_1)
	v_mov_b32_e32 v4, v7
	v_lshlrev_b64 v[3:4], 2, v[3:4]
	s_delay_alu instid0(VALU_DEP_1) | instskip(NEXT) | instid1(VALU_DEP_2)
	v_add_co_u32 v3, vcc_lo, s4, v3
	v_add_co_ci_u32_e32 v4, vcc_lo, s5, v4, vcc_lo
	global_load_b32 v9, v[3:4], off
	v_lshlrev_b64 v[3:4], 3, v[0:1]
	s_delay_alu instid0(VALU_DEP_1) | instskip(NEXT) | instid1(VALU_DEP_2)
	v_add_co_u32 v7, vcc_lo, s10, v3
	v_add_co_ci_u32_e32 v8, vcc_lo, s11, v4, vcc_lo
	v_add_co_u32 v3, vcc_lo, s26, v3
	v_add_co_ci_u32_e32 v4, vcc_lo, s27, v4, vcc_lo
	global_load_b64 v[7:8], v[7:8], off
	global_load_b64 v[3:4], v[3:4], off
	s_waitcnt vmcnt(2)
	v_div_scale_f32 v10, null, v9, v9, 1.0
	v_div_scale_f32 v13, vcc_lo, 1.0, v9, 1.0
	s_delay_alu instid0(VALU_DEP_2)
	v_rcp_f32_e32 v11, v10
	s_waitcnt_depctr 0xfff
	v_fma_f32 v12, -v10, v11, 1.0
	s_waitcnt vmcnt(1)
	v_lshrrev_b32_e32 v15, 16, v7
	s_waitcnt vmcnt(0)
	v_fma_mixlo_f16 v17, v28, v3, 0 op_sel_hi:[0,1,0]
	v_fma_mixlo_f16 v3, v28, v3, 0 op_sel:[0,1,0] op_sel_hi:[0,1,0]
	v_fma_mixlo_f16 v16, v28, v4, 0 op_sel_hi:[0,1,0]
	v_fmac_f32_e32 v11, v12, v11
	v_fma_mixlo_f16 v4, v28, v4, 0 op_sel:[0,1,0] op_sel_hi:[0,1,0]
	v_mul_f16_e32 v7, v7, v17
	v_mul_f16_e32 v3, v15, v3
	s_delay_alu instid0(VALU_DEP_4) | instskip(NEXT) | instid1(VALU_DEP_3)
	v_mul_f32_e32 v12, v13, v11
	v_cvt_f32_f16_e32 v7, v7
	s_delay_alu instid0(VALU_DEP_3) | instskip(NEXT) | instid1(VALU_DEP_3)
	v_cvt_f32_f16_e32 v3, v3
	v_fma_f32 v14, -v10, v12, v13
	s_delay_alu instid0(VALU_DEP_1) | instskip(SKIP_2) | instid1(VALU_DEP_3)
	v_fmac_f32_e32 v12, v14, v11
	v_lshrrev_b32_e32 v14, 16, v8
	v_mul_f16_e32 v8, v8, v16
	v_fma_f32 v10, -v10, v12, v13
	s_delay_alu instid0(VALU_DEP_3) | instskip(NEXT) | instid1(VALU_DEP_3)
	v_mul_f16_e32 v4, v14, v4
	v_cvt_f32_f16_e32 v8, v8
	s_delay_alu instid0(VALU_DEP_3) | instskip(NEXT) | instid1(VALU_DEP_3)
	v_div_fmas_f32 v10, v10, v11, v12
	v_cvt_f32_f16_e32 v4, v4
	s_delay_alu instid0(VALU_DEP_2) | instskip(NEXT) | instid1(VALU_DEP_1)
	v_div_fixup_f32 v9, v10, v9, 1.0
	v_mul_f32_e32 v3, v9, v3
	v_mul_f32_e32 v7, v9, v7
	s_delay_alu instid0(VALU_DEP_4) | instskip(NEXT) | instid1(VALU_DEP_3)
	v_mul_f32_e32 v4, v9, v4
	v_rndne_f32_e32 v3, v3
	v_mul_f32_e32 v8, v9, v8
	s_delay_alu instid0(VALU_DEP_4) | instskip(NEXT) | instid1(VALU_DEP_4)
	v_rndne_f32_e32 v7, v7
	v_rndne_f32_e32 v4, v4
	s_delay_alu instid0(VALU_DEP_3) | instskip(NEXT) | instid1(VALU_DEP_1)
	v_rndne_f32_e32 v8, v8
	v_cmp_nlt_f32_e32 vcc_lo, 0x42fe0000, v8
	v_cndmask_b32_e32 v9, 0x42fe0000, v8, vcc_lo
	v_cmp_nlt_f32_e32 vcc_lo, 0x42fe0000, v7
	v_cndmask_b32_e32 v10, 0x42fe0000, v7, vcc_lo
	;; [unrolled: 2-line block ×3, first 2 shown]
	v_cmp_ngt_f32_e32 vcc_lo, 0xc3000000, v8
	v_cndmask_b32_e32 v8, 0xc3000000, v9, vcc_lo
	v_cmp_nlt_f32_e32 vcc_lo, 0x42fe0000, v4
	s_delay_alu instid0(VALU_DEP_2) | instskip(SKIP_2) | instid1(VALU_DEP_3)
	v_cvt_i32_f32_e32 v8, v8
	v_cndmask_b32_e32 v9, 0x42fe0000, v4, vcc_lo
	v_cmp_ngt_f32_e32 vcc_lo, 0xc3000000, v3
	v_and_b32_e32 v8, 0xff, v8
	v_cndmask_b32_e32 v3, 0xc3000000, v11, vcc_lo
	v_cmp_ngt_f32_e32 vcc_lo, 0xc3000000, v7
	s_delay_alu instid0(VALU_DEP_3) | instskip(NEXT) | instid1(VALU_DEP_3)
	v_lshlrev_b32_e32 v8, 16, v8
	v_cvt_i32_f32_e32 v3, v3
	v_cndmask_b32_e32 v7, 0xc3000000, v10, vcc_lo
	v_cmp_ngt_f32_e32 vcc_lo, 0xc3000000, v4
	s_delay_alu instid0(VALU_DEP_3) | instskip(NEXT) | instid1(VALU_DEP_3)
	v_and_b32_e32 v10, 0xff, v3
	v_cvt_i32_f32_e32 v7, v7
	v_cndmask_b32_e32 v4, 0xc3000000, v9, vcc_lo
	s_delay_alu instid0(VALU_DEP_3) | instskip(NEXT) | instid1(VALU_DEP_3)
	v_lshlrev_b32_e32 v10, 8, v10
	v_and_b32_e32 v7, 0xff, v7
	s_delay_alu instid0(VALU_DEP_3) | instskip(SKIP_2) | instid1(VALU_DEP_3)
	v_cvt_i32_f32_e32 v9, v4
	v_lshlrev_b64 v[3:4], 2, v[0:1]
	v_add3_u32 v0, s7, s28, v2
	v_lshl_or_b32 v8, v9, 24, v8
	s_delay_alu instid0(VALU_DEP_3) | instskip(NEXT) | instid1(VALU_DEP_4)
	v_add_co_u32 v2, vcc_lo, s0, v3
	v_add_co_ci_u32_e32 v3, vcc_lo, s1, v4, vcc_lo
	s_delay_alu instid0(VALU_DEP_4) | instskip(NEXT) | instid1(VALU_DEP_4)
	v_cmp_le_u32_e32 vcc_lo, s8, v0
	v_or3_b32 v4, v8, v10, v7
	s_or_not1_b32 s15, vcc_lo, exec_lo
	global_store_b32 v[2:3], v4, off
	s_branch .LBB50_58
.LBB50_65:
	s_nop 0
	s_sendmsg sendmsg(MSG_DEALLOC_VGPRS)
	s_endpgm
.LBB50_66:
                                        ; implicit-def: $vgpr3_vgpr4
	s_branch .LBB50_51
.LBB50_67:
                                        ; implicit-def: $vgpr1_vgpr2
	s_branch .LBB50_56
	.section	.rodata,"a",@progbits
	.p2align	6, 0x0
	.amdhsa_kernel _ZN4vllm31rms_norm_per_block_quant_kernelIN3c104HalfEaLb0ELb1ELi128EEEvPT0_PfPKT_S8_PKffiiPS6_l
		.amdhsa_group_segment_fixed_size 4228
		.amdhsa_private_segment_fixed_size 0
		.amdhsa_kernarg_size 328
		.amdhsa_user_sgpr_count 15
		.amdhsa_user_sgpr_dispatch_ptr 0
		.amdhsa_user_sgpr_queue_ptr 0
		.amdhsa_user_sgpr_kernarg_segment_ptr 1
		.amdhsa_user_sgpr_dispatch_id 0
		.amdhsa_user_sgpr_private_segment_size 0
		.amdhsa_wavefront_size32 1
		.amdhsa_uses_dynamic_stack 0
		.amdhsa_enable_private_segment 0
		.amdhsa_system_sgpr_workgroup_id_x 1
		.amdhsa_system_sgpr_workgroup_id_y 0
		.amdhsa_system_sgpr_workgroup_id_z 0
		.amdhsa_system_sgpr_workgroup_info 0
		.amdhsa_system_vgpr_workitem_id 0
		.amdhsa_next_free_vgpr 35
		.amdhsa_next_free_sgpr 38
		.amdhsa_reserve_vcc 1
		.amdhsa_float_round_mode_32 0
		.amdhsa_float_round_mode_16_64 0
		.amdhsa_float_denorm_mode_32 3
		.amdhsa_float_denorm_mode_16_64 3
		.amdhsa_dx10_clamp 1
		.amdhsa_ieee_mode 1
		.amdhsa_fp16_overflow 0
		.amdhsa_workgroup_processor_mode 1
		.amdhsa_memory_ordered 1
		.amdhsa_forward_progress 0
		.amdhsa_shared_vgpr_count 0
		.amdhsa_exception_fp_ieee_invalid_op 0
		.amdhsa_exception_fp_denorm_src 0
		.amdhsa_exception_fp_ieee_div_zero 0
		.amdhsa_exception_fp_ieee_overflow 0
		.amdhsa_exception_fp_ieee_underflow 0
		.amdhsa_exception_fp_ieee_inexact 0
		.amdhsa_exception_int_div_zero 0
	.end_amdhsa_kernel
	.section	.text._ZN4vllm31rms_norm_per_block_quant_kernelIN3c104HalfEaLb0ELb1ELi128EEEvPT0_PfPKT_S8_PKffiiPS6_l,"axG",@progbits,_ZN4vllm31rms_norm_per_block_quant_kernelIN3c104HalfEaLb0ELb1ELi128EEEvPT0_PfPKT_S8_PKffiiPS6_l,comdat
.Lfunc_end50:
	.size	_ZN4vllm31rms_norm_per_block_quant_kernelIN3c104HalfEaLb0ELb1ELi128EEEvPT0_PfPKT_S8_PKffiiPS6_l, .Lfunc_end50-_ZN4vllm31rms_norm_per_block_quant_kernelIN3c104HalfEaLb0ELb1ELi128EEEvPT0_PfPKT_S8_PKffiiPS6_l
                                        ; -- End function
	.section	.AMDGPU.csdata,"",@progbits
; Kernel info:
; codeLenInByte = 8588
; NumSgprs: 40
; NumVgprs: 35
; ScratchSize: 0
; MemoryBound: 0
; FloatMode: 240
; IeeeMode: 1
; LDSByteSize: 4228 bytes/workgroup (compile time only)
; SGPRBlocks: 4
; VGPRBlocks: 4
; NumSGPRsForWavesPerEU: 40
; NumVGPRsForWavesPerEU: 35
; Occupancy: 16
; WaveLimiterHint : 0
; COMPUTE_PGM_RSRC2:SCRATCH_EN: 0
; COMPUTE_PGM_RSRC2:USER_SGPR: 15
; COMPUTE_PGM_RSRC2:TRAP_HANDLER: 0
; COMPUTE_PGM_RSRC2:TGID_X_EN: 1
; COMPUTE_PGM_RSRC2:TGID_Y_EN: 0
; COMPUTE_PGM_RSRC2:TGID_Z_EN: 0
; COMPUTE_PGM_RSRC2:TIDIG_COMP_CNT: 0
	.section	.text._ZN4vllm31rms_norm_per_block_quant_kernelIN3c104HalfENS1_13Float8_e4m3fnELb0ELb0ELi128EEEvPT0_PfPKT_S9_PKffiiPS7_l,"axG",@progbits,_ZN4vllm31rms_norm_per_block_quant_kernelIN3c104HalfENS1_13Float8_e4m3fnELb0ELb0ELi128EEEvPT0_PfPKT_S9_PKffiiPS7_l,comdat
	.protected	_ZN4vllm31rms_norm_per_block_quant_kernelIN3c104HalfENS1_13Float8_e4m3fnELb0ELb0ELi128EEEvPT0_PfPKT_S9_PKffiiPS7_l ; -- Begin function _ZN4vllm31rms_norm_per_block_quant_kernelIN3c104HalfENS1_13Float8_e4m3fnELb0ELb0ELi128EEEvPT0_PfPKT_S9_PKffiiPS7_l
	.globl	_ZN4vllm31rms_norm_per_block_quant_kernelIN3c104HalfENS1_13Float8_e4m3fnELb0ELb0ELi128EEEvPT0_PfPKT_S9_PKffiiPS7_l
	.p2align	8
	.type	_ZN4vllm31rms_norm_per_block_quant_kernelIN3c104HalfENS1_13Float8_e4m3fnELb0ELb0ELi128EEEvPT0_PfPKT_S9_PKffiiPS7_l,@function
_ZN4vllm31rms_norm_per_block_quant_kernelIN3c104HalfENS1_13Float8_e4m3fnELb0ELb0ELi128EEEvPT0_PfPKT_S9_PKffiiPS7_l: ; @_ZN4vllm31rms_norm_per_block_quant_kernelIN3c104HalfENS1_13Float8_e4m3fnELb0ELb0ELi128EEEvPT0_PfPKT_S9_PKffiiPS7_l
; %bb.0:
	s_clause 0x1
	s_load_b128 s[16:19], s[0:1], 0x28
	s_load_b256 s[4:11], s[0:1], 0x0
	v_mov_b32_e32 v6, 0
	s_waitcnt lgkmcnt(0)
	s_ashr_i32 s2, s18, 31
	s_mul_hi_u32 s3, s18, s15
	s_mul_i32 s12, s2, s15
	s_mul_i32 s2, s18, s15
	s_add_i32 s3, s3, s12
	s_mov_b32 s12, s17
	s_lshl_b64 s[2:3], s[2:3], 1
	s_delay_alu instid0(SALU_CYCLE_1)
	s_add_u32 s14, s8, s2
	s_addc_u32 s26, s9, s3
	s_ashr_i32 s8, s17, 2
	s_add_u32 s18, s0, 0x48
	v_cmp_gt_u32_e64 s2, s8, v0
	s_mov_b32 s9, 0
	s_addc_u32 s19, s1, 0
	s_delay_alu instid0(VALU_DEP_1)
	s_and_saveexec_b32 s3, s2
	s_cbranch_execz .LBB51_10
; %bb.1:
	s_load_b32 s13, s[18:19], 0x0
	v_dual_mov_b32 v2, 0 :: v_dual_mov_b32 v1, v0
	s_waitcnt lgkmcnt(0)
	s_cmp_lt_u32 s15, s13
	s_cselect_b32 s13, 12, 18
	s_delay_alu instid0(SALU_CYCLE_1)
	s_add_u32 s20, s18, s13
	s_addc_u32 s21, s19, 0
                                        ; implicit-def: $sgpr13
	global_load_u16 v7, v2, s[20:21]
	s_waitcnt vmcnt(0)
	v_lshlrev_b32_e32 v9, 1, v7
	v_mul_lo_u32 v8, v7, 3
	v_add_nc_u32_e32 v10, v7, v7
	v_mov_b32_e32 v6, v2
	s_branch .LBB51_5
.LBB51_2:                               ;   in Loop: Header=BB51_5 Depth=1
	s_or_b32 exec_lo, exec_lo, s22
	s_delay_alu instid0(SALU_CYCLE_1)
	s_or_not1_b32 s22, s23, exec_lo
.LBB51_3:                               ;   in Loop: Header=BB51_5 Depth=1
	s_or_b32 exec_lo, exec_lo, s21
	s_delay_alu instid0(SALU_CYCLE_1) | instskip(SKIP_1) | instid1(SALU_CYCLE_1)
	s_and_not1_b32 s13, s13, exec_lo
	s_and_b32 s21, s22, exec_lo
	s_or_b32 s13, s13, s21
.LBB51_4:                               ;   in Loop: Header=BB51_5 Depth=1
	s_or_b32 exec_lo, exec_lo, s20
	s_delay_alu instid0(SALU_CYCLE_1) | instskip(NEXT) | instid1(SALU_CYCLE_1)
	s_and_b32 s20, exec_lo, s13
	s_or_b32 s9, s20, s9
	s_delay_alu instid0(SALU_CYCLE_1)
	s_and_not1_b32 exec_lo, exec_lo, s9
	s_cbranch_execz .LBB51_9
.LBB51_5:                               ; =>This Inner Loop Header: Depth=1
	v_lshlrev_b64 v[3:4], 3, v[1:2]
	s_or_b32 s13, s13, exec_lo
	s_mov_b32 s20, exec_lo
	s_delay_alu instid0(VALU_DEP_1) | instskip(NEXT) | instid1(VALU_DEP_2)
	v_add_co_u32 v3, vcc_lo, s14, v3
	v_add_co_ci_u32_e32 v4, vcc_lo, s26, v4, vcc_lo
	global_load_b64 v[3:4], v[3:4], off
	s_waitcnt vmcnt(0)
	v_fma_mix_f32 v5, v3, v3, v6 op_sel_hi:[1,1,0]
	s_delay_alu instid0(VALU_DEP_1) | instskip(NEXT) | instid1(VALU_DEP_1)
	v_fma_mix_f32 v3, v3, v3, v5 op_sel:[1,1,0] op_sel_hi:[1,1,0]
	v_fma_mix_f32 v5, v4, v4, v3 op_sel_hi:[1,1,0]
	v_add_nc_u32_e32 v3, v1, v7
	s_delay_alu instid0(VALU_DEP_2) | instskip(NEXT) | instid1(VALU_DEP_2)
	v_fma_mix_f32 v6, v4, v4, v5 op_sel:[1,1,0] op_sel_hi:[1,1,0]
	v_cmpx_gt_u32_e64 s8, v3
	s_cbranch_execz .LBB51_4
; %bb.6:                                ;   in Loop: Header=BB51_5 Depth=1
	v_mov_b32_e32 v4, v2
	s_mov_b32 s22, -1
	s_mov_b32 s21, exec_lo
	s_delay_alu instid0(VALU_DEP_1) | instskip(NEXT) | instid1(VALU_DEP_1)
	v_lshlrev_b64 v[4:5], 3, v[3:4]
	v_add_co_u32 v4, vcc_lo, s14, v4
	s_delay_alu instid0(VALU_DEP_2) | instskip(SKIP_3) | instid1(VALU_DEP_1)
	v_add_co_ci_u32_e32 v5, vcc_lo, s26, v5, vcc_lo
	global_load_b64 v[4:5], v[4:5], off
	s_waitcnt vmcnt(0)
	v_fma_mix_f32 v6, v4, v4, v6 op_sel_hi:[1,1,0]
	v_fma_mix_f32 v4, v4, v4, v6 op_sel:[1,1,0] op_sel_hi:[1,1,0]
	s_delay_alu instid0(VALU_DEP_1) | instskip(SKIP_1) | instid1(VALU_DEP_2)
	v_fma_mix_f32 v6, v5, v5, v4 op_sel_hi:[1,1,0]
	v_add_nc_u32_e32 v4, v9, v1
	v_fma_mix_f32 v6, v5, v5, v6 op_sel:[1,1,0] op_sel_hi:[1,1,0]
	s_delay_alu instid0(VALU_DEP_2)
	v_cmpx_gt_u32_e64 s8, v4
	s_cbranch_execz .LBB51_3
; %bb.7:                                ;   in Loop: Header=BB51_5 Depth=1
	v_mov_b32_e32 v5, v2
	v_add_nc_u32_e32 v1, v8, v1
	s_mov_b32 s23, -1
	s_mov_b32 s22, exec_lo
	s_delay_alu instid0(VALU_DEP_2) | instskip(NEXT) | instid1(VALU_DEP_1)
	v_lshlrev_b64 v[4:5], 3, v[4:5]
	v_add_co_u32 v4, vcc_lo, s14, v4
	s_delay_alu instid0(VALU_DEP_2) | instskip(SKIP_3) | instid1(VALU_DEP_1)
	v_add_co_ci_u32_e32 v5, vcc_lo, s26, v5, vcc_lo
	global_load_b64 v[4:5], v[4:5], off
	s_waitcnt vmcnt(0)
	v_fma_mix_f32 v6, v4, v4, v6 op_sel_hi:[1,1,0]
	v_fma_mix_f32 v4, v4, v4, v6 op_sel:[1,1,0] op_sel_hi:[1,1,0]
	s_delay_alu instid0(VALU_DEP_1) | instskip(NEXT) | instid1(VALU_DEP_1)
	v_fma_mix_f32 v4, v5, v5, v4 op_sel_hi:[1,1,0]
	v_fma_mix_f32 v6, v5, v5, v4 op_sel:[1,1,0] op_sel_hi:[1,1,0]
	v_cmpx_gt_u32_e64 s8, v1
	s_xor_b32 s22, exec_lo, s22
	s_cbranch_execz .LBB51_2
; %bb.8:                                ;   in Loop: Header=BB51_5 Depth=1
	v_lshlrev_b64 v[4:5], 3, v[1:2]
	s_delay_alu instid0(VALU_DEP_1) | instskip(NEXT) | instid1(VALU_DEP_2)
	v_add_co_u32 v4, vcc_lo, s14, v4
	v_add_co_ci_u32_e32 v5, vcc_lo, s26, v5, vcc_lo
	global_load_b64 v[4:5], v[4:5], off
	s_waitcnt vmcnt(0)
	v_fma_mix_f32 v1, v4, v4, v6 op_sel_hi:[1,1,0]
	s_delay_alu instid0(VALU_DEP_1) | instskip(SKIP_1) | instid1(VALU_DEP_2)
	v_fma_mix_f32 v4, v4, v4, v1 op_sel:[1,1,0] op_sel_hi:[1,1,0]
	v_add3_u32 v1, v10, v7, v3
	v_fma_mix_f32 v3, v5, v5, v4 op_sel_hi:[1,1,0]
	s_delay_alu instid0(VALU_DEP_2) | instskip(NEXT) | instid1(VALU_DEP_2)
	v_cmp_le_u32_e32 vcc_lo, s8, v1
	v_fma_mix_f32 v6, v5, v5, v3 op_sel:[1,1,0] op_sel_hi:[1,1,0]
	s_or_not1_b32 s23, vcc_lo, exec_lo
	s_branch .LBB51_2
.LBB51_9:
	s_or_b32 exec_lo, exec_lo, s9
.LBB51_10:
	s_delay_alu instid0(SALU_CYCLE_1) | instskip(SKIP_3) | instid1(VALU_DEP_2)
	s_or_b32 exec_lo, exec_lo, s3
	v_mbcnt_lo_u32_b32 v1, -1, 0
	s_load_b32 s3, s[18:19], 0xc
	v_and_b32_e32 v7, 0x3e0, v0
	v_cmp_ne_u32_e32 vcc_lo, 31, v1
	v_add_nc_u32_e32 v3, 1, v1
	v_add_co_ci_u32_e32 v2, vcc_lo, 0, v1, vcc_lo
	v_cmp_gt_u32_e32 vcc_lo, 30, v1
	s_delay_alu instid0(VALU_DEP_2)
	v_lshlrev_b32_e32 v2, 2, v2
	v_cndmask_b32_e64 v5, 0, 1, vcc_lo
	ds_bpermute_b32 v4, v2, v6
	s_waitcnt lgkmcnt(0)
	s_and_b32 s27, s3, 0xffff
	v_lshlrev_b32_e32 v5, 1, v5
	v_sub_nc_u32_e64 v12, s27, v7 clamp
	s_mov_b32 s3, exec_lo
	s_delay_alu instid0(VALU_DEP_1) | instskip(SKIP_2) | instid1(VALU_DEP_2)
	v_cmp_lt_u32_e32 vcc_lo, v3, v12
	v_add_f32_e32 v7, v6, v4
	v_add_lshl_u32 v4, v5, v1, 2
	v_cndmask_b32_e32 v7, v6, v7, vcc_lo
	v_cmp_gt_u32_e32 vcc_lo, 28, v1
	v_cndmask_b32_e64 v5, 0, 1, vcc_lo
	s_delay_alu instid0(VALU_DEP_1) | instskip(SKIP_2) | instid1(VALU_DEP_1)
	v_lshlrev_b32_e32 v8, 2, v5
	ds_bpermute_b32 v6, v4, v7
	v_add_nc_u32_e32 v5, 2, v1
	v_cmp_lt_u32_e32 vcc_lo, v5, v12
	s_waitcnt lgkmcnt(0)
	v_add_f32_e32 v9, v7, v6
	v_add_lshl_u32 v6, v8, v1, 2
	s_delay_alu instid0(VALU_DEP_2) | instskip(SKIP_3) | instid1(VALU_DEP_1)
	v_cndmask_b32_e32 v9, v7, v9, vcc_lo
	v_cmp_gt_u32_e32 vcc_lo, 24, v1
	ds_bpermute_b32 v8, v6, v9
	v_cndmask_b32_e64 v7, 0, 1, vcc_lo
	v_lshlrev_b32_e32 v10, 3, v7
	v_add_nc_u32_e32 v7, 4, v1
	s_delay_alu instid0(VALU_DEP_1) | instskip(SKIP_3) | instid1(VALU_DEP_2)
	v_cmp_lt_u32_e32 vcc_lo, v7, v12
	s_waitcnt lgkmcnt(0)
	v_add_f32_e32 v11, v9, v8
	v_add_lshl_u32 v8, v10, v1, 2
	v_cndmask_b32_e32 v11, v9, v11, vcc_lo
	v_cmp_gt_u32_e32 vcc_lo, 16, v1
	ds_bpermute_b32 v10, v8, v11
	v_cndmask_b32_e64 v9, 0, 1, vcc_lo
	s_delay_alu instid0(VALU_DEP_1) | instskip(SKIP_1) | instid1(VALU_DEP_1)
	v_lshlrev_b32_e32 v13, 4, v9
	v_add_nc_u32_e32 v9, 8, v1
	v_cmp_lt_u32_e32 vcc_lo, v9, v12
	s_waitcnt lgkmcnt(0)
	v_add_f32_e32 v14, v11, v10
	v_add_lshl_u32 v10, v13, v1, 2
	s_delay_alu instid0(VALU_DEP_2)
	v_cndmask_b32_e32 v13, v11, v14, vcc_lo
	v_add_nc_u32_e32 v11, 16, v1
	ds_bpermute_b32 v14, v10, v13
	v_cmp_lt_u32_e32 vcc_lo, v11, v12
	s_waitcnt lgkmcnt(0)
	v_add_f32_e32 v14, v13, v14
	s_delay_alu instid0(VALU_DEP_1)
	v_cndmask_b32_e32 v12, v13, v14, vcc_lo
	v_cmpx_eq_u32_e32 0, v1
	s_cbranch_execz .LBB51_12
; %bb.11:
	v_lshrrev_b32_e32 v13, 3, v0
	s_delay_alu instid0(VALU_DEP_1)
	v_and_b32_e32 v13, 0x7c, v13
	ds_store_b32 v13, v12 offset:4096
.LBB51_12:
	s_or_b32 exec_lo, exec_lo, s3
	s_delay_alu instid0(SALU_CYCLE_1)
	s_mov_b32 s3, exec_lo
	s_waitcnt lgkmcnt(0)
	s_barrier
	buffer_gl0_inv
	v_cmpx_gt_u32_e32 32, v0
	s_cbranch_execz .LBB51_14
; %bb.13:
	v_lshlrev_b32_e32 v1, 2, v1
	s_add_i32 s9, s27, 31
	s_delay_alu instid0(SALU_CYCLE_1) | instskip(NEXT) | instid1(SALU_CYCLE_1)
	s_lshr_b32 s9, s9, 5
	v_cmp_gt_u32_e32 vcc_lo, s9, v3
	ds_load_b32 v1, v1 offset:4096
	s_waitcnt lgkmcnt(0)
	ds_bpermute_b32 v2, v2, v1
	s_waitcnt lgkmcnt(0)
	v_add_f32_e32 v2, v1, v2
	s_delay_alu instid0(VALU_DEP_1) | instskip(SKIP_4) | instid1(VALU_DEP_1)
	v_cndmask_b32_e32 v1, v1, v2, vcc_lo
	v_cmp_gt_u32_e32 vcc_lo, s9, v5
	ds_bpermute_b32 v2, v4, v1
	s_waitcnt lgkmcnt(0)
	v_add_f32_e32 v2, v1, v2
	v_cndmask_b32_e32 v1, v1, v2, vcc_lo
	v_cmp_gt_u32_e32 vcc_lo, s9, v7
	ds_bpermute_b32 v2, v6, v1
	s_waitcnt lgkmcnt(0)
	v_add_f32_e32 v2, v1, v2
	s_delay_alu instid0(VALU_DEP_1) | instskip(SKIP_4) | instid1(VALU_DEP_1)
	v_cndmask_b32_e32 v1, v1, v2, vcc_lo
	v_cmp_gt_u32_e32 vcc_lo, s9, v9
	ds_bpermute_b32 v2, v8, v1
	s_waitcnt lgkmcnt(0)
	v_add_f32_e32 v2, v1, v2
	v_cndmask_b32_e32 v1, v1, v2, vcc_lo
	v_cmp_gt_u32_e32 vcc_lo, s9, v11
	ds_bpermute_b32 v2, v10, v1
	s_waitcnt lgkmcnt(0)
	v_add_f32_e32 v2, v1, v2
	s_delay_alu instid0(VALU_DEP_1)
	v_cndmask_b32_e32 v12, v1, v2, vcc_lo
.LBB51_14:
	s_or_b32 exec_lo, exec_lo, s3
	s_delay_alu instid0(SALU_CYCLE_1)
	s_mov_b32 s3, exec_lo
	v_cmpx_eq_u32_e32 0, v0
	s_cbranch_execz .LBB51_16
; %bb.15:
	v_cvt_f32_i32_e32 v1, s17
	s_delay_alu instid0(VALU_DEP_1) | instskip(SKIP_1) | instid1(VALU_DEP_2)
	v_div_scale_f32 v2, null, v1, v1, v12
	v_div_scale_f32 v5, vcc_lo, v12, v1, v12
	v_rcp_f32_e32 v3, v2
	s_waitcnt_depctr 0xfff
	v_fma_f32 v4, -v2, v3, 1.0
	s_delay_alu instid0(VALU_DEP_1) | instskip(NEXT) | instid1(VALU_DEP_1)
	v_fmac_f32_e32 v3, v4, v3
	v_mul_f32_e32 v4, v5, v3
	s_delay_alu instid0(VALU_DEP_1) | instskip(NEXT) | instid1(VALU_DEP_1)
	v_fma_f32 v6, -v2, v4, v5
	v_fmac_f32_e32 v4, v6, v3
	s_delay_alu instid0(VALU_DEP_1) | instskip(NEXT) | instid1(VALU_DEP_1)
	v_fma_f32 v2, -v2, v4, v5
	v_div_fmas_f32 v2, v2, v3, v4
	s_delay_alu instid0(VALU_DEP_1) | instskip(NEXT) | instid1(VALU_DEP_1)
	v_div_fixup_f32 v1, v2, v1, v12
	v_add_f32_e32 v1, s16, v1
	s_delay_alu instid0(VALU_DEP_1) | instskip(SKIP_1) | instid1(VALU_DEP_2)
	v_mul_f32_e32 v2, 0x4b800000, v1
	v_cmp_gt_f32_e32 vcc_lo, 0x800000, v1
	v_cndmask_b32_e32 v1, v1, v2, vcc_lo
	s_delay_alu instid0(VALU_DEP_1) | instskip(SKIP_2) | instid1(VALU_DEP_1)
	v_rsq_f32_e32 v1, v1
	s_waitcnt_depctr 0xfff
	v_mul_f32_e32 v2, 0x45800000, v1
	v_dual_cndmask_b32 v1, v1, v2 :: v_dual_mov_b32 v2, 0
	ds_store_b32 v2, v1 offset:4224
.LBB51_16:
	s_or_b32 exec_lo, exec_lo, s3
	s_ashr_i32 s13, s17, 31
	s_waitcnt lgkmcnt(0)
	s_lshr_b32 s3, s13, 25
	s_barrier
	s_add_i32 s3, s17, s3
	buffer_gl0_inv
	s_ashr_i32 s16, s3, 7
	s_ashr_i32 s3, s3, 31
	s_abs_i32 s9, s16
	s_delay_alu instid0(SALU_CYCLE_1) | instskip(SKIP_1) | instid1(VALU_DEP_1)
	v_cvt_f32_u32_e32 v1, s9
	s_sub_i32 s18, 0, s9
	v_rcp_iflag_f32_e32 v1, v1
	s_waitcnt_depctr 0xfff
	v_mul_f32_e32 v1, 0x4f7ffffe, v1
	s_delay_alu instid0(VALU_DEP_1) | instskip(NEXT) | instid1(VALU_DEP_1)
	v_cvt_u32_f32_e32 v1, v1
	v_readfirstlane_b32 s17, v1
	s_delay_alu instid0(VALU_DEP_1) | instskip(NEXT) | instid1(SALU_CYCLE_1)
	s_mul_i32 s18, s18, s17
	s_mul_hi_u32 s18, s17, s18
	s_delay_alu instid0(SALU_CYCLE_1) | instskip(NEXT) | instid1(SALU_CYCLE_1)
	s_add_i32 s17, s17, s18
	s_mul_hi_u32 s17, s27, s17
	s_delay_alu instid0(SALU_CYCLE_1) | instskip(SKIP_2) | instid1(SALU_CYCLE_1)
	s_mul_i32 s18, s17, s9
	s_add_i32 s19, s17, 1
	s_sub_i32 s18, s27, s18
	s_sub_i32 s20, s18, s9
	s_cmp_ge_u32 s18, s9
	s_cselect_b32 s17, s19, s17
	s_cselect_b32 s18, s20, s18
	s_add_i32 s19, s17, 1
	s_cmp_ge_u32 s18, s9
	s_cselect_b32 s9, s19, s17
	s_delay_alu instid0(SALU_CYCLE_1) | instskip(NEXT) | instid1(SALU_CYCLE_1)
	s_xor_b32 s9, s9, s3
	s_sub_i32 s18, s9, s3
	s_delay_alu instid0(SALU_CYCLE_1) | instskip(SKIP_3) | instid1(VALU_DEP_1)
	s_abs_i32 s3, s18
	s_ashr_i32 s19, s18, 31
	v_cvt_f32_u32_e32 v1, s3
	s_sub_i32 s9, 0, s3
	v_rcp_iflag_f32_e32 v1, v1
	s_waitcnt_depctr 0xfff
	v_mul_f32_e32 v1, 0x4f7ffffe, v1
	s_delay_alu instid0(VALU_DEP_1) | instskip(NEXT) | instid1(VALU_DEP_1)
	v_cvt_u32_f32_e32 v1, v1
	v_mul_lo_u32 v2, s9, v1
	s_ashr_i32 s9, s8, 31
	s_delay_alu instid0(VALU_DEP_1) | instskip(NEXT) | instid1(VALU_DEP_1)
	v_mul_hi_u32 v2, v1, v2
	v_add_nc_u32_e32 v1, v1, v2
	s_delay_alu instid0(VALU_DEP_1) | instskip(NEXT) | instid1(VALU_DEP_1)
	v_mul_hi_u32 v1, v0, v1
	v_mul_lo_u32 v2, v1, s3
	v_add_nc_u32_e32 v3, 1, v1
	s_delay_alu instid0(VALU_DEP_2) | instskip(NEXT) | instid1(VALU_DEP_1)
	v_sub_nc_u32_e32 v2, v0, v2
	v_subrev_nc_u32_e32 v4, s3, v2
	v_cmp_le_u32_e32 vcc_lo, s3, v2
	s_delay_alu instid0(VALU_DEP_2) | instskip(NEXT) | instid1(VALU_DEP_1)
	v_dual_cndmask_b32 v1, v1, v3 :: v_dual_cndmask_b32 v2, v2, v4
	v_dual_mov_b32 v4, 0 :: v_dual_add_nc_u32 v3, 1, v1
	s_delay_alu instid0(VALU_DEP_2) | instskip(SKIP_2) | instid1(VALU_DEP_1)
	v_cmp_le_u32_e32 vcc_lo, s3, v2
	ds_load_b32 v28, v4 offset:4224
	v_cndmask_b32_e32 v1, v1, v3, vcc_lo
	v_xor_b32_e32 v1, s19, v1
	s_delay_alu instid0(VALU_DEP_1) | instskip(NEXT) | instid1(VALU_DEP_1)
	v_subrev_nc_u32_e32 v1, s19, v1
	v_ashrrev_i32_e32 v2, 31, v1
	v_mul_lo_u32 v3, v1, s18
	s_delay_alu instid0(VALU_DEP_2) | instskip(NEXT) | instid1(VALU_DEP_2)
	v_lshlrev_b64 v[7:8], 5, v[1:2]
	v_sub_nc_u32_e32 v3, v0, v3
	s_delay_alu instid0(VALU_DEP_2) | instskip(NEXT) | instid1(VALU_DEP_3)
	v_add_co_u32 v5, vcc_lo, v7, 32
	v_add_co_ci_u32_e32 v6, vcc_lo, 0, v8, vcc_lo
	s_delay_alu instid0(VALU_DEP_1) | instskip(SKIP_4) | instid1(VALU_DEP_3)
	v_cmp_gt_i64_e32 vcc_lo, s[8:9], v[5:6]
	v_cndmask_b32_e32 v6, s9, v6, vcc_lo
	v_cndmask_b32_e32 v5, s8, v5, vcc_lo
	v_add_co_u32 v7, vcc_lo, v7, v3
	v_add_co_ci_u32_e32 v8, vcc_lo, 0, v8, vcc_lo
	v_ashrrev_i32_e32 v10, 31, v5
	v_mov_b32_e32 v9, v5
	s_mov_b32 s9, exec_lo
	s_delay_alu instid0(VALU_DEP_1)
	v_cmpx_lt_i64_e64 v[7:8], v[9:10]
	s_cbranch_execz .LBB51_26
; %bb.17:
	v_lshlrev_b64 v[11:12], 8, v[1:2]
	v_lshlrev_b64 v[13:14], 3, v[3:4]
	v_mov_b32_e32 v4, 0
	s_lshl_b64 s[20:21], s[18:19], 5
	s_mul_hi_i32 s17, s18, 3
	s_mul_i32 s28, s18, 3
	s_lshl_b64 s[22:23], s[18:19], 1
	v_add_co_u32 v19, vcc_lo, v11, v13
	v_add_co_ci_u32_e32 v20, vcc_lo, v12, v14, vcc_lo
	v_dual_mov_b32 v12, v8 :: v_dual_mov_b32 v11, v7
	s_lshl_b64 s[24:25], s[18:19], 3
	s_mov_b32 s29, 0
                                        ; implicit-def: $sgpr30
	s_branch .LBB51_21
.LBB51_18:                              ;   in Loop: Header=BB51_21 Depth=1
	s_or_b32 exec_lo, exec_lo, s34
	s_delay_alu instid0(SALU_CYCLE_1)
	s_or_not1_b32 s3, s3, exec_lo
.LBB51_19:                              ;   in Loop: Header=BB51_21 Depth=1
	s_or_b32 exec_lo, exec_lo, s33
	s_delay_alu instid0(SALU_CYCLE_1) | instskip(SKIP_1) | instid1(SALU_CYCLE_1)
	s_and_not1_b32 s30, s30, exec_lo
	s_and_b32 s3, s3, exec_lo
	s_or_b32 s30, s30, s3
.LBB51_20:                              ;   in Loop: Header=BB51_21 Depth=1
	s_or_b32 exec_lo, exec_lo, s31
	s_delay_alu instid0(SALU_CYCLE_1) | instskip(NEXT) | instid1(SALU_CYCLE_1)
	s_and_b32 s3, exec_lo, s30
	s_or_b32 s29, s3, s29
	s_delay_alu instid0(SALU_CYCLE_1)
	s_and_not1_b32 exec_lo, exec_lo, s29
	s_cbranch_execz .LBB51_25
.LBB51_21:                              ; =>This Inner Loop Header: Depth=1
	v_add_co_u32 v17, vcc_lo, s10, v19
	v_add_co_ci_u32_e32 v18, vcc_lo, s11, v20, vcc_lo
	v_add_co_u32 v15, vcc_lo, s14, v19
	v_add_co_ci_u32_e32 v16, vcc_lo, s26, v20, vcc_lo
	s_or_b32 s30, s30, exec_lo
	global_load_b64 v[13:14], v[17:18], off
	global_load_b64 v[21:22], v[15:16], off
	s_mov_b32 s31, exec_lo
	s_waitcnt vmcnt(1)
	v_lshrrev_b32_e32 v23, 16, v13
	s_waitcnt vmcnt(0) lgkmcnt(0)
	v_fma_mixlo_f16 v24, v28, v21, 0 op_sel_hi:[0,1,0]
	v_fma_mixlo_f16 v21, v28, v21, 0 op_sel:[0,1,0] op_sel_hi:[0,1,0]
	v_lshrrev_b32_e32 v25, 16, v14
	v_fma_mixlo_f16 v26, v28, v22, 0 op_sel_hi:[0,1,0]
	v_fma_mixlo_f16 v22, v28, v22, 0 op_sel:[0,1,0] op_sel_hi:[0,1,0]
	v_mul_f16_e32 v13, v13, v24
	v_mul_f16_e32 v21, v23, v21
	s_delay_alu instid0(VALU_DEP_4) | instskip(NEXT) | instid1(VALU_DEP_4)
	v_mul_f16_e32 v23, v14, v26
	v_mul_f16_e32 v22, v25, v22
	s_delay_alu instid0(VALU_DEP_4) | instskip(NEXT) | instid1(VALU_DEP_4)
	v_cvt_f32_f16_e64 v24, |v13|
	v_cvt_f32_f16_e64 v21, |v21|
	v_add_co_u32 v13, vcc_lo, v11, s18
	v_cvt_f32_f16_e64 v23, |v23|
	v_add_co_ci_u32_e32 v14, vcc_lo, s19, v12, vcc_lo
	s_delay_alu instid0(VALU_DEP_4) | instskip(SKIP_1) | instid1(VALU_DEP_1)
	v_max3_f32 v4, v4, v24, v21
	v_cvt_f32_f16_e64 v21, |v22|
	v_max3_f32 v4, v4, v23, v21
	s_delay_alu instid0(VALU_DEP_4)
	v_cmpx_lt_i64_e64 v[13:14], v[9:10]
	s_cbranch_execz .LBB51_20
; %bb.22:                               ;   in Loop: Header=BB51_21 Depth=1
	v_add_co_u32 v17, vcc_lo, v17, s24
	v_add_co_ci_u32_e32 v18, vcc_lo, s25, v18, vcc_lo
	v_add_co_u32 v15, vcc_lo, v15, s24
	v_add_co_ci_u32_e32 v16, vcc_lo, s25, v16, vcc_lo
	s_mov_b32 s3, -1
	global_load_b64 v[21:22], v[17:18], off
	global_load_b64 v[23:24], v[15:16], off
	s_mov_b32 s33, exec_lo
	s_waitcnt vmcnt(1)
	v_lshrrev_b32_e32 v25, 16, v21
	s_waitcnt vmcnt(0)
	v_fma_mixlo_f16 v26, v28, v23, 0 op_sel_hi:[0,1,0]
	v_fma_mixlo_f16 v23, v28, v23, 0 op_sel:[0,1,0] op_sel_hi:[0,1,0]
	v_lshrrev_b32_e32 v27, 16, v22
	v_fma_mixlo_f16 v29, v28, v24, 0 op_sel_hi:[0,1,0]
	v_fma_mixlo_f16 v24, v28, v24, 0 op_sel:[0,1,0] op_sel_hi:[0,1,0]
	v_mul_f16_e32 v21, v21, v26
	v_mul_f16_e32 v23, v25, v23
	s_delay_alu instid0(VALU_DEP_4) | instskip(NEXT) | instid1(VALU_DEP_4)
	v_mul_f16_e32 v25, v22, v29
	v_mul_f16_e32 v24, v27, v24
	s_delay_alu instid0(VALU_DEP_4) | instskip(NEXT) | instid1(VALU_DEP_4)
	v_cvt_f32_f16_e64 v26, |v21|
	v_cvt_f32_f16_e64 v23, |v23|
	v_add_co_u32 v21, vcc_lo, s22, v11
	v_cvt_f32_f16_e64 v25, |v25|
	v_add_co_ci_u32_e32 v22, vcc_lo, s23, v12, vcc_lo
	s_delay_alu instid0(VALU_DEP_4) | instskip(SKIP_1) | instid1(VALU_DEP_1)
	v_max3_f32 v4, v4, v26, v23
	v_cvt_f32_f16_e64 v23, |v24|
	v_max3_f32 v4, v4, v25, v23
	s_delay_alu instid0(VALU_DEP_4)
	v_cmpx_lt_i64_e64 v[21:22], v[9:10]
	s_cbranch_execz .LBB51_19
; %bb.23:                               ;   in Loop: Header=BB51_21 Depth=1
	v_add_co_u32 v17, vcc_lo, v17, s24
	v_add_co_ci_u32_e32 v18, vcc_lo, s25, v18, vcc_lo
	v_add_co_u32 v15, vcc_lo, v15, s24
	v_add_co_ci_u32_e32 v16, vcc_lo, s25, v16, vcc_lo
	v_add_co_u32 v11, vcc_lo, s28, v11
	global_load_b64 v[21:22], v[17:18], off
	global_load_b64 v[23:24], v[15:16], off
	v_add_co_ci_u32_e32 v12, vcc_lo, s17, v12, vcc_lo
	s_delay_alu instid0(VALU_DEP_1)
	v_cmp_lt_i64_e32 vcc_lo, v[11:12], v[9:10]
                                        ; implicit-def: $vgpr11_vgpr12
	s_waitcnt vmcnt(1)
	v_lshrrev_b32_e32 v25, 16, v21
	s_waitcnt vmcnt(0)
	v_fma_mixlo_f16 v26, v28, v23, 0 op_sel_hi:[0,1,0]
	v_fma_mixlo_f16 v23, v28, v23, 0 op_sel:[0,1,0] op_sel_hi:[0,1,0]
	v_lshrrev_b32_e32 v27, 16, v22
	v_fma_mixlo_f16 v29, v28, v24, 0 op_sel_hi:[0,1,0]
	v_fma_mixlo_f16 v24, v28, v24, 0 op_sel:[0,1,0] op_sel_hi:[0,1,0]
	v_mul_f16_e32 v21, v21, v26
	v_mul_f16_e32 v23, v25, v23
	s_delay_alu instid0(VALU_DEP_4) | instskip(NEXT) | instid1(VALU_DEP_4)
	v_mul_f16_e32 v22, v22, v29
	v_mul_f16_e32 v24, v27, v24
	s_delay_alu instid0(VALU_DEP_4) | instskip(NEXT) | instid1(VALU_DEP_4)
	v_cvt_f32_f16_e64 v21, |v21|
	v_cvt_f32_f16_e64 v23, |v23|
	s_delay_alu instid0(VALU_DEP_4) | instskip(NEXT) | instid1(VALU_DEP_2)
	v_cvt_f32_f16_e64 v22, |v22|
	v_max3_f32 v4, v4, v21, v23
	v_cvt_f32_f16_e64 v21, |v24|
	s_delay_alu instid0(VALU_DEP_1) | instskip(SKIP_1) | instid1(SALU_CYCLE_1)
	v_max3_f32 v4, v4, v22, v21
	s_and_saveexec_b32 s34, vcc_lo
	s_xor_b32 s34, exec_lo, s34
	s_cbranch_execz .LBB51_18
; %bb.24:                               ;   in Loop: Header=BB51_21 Depth=1
	v_add_co_u32 v11, vcc_lo, v17, s24
	v_add_co_ci_u32_e32 v12, vcc_lo, s25, v18, vcc_lo
	v_add_co_u32 v15, vcc_lo, v15, s24
	v_add_co_ci_u32_e32 v16, vcc_lo, s25, v16, vcc_lo
	s_add_u32 s3, s18, s18
	global_load_b64 v[11:12], v[11:12], off
	global_load_b64 v[15:16], v[15:16], off
	s_addc_u32 s35, s19, s19
	s_add_u32 s3, s3, s18
	s_addc_u32 s35, s35, s19
	s_waitcnt vmcnt(1)
	v_lshrrev_b32_e32 v17, 16, v11
	s_waitcnt vmcnt(0)
	v_fma_mixlo_f16 v18, v28, v15, 0 op_sel_hi:[0,1,0]
	v_fma_mixlo_f16 v15, v28, v15, 0 op_sel:[0,1,0] op_sel_hi:[0,1,0]
	v_lshrrev_b32_e32 v21, 16, v12
	v_fma_mixlo_f16 v22, v28, v16, 0 op_sel_hi:[0,1,0]
	v_fma_mixlo_f16 v16, v28, v16, 0 op_sel:[0,1,0] op_sel_hi:[0,1,0]
	v_mul_f16_e32 v11, v11, v18
	v_mul_f16_e32 v15, v17, v15
	s_delay_alu instid0(VALU_DEP_4) | instskip(NEXT) | instid1(VALU_DEP_4)
	v_mul_f16_e32 v17, v12, v22
	v_mul_f16_e32 v16, v21, v16
	s_delay_alu instid0(VALU_DEP_4) | instskip(NEXT) | instid1(VALU_DEP_4)
	v_cvt_f32_f16_e64 v18, |v11|
	v_cvt_f32_f16_e64 v15, |v15|
	v_add_co_u32 v11, vcc_lo, s3, v13
	v_add_co_ci_u32_e32 v12, vcc_lo, s35, v14, vcc_lo
	v_cvt_f32_f16_e64 v13, |v17|
	v_cvt_f32_f16_e64 v14, |v16|
	v_max3_f32 v4, v4, v18, v15
	s_delay_alu instid0(VALU_DEP_4) | instskip(SKIP_1) | instid1(VALU_DEP_1)
	v_cmp_ge_i64_e32 vcc_lo, v[11:12], v[9:10]
	v_add_co_u32 v19, s3, v19, s20
	v_add_co_ci_u32_e64 v20, s3, s21, v20, s3
	s_delay_alu instid0(VALU_DEP_4)
	v_max3_f32 v4, v4, v13, v14
	s_or_not1_b32 s3, vcc_lo, exec_lo
	s_branch .LBB51_18
.LBB51_25:
	s_or_b32 exec_lo, exec_lo, s29
.LBB51_26:
	s_delay_alu instid0(SALU_CYCLE_1)
	s_or_b32 exec_lo, exec_lo, s9
	s_lshr_b32 s9, s27, 5
	v_lshlrev_b32_e32 v29, 2, v0
	v_cvt_f32_u32_e32 v9, s9
	s_sub_i32 s17, 0, s9
	s_add_i32 s20, s16, s9
	s_delay_alu instid0(SALU_CYCLE_1) | instskip(NEXT) | instid1(VALU_DEP_1)
	s_add_i32 s20, s20, -1
	v_rcp_iflag_f32_e32 v9, v9
	s_abs_i32 s21, s20
	s_ashr_i32 s20, s20, 31
	ds_store_b32 v29, v4
	s_waitcnt lgkmcnt(0)
	s_barrier
	buffer_gl0_inv
	v_mul_f32_e32 v9, 0x4f7ffffe, v9
	s_delay_alu instid0(VALU_DEP_1) | instskip(NEXT) | instid1(VALU_DEP_1)
	v_cvt_u32_f32_e32 v9, v9
	v_readfirstlane_b32 s3, v9
	s_delay_alu instid0(VALU_DEP_1) | instskip(NEXT) | instid1(SALU_CYCLE_1)
	s_mul_i32 s17, s17, s3
	s_mul_hi_u32 s17, s3, s17
	s_delay_alu instid0(SALU_CYCLE_1) | instskip(SKIP_2) | instid1(SALU_CYCLE_1)
	s_add_i32 s3, s3, s17
	s_ashr_i32 s17, s16, 31
	s_mul_hi_u32 s3, s21, s3
	s_mul_i32 s22, s3, s9
	s_delay_alu instid0(SALU_CYCLE_1)
	s_sub_i32 s21, s21, s22
	s_add_i32 s22, s3, 1
	s_sub_i32 s23, s21, s9
	s_cmp_ge_u32 s21, s9
	s_cselect_b32 s3, s22, s3
	s_cselect_b32 s21, s23, s21
	s_add_i32 s22, s3, 1
	s_cmp_ge_u32 s21, s9
	s_cselect_b32 s3, s22, s3
	s_delay_alu instid0(SALU_CYCLE_1) | instskip(NEXT) | instid1(SALU_CYCLE_1)
	s_xor_b32 s3, s3, s20
	s_sub_i32 s20, s3, s20
	s_delay_alu instid0(SALU_CYCLE_1) | instskip(NEXT) | instid1(SALU_CYCLE_1)
	s_ashr_i32 s21, s20, 31
	v_cmp_lt_i64_e64 s3, s[20:21], 1
	s_delay_alu instid0(VALU_DEP_1)
	s_and_b32 vcc_lo, exec_lo, s3
	s_cbranch_vccnz .LBB51_46
; %bb.27:
	v_lshrrev_b32_e32 v9, 5, v0
	v_and_b32_e32 v4, 31, v0
	s_mov_b64 s[22:23], 0
	s_mov_b64 s[24:25], src_shared_base
	s_delay_alu instid0(VALU_DEP_2) | instskip(NEXT) | instid1(VALU_DEP_2)
	v_mul_lo_u32 v19, s18, v9
	v_add_co_u32 v11, s3, v4, 16
	s_delay_alu instid0(VALU_DEP_1) | instskip(SKIP_1) | instid1(VALU_DEP_1)
	v_add_co_ci_u32_e64 v12, null, 0, 0, s3
	v_add_co_u32 v13, s3, v4, 8
	v_add_co_ci_u32_e64 v14, null, 0, 0, s3
	v_add_co_u32 v15, s3, v4, 4
	v_dual_mov_b32 v10, 0 :: v_dual_lshlrev_b32 v21, 2, v19
	v_lshlrev_b32_e32 v22, 2, v4
	v_add_co_ci_u32_e64 v16, null, 0, 0, s3
	v_add_co_u32 v17, s3, v4, 2
	s_delay_alu instid0(VALU_DEP_1) | instskip(SKIP_1) | instid1(VALU_DEP_1)
	v_add_co_ci_u32_e64 v18, null, 0, 0, s3
	v_add_co_u32 v19, s3, v4, 1
	v_add_co_ci_u32_e64 v20, null, 0, 0, s3
	v_add3_u32 v30, v21, v22, 0x80
	s_mul_i32 s3, s18, s9
	s_delay_alu instid0(SALU_CYCLE_1)
	s_lshl_b32 s28, s3, 2
	s_branch .LBB51_30
.LBB51_28:                              ;   in Loop: Header=BB51_30 Depth=1
	s_or_b32 exec_lo, exec_lo, s3
	v_mov_b32_e32 v22, s25
	flat_load_b32 v21, v[21:22] glc dlc
	s_waitcnt vmcnt(0)
.LBB51_29:                              ;   in Loop: Header=BB51_30 Depth=1
	s_or_b32 exec_lo, exec_lo, s24
	s_add_u32 s22, s22, 1
	v_add_nc_u32_e32 v30, s28, v30
	s_addc_u32 s23, s23, 0
	s_delay_alu instid0(SALU_CYCLE_1)
	s_cmp_eq_u64 s[22:23], s[20:21]
	s_cbranch_scc1 .LBB51_46
.LBB51_30:                              ; =>This Loop Header: Depth=1
                                        ;     Child Loop BB51_33 Depth 2
	s_waitcnt lgkmcnt(0)
	v_mad_u64_u32 v[21:22], null, s22, s9, v[9:10]
	s_mov_b32 s24, exec_lo
	s_delay_alu instid0(VALU_DEP_1) | instskip(NEXT) | instid1(VALU_DEP_1)
	v_mad_u64_u32 v[23:24], null, s23, s9, v[22:23]
	v_mov_b32_e32 v22, v23
	s_delay_alu instid0(VALU_DEP_1)
	v_cmpx_gt_i64_e64 s[16:17], v[21:22]
	s_cbranch_execz .LBB51_29
; %bb.31:                               ;   in Loop: Header=BB51_30 Depth=1
	v_mul_lo_u32 v24, v22, s18
	v_mul_lo_u32 v25, v21, s19
	v_mad_u64_u32 v[22:23], null, v21, s18, 0
	s_delay_alu instid0(VALU_DEP_1) | instskip(NEXT) | instid1(VALU_DEP_2)
	v_add3_u32 v23, v23, v25, v24
	v_add_co_u32 v24, vcc_lo, v22, s18
	v_add_co_u32 v31, s3, v22, v4
	s_delay_alu instid0(VALU_DEP_3) | instskip(SKIP_2) | instid1(VALU_DEP_2)
	v_add_co_ci_u32_e32 v25, vcc_lo, s19, v23, vcc_lo
	v_add_co_ci_u32_e64 v21, s3, 0, v23, s3
	s_mov_b32 s3, exec_lo
	v_cmp_gt_i64_e32 vcc_lo, s[12:13], v[24:25]
	v_cndmask_b32_e32 v25, s13, v25, vcc_lo
	v_cndmask_b32_e32 v24, s12, v24, vcc_lo
	v_add_co_u32 v26, vcc_lo, v31, 32
	v_add_co_ci_u32_e32 v27, vcc_lo, 0, v21, vcc_lo
	v_lshlrev_b32_e32 v21, 2, v31
	s_delay_alu instid0(VALU_DEP_2)
	v_cmpx_lt_i64_e64 v[26:27], v[24:25]
	s_cbranch_execz .LBB51_34
; %bb.32:                               ;   in Loop: Header=BB51_30 Depth=1
	ds_load_b32 v33, v21
	v_mov_b32_e32 v32, v30
	s_mov_b32 s29, 0
.LBB51_33:                              ;   Parent Loop BB51_30 Depth=1
                                        ; =>  This Inner Loop Header: Depth=2
	ds_load_b32 v34, v32
	v_add_co_u32 v26, vcc_lo, v26, 32
	v_add_co_ci_u32_e32 v27, vcc_lo, 0, v27, vcc_lo
	s_waitcnt lgkmcnt(1)
	v_dual_max_f32 v33, v33, v33 :: v_dual_add_nc_u32 v32, 0x80, v32
	s_delay_alu instid0(VALU_DEP_2) | instskip(SKIP_3) | instid1(VALU_DEP_1)
	v_cmp_ge_i64_e32 vcc_lo, v[26:27], v[24:25]
	s_or_b32 s29, vcc_lo, s29
	s_waitcnt lgkmcnt(0)
	v_max_f32_e32 v34, v34, v34
	v_max_f32_e32 v33, v33, v34
	ds_store_b32 v21, v33
	s_and_not1_b32 exec_lo, exec_lo, s29
	s_cbranch_execnz .LBB51_33
.LBB51_34:                              ;   in Loop: Header=BB51_30 Depth=1
	s_or_b32 exec_lo, exec_lo, s3
	v_sub_co_u32 v22, vcc_lo, v24, v22
	v_sub_co_ci_u32_e32 v23, vcc_lo, v25, v23, vcc_lo
	s_mov_b32 s3, exec_lo
	s_delay_alu instid0(VALU_DEP_1) | instskip(SKIP_1) | instid1(VALU_DEP_1)
	v_cmp_gt_i64_e32 vcc_lo, 32, v[22:23]
	v_dual_cndmask_b32 v24, 0, v23 :: v_dual_cndmask_b32 v23, 32, v22
	v_cmpx_lt_i64_e64 v[11:12], v[23:24]
	s_cbranch_execz .LBB51_36
; %bb.35:                               ;   in Loop: Header=BB51_30 Depth=1
	v_dual_mov_b32 v22, s25 :: v_dual_add_nc_u32 v25, 64, v21
	v_mov_b32_e32 v26, s25
	flat_load_b32 v27, v[21:22] glc dlc
	s_waitcnt vmcnt(0)
	flat_load_b32 v25, v[25:26] glc dlc
	s_waitcnt vmcnt(0) lgkmcnt(0)
	v_dual_max_f32 v26, v27, v27 :: v_dual_max_f32 v25, v25, v25
	s_delay_alu instid0(VALU_DEP_1)
	v_max_f32_e32 v25, v26, v25
	flat_store_b32 v[21:22], v25 dlc
	s_waitcnt_vscnt null, 0x0
.LBB51_36:                              ;   in Loop: Header=BB51_30 Depth=1
	s_or_b32 exec_lo, exec_lo, s3
	s_delay_alu instid0(SALU_CYCLE_1)
	s_mov_b32 s3, exec_lo
	v_cmpx_lt_i64_e64 v[13:14], v[23:24]
	s_cbranch_execz .LBB51_38
; %bb.37:                               ;   in Loop: Header=BB51_30 Depth=1
	v_dual_mov_b32 v22, s25 :: v_dual_add_nc_u32 v25, 32, v21
	v_mov_b32_e32 v26, s25
	flat_load_b32 v27, v[21:22] glc dlc
	s_waitcnt vmcnt(0)
	flat_load_b32 v25, v[25:26] glc dlc
	s_waitcnt vmcnt(0) lgkmcnt(0)
	v_dual_max_f32 v26, v27, v27 :: v_dual_max_f32 v25, v25, v25
	s_delay_alu instid0(VALU_DEP_1)
	v_max_f32_e32 v25, v26, v25
	flat_store_b32 v[21:22], v25 dlc
	s_waitcnt_vscnt null, 0x0
.LBB51_38:                              ;   in Loop: Header=BB51_30 Depth=1
	s_or_b32 exec_lo, exec_lo, s3
	s_delay_alu instid0(SALU_CYCLE_1)
	s_mov_b32 s3, exec_lo
	v_cmpx_ge_i64_e64 v[15:16], v[23:24]
	s_xor_b32 s3, exec_lo, s3
; %bb.39:                               ;   in Loop: Header=BB51_30 Depth=1
                                        ; implicit-def: $vgpr21
; %bb.40:                               ;   in Loop: Header=BB51_30 Depth=1
	s_delay_alu instid0(SALU_CYCLE_1)
	s_and_not1_saveexec_b32 s3, s3
	s_cbranch_execz .LBB51_42
; %bb.41:                               ;   in Loop: Header=BB51_30 Depth=1
	v_dual_mov_b32 v22, s25 :: v_dual_add_nc_u32 v25, 16, v21
	v_mov_b32_e32 v26, s25
	flat_load_b32 v27, v[21:22] glc dlc
	s_waitcnt vmcnt(0)
	flat_load_b32 v25, v[25:26] glc dlc
	s_waitcnt vmcnt(0) lgkmcnt(0)
	v_dual_max_f32 v26, v27, v27 :: v_dual_max_f32 v25, v25, v25
	s_delay_alu instid0(VALU_DEP_1)
	v_max_f32_e32 v25, v26, v25
	flat_store_b32 v[21:22], v25 dlc
	s_waitcnt_vscnt null, 0x0
.LBB51_42:                              ;   in Loop: Header=BB51_30 Depth=1
	s_or_b32 exec_lo, exec_lo, s3
	v_lshlrev_b32_e32 v21, 2, v31
	s_mov_b32 s3, exec_lo
	v_cmpx_lt_i64_e64 v[17:18], v[23:24]
	s_cbranch_execz .LBB51_44
; %bb.43:                               ;   in Loop: Header=BB51_30 Depth=1
	s_delay_alu instid0(VALU_DEP_2)
	v_dual_mov_b32 v22, s25 :: v_dual_add_nc_u32 v25, 8, v21
	v_mov_b32_e32 v26, s25
	flat_load_b32 v27, v[21:22] glc dlc
	s_waitcnt vmcnt(0)
	flat_load_b32 v25, v[25:26] glc dlc
	s_waitcnt vmcnt(0) lgkmcnt(0)
	v_dual_max_f32 v26, v27, v27 :: v_dual_max_f32 v25, v25, v25
	s_delay_alu instid0(VALU_DEP_1)
	v_max_f32_e32 v25, v26, v25
	flat_store_b32 v[21:22], v25 dlc
	s_waitcnt_vscnt null, 0x0
.LBB51_44:                              ;   in Loop: Header=BB51_30 Depth=1
	s_or_b32 exec_lo, exec_lo, s3
	s_delay_alu instid0(SALU_CYCLE_1)
	s_mov_b32 s3, exec_lo
	v_cmpx_lt_i64_e64 v[19:20], v[23:24]
	s_cbranch_execz .LBB51_28
; %bb.45:                               ;   in Loop: Header=BB51_30 Depth=1
	v_dual_mov_b32 v22, s25 :: v_dual_add_nc_u32 v23, 4, v21
	v_mov_b32_e32 v24, s25
	flat_load_b32 v25, v[21:22] glc dlc
	s_waitcnt vmcnt(0)
	flat_load_b32 v23, v[23:24] glc dlc
	s_waitcnt vmcnt(0) lgkmcnt(0)
	v_dual_max_f32 v24, v25, v25 :: v_dual_max_f32 v23, v23, v23
	s_delay_alu instid0(VALU_DEP_1)
	v_max_f32_e32 v23, v24, v23
	flat_store_b32 v[21:22], v23 dlc
	s_waitcnt_vscnt null, 0x0
	s_branch .LBB51_28
.LBB51_46:
	v_cmp_lt_i64_e32 vcc_lo, v[7:8], v[5:6]
	v_cmp_eq_u32_e64 s3, 0, v3
	s_mul_i32 s9, s17, s15
	s_mul_hi_u32 s18, s16, s15
	s_mul_i32 s16, s16, s15
	s_waitcnt lgkmcnt(0)
	s_and_b32 s17, s3, vcc_lo
	s_barrier
	buffer_gl0_inv
	s_and_saveexec_b32 s3, s17
	s_cbranch_execz .LBB51_50
; %bb.47:
	s_load_b64 s[0:1], s[0:1], 0x20
	ds_load_b32 v3, v29
	s_waitcnt lgkmcnt(0)
	s_cmp_eq_u64 s[0:1], 0
	s_cbranch_scc1 .LBB51_49
; %bb.48:
	s_load_b32 s0, s[0:1], 0x0
	v_max_f32_e32 v3, v3, v3
	s_waitcnt lgkmcnt(0)
	v_max_f32_e64 v4, s0, s0
	s_delay_alu instid0(VALU_DEP_1)
	v_min_f32_e32 v3, v3, v4
.LBB51_49:
	s_delay_alu instid0(VALU_DEP_1) | instskip(SKIP_2) | instid1(VALU_DEP_2)
	v_div_scale_f32 v4, null, 0x43e00000, 0x43e00000, v3
	v_div_scale_f32 v7, vcc_lo, v3, 0x43e00000, v3
	s_add_i32 s17, s18, s9
	v_rcp_f32_e32 v5, v4
	v_lshlrev_b64 v[1:2], 2, v[1:2]
	s_lshl_b64 s[0:1], s[16:17], 2
	s_delay_alu instid0(SALU_CYCLE_1) | instskip(SKIP_3) | instid1(VALU_DEP_1)
	s_add_u32 s0, s6, s0
	s_addc_u32 s1, s7, s1
	s_waitcnt_depctr 0xfff
	v_fma_f32 v6, -v4, v5, 1.0
	v_fmac_f32_e32 v5, v6, v5
	s_delay_alu instid0(VALU_DEP_1) | instskip(NEXT) | instid1(VALU_DEP_1)
	v_mul_f32_e32 v6, v7, v5
	v_fma_f32 v8, -v4, v6, v7
	s_delay_alu instid0(VALU_DEP_1) | instskip(NEXT) | instid1(VALU_DEP_1)
	v_fmac_f32_e32 v6, v8, v5
	v_fma_f32 v4, -v4, v6, v7
	s_delay_alu instid0(VALU_DEP_1) | instskip(SKIP_2) | instid1(VALU_DEP_3)
	v_div_fmas_f32 v4, v4, v5, v6
	v_add_co_u32 v1, vcc_lo, s0, v1
	v_add_co_ci_u32_e32 v2, vcc_lo, s1, v2, vcc_lo
	v_div_fixup_f32 v3, v4, 0x43e00000, v3
	s_delay_alu instid0(VALU_DEP_1)
	v_max_f32_e32 v3, 0x36924925, v3
	global_store_b32 v[1:2], v3, off
.LBB51_50:
	s_or_b32 exec_lo, exec_lo, s3
	s_waitcnt_vscnt null, 0x0
	s_barrier
	buffer_gl0_inv
	s_and_saveexec_b32 s0, s2
	s_cbranch_execz .LBB51_155
; %bb.51:
	s_mul_i32 s0, s13, s15
	s_mul_hi_u32 s1, s12, s15
	s_mul_i32 s2, s12, s15
	s_add_i32 s1, s1, s0
	s_add_u32 s2, s4, s2
	s_addc_u32 s3, s5, s1
	s_add_i32 s17, s18, s9
	v_mov_b32_e32 v1, 0
	s_lshl_b64 s[0:1], s[16:17], 2
	s_mul_i32 s4, s27, 3
	s_add_u32 s0, s6, s0
	s_addc_u32 s1, s7, s1
	s_lshl_b32 s5, s27, 1
	s_mov_b32 s6, 0
	s_mov_b32 s7, 0x43e00000
	s_add_i32 s9, s27, s27
	s_branch .LBB51_57
.LBB51_52:                              ;   in Loop: Header=BB51_57 Depth=1
	s_or_b32 exec_lo, exec_lo, s17
.LBB51_53:                              ;   in Loop: Header=BB51_57 Depth=1
	s_delay_alu instid0(SALU_CYCLE_1)
	s_or_b32 exec_lo, exec_lo, s16
	v_lshrrev_b32_e32 v6, 24, v12
	v_lshrrev_b32_e32 v3, 24, v3
	v_and_b32_e32 v10, 0x80000000, v4
	v_lshrrev_b32_e32 v9, 24, v9
	v_lshlrev_b32_e32 v5, 24, v5
	v_and_b32_e32 v6, 0x80, v6
	v_and_b32_e32 v3, 0x80, v3
	v_and_b32_e32 v8, 0xff, v8
	s_delay_alu instid0(VALU_DEP_3) | instskip(NEXT) | instid1(VALU_DEP_3)
	v_and_or_b32 v6, 0xff, v11, v6
	v_and_or_b32 v7, 0xff, v7, v3
	v_lshlrev_b64 v[3:4], 2, v[0:1]
	v_add3_u32 v0, s9, s27, v2
	v_and_or_b32 v8, 0x80, v9, v8
	v_lshlrev_b32_e32 v6, 16, v6
	v_lshlrev_b32_e32 v7, 8, v7
	v_add_co_u32 v2, vcc_lo, s2, v3
	s_delay_alu instid0(VALU_DEP_3) | instskip(SKIP_2) | instid1(VALU_DEP_3)
	v_or3_b32 v5, v10, v5, v6
	v_add_co_ci_u32_e32 v3, vcc_lo, s3, v4, vcc_lo
	v_cmp_le_u32_e32 vcc_lo, s8, v0
	v_or3_b32 v4, v5, v7, v8
	s_or_not1_b32 s16, vcc_lo, exec_lo
	global_store_b32 v[2:3], v4, off
.LBB51_54:                              ;   in Loop: Header=BB51_57 Depth=1
	s_or_b32 exec_lo, exec_lo, s15
	s_delay_alu instid0(SALU_CYCLE_1)
	s_or_not1_b32 s15, s16, exec_lo
.LBB51_55:                              ;   in Loop: Header=BB51_57 Depth=1
	s_or_b32 exec_lo, exec_lo, s13
	s_delay_alu instid0(SALU_CYCLE_1)
	s_or_not1_b32 s13, s15, exec_lo
.LBB51_56:                              ;   in Loop: Header=BB51_57 Depth=1
	s_or_b32 exec_lo, exec_lo, s12
	s_delay_alu instid0(SALU_CYCLE_1) | instskip(NEXT) | instid1(SALU_CYCLE_1)
	s_and_b32 s12, exec_lo, s13
	s_or_b32 s6, s12, s6
	s_delay_alu instid0(SALU_CYCLE_1)
	s_and_not1_b32 exec_lo, exec_lo, s6
	s_cbranch_execz .LBB51_155
.LBB51_57:                              ; =>This Inner Loop Header: Depth=1
	v_lshlrev_b64 v[2:3], 3, v[0:1]
	v_lshrrev_b32_e32 v8, 3, v0
	s_mov_b32 s12, exec_lo
	s_delay_alu instid0(VALU_DEP_2) | instskip(NEXT) | instid1(VALU_DEP_3)
	v_add_co_u32 v4, vcc_lo, s14, v2
	v_add_co_ci_u32_e32 v5, vcc_lo, s26, v3, vcc_lo
	v_add_co_u32 v6, vcc_lo, s10, v2
	v_add_co_ci_u32_e32 v7, vcc_lo, s11, v3, vcc_lo
	global_load_b64 v[2:3], v[4:5], off
	global_load_b64 v[4:5], v[6:7], off
	v_and_b32_e32 v6, 0x7fffffc, v8
	global_load_b32 v9, v6, s[0:1]
	s_waitcnt vmcnt(2)
	v_fma_mixlo_f16 v6, v28, v2, 0 op_sel_hi:[0,1,0]
	s_waitcnt vmcnt(1)
	s_delay_alu instid0(VALU_DEP_1) | instskip(NEXT) | instid1(VALU_DEP_1)
	v_mul_f16_e32 v6, v4, v6
	v_cvt_f32_f16_e32 v6, v6
	s_waitcnt vmcnt(0)
	s_delay_alu instid0(VALU_DEP_1) | instskip(SKIP_1) | instid1(VALU_DEP_2)
	v_div_scale_f32 v7, null, v9, v9, v6
	v_div_scale_f32 v11, vcc_lo, v6, v9, v6
	v_rcp_f32_e32 v8, v7
	s_waitcnt_depctr 0xfff
	v_fma_f32 v10, -v7, v8, 1.0
	s_delay_alu instid0(VALU_DEP_1) | instskip(NEXT) | instid1(VALU_DEP_1)
	v_fmac_f32_e32 v8, v10, v8
	v_mul_f32_e32 v10, v11, v8
	s_delay_alu instid0(VALU_DEP_1) | instskip(NEXT) | instid1(VALU_DEP_1)
	v_fma_f32 v12, -v7, v10, v11
	v_fmac_f32_e32 v10, v12, v8
	s_delay_alu instid0(VALU_DEP_1) | instskip(NEXT) | instid1(VALU_DEP_1)
	v_fma_f32 v7, -v7, v10, v11
	v_div_fmas_f32 v7, v7, v8, v10
	s_delay_alu instid0(VALU_DEP_1) | instskip(SKIP_1) | instid1(VALU_DEP_2)
	v_div_fixup_f32 v6, v7, v9, v6
	v_mov_b32_e32 v7, 0x7f
	v_minmax_f32 v8, v6, s7, 0xc3e00000
	v_mov_b32_e32 v6, 0x7f
	s_delay_alu instid0(VALU_DEP_2) | instskip(NEXT) | instid1(VALU_DEP_1)
	v_and_b32_e32 v10, 0x7fffffff, v8
	v_cmpx_gt_u32_e32 0x43f00000, v10
	s_cbranch_execz .LBB51_63
; %bb.58:                               ;   in Loop: Header=BB51_57 Depth=1
	s_mov_b32 s13, exec_lo
                                        ; implicit-def: $vgpr7
	v_cmpx_lt_u32_e32 0x3c7fffff, v10
	s_xor_b32 s13, exec_lo, s13
; %bb.59:                               ;   in Loop: Header=BB51_57 Depth=1
	v_bfe_u32 v7, v8, 20, 1
	s_delay_alu instid0(VALU_DEP_1) | instskip(NEXT) | instid1(VALU_DEP_1)
	v_add3_u32 v7, v8, v7, 0x407ffff
	v_lshrrev_b32_e32 v7, 20, v7
; %bb.60:                               ;   in Loop: Header=BB51_57 Depth=1
	s_and_not1_saveexec_b32 s13, s13
; %bb.61:                               ;   in Loop: Header=BB51_57 Depth=1
	v_add_f32_e64 v7, 0x46800000, |v8|
; %bb.62:                               ;   in Loop: Header=BB51_57 Depth=1
	s_or_b32 exec_lo, exec_lo, s13
.LBB51_63:                              ;   in Loop: Header=BB51_57 Depth=1
	s_delay_alu instid0(SALU_CYCLE_1) | instskip(SKIP_3) | instid1(VALU_DEP_1)
	s_or_b32 exec_lo, exec_lo, s12
	v_lshrrev_b32_e32 v4, 16, v4
	v_fma_mixlo_f16 v2, v28, v2, 0 op_sel:[0,1,0] op_sel_hi:[0,1,0]
	s_mov_b32 s12, exec_lo
	v_mul_f16_e32 v2, v4, v2
	s_delay_alu instid0(VALU_DEP_1) | instskip(NEXT) | instid1(VALU_DEP_1)
	v_cvt_f32_f16_e32 v2, v2
	v_div_scale_f32 v4, null, v9, v9, v2
	s_delay_alu instid0(VALU_DEP_1) | instskip(SKIP_2) | instid1(VALU_DEP_1)
	v_rcp_f32_e32 v10, v4
	s_waitcnt_depctr 0xfff
	v_fma_f32 v11, -v4, v10, 1.0
	v_fmac_f32_e32 v10, v11, v10
	v_div_scale_f32 v11, vcc_lo, v2, v9, v2
	s_delay_alu instid0(VALU_DEP_1) | instskip(NEXT) | instid1(VALU_DEP_1)
	v_mul_f32_e32 v12, v11, v10
	v_fma_f32 v13, -v4, v12, v11
	s_delay_alu instid0(VALU_DEP_1) | instskip(NEXT) | instid1(VALU_DEP_1)
	v_fmac_f32_e32 v12, v13, v10
	v_fma_f32 v4, -v4, v12, v11
	s_delay_alu instid0(VALU_DEP_1) | instskip(NEXT) | instid1(VALU_DEP_1)
	v_div_fmas_f32 v4, v4, v10, v12
	v_div_fixup_f32 v2, v4, v9, v2
	s_delay_alu instid0(VALU_DEP_1) | instskip(NEXT) | instid1(VALU_DEP_1)
	v_minmax_f32 v2, v2, s7, 0xc3e00000
	v_and_b32_e32 v4, 0x7fffffff, v2
	s_delay_alu instid0(VALU_DEP_1)
	v_cmpx_gt_u32_e32 0x43f00000, v4
	s_cbranch_execz .LBB51_69
; %bb.64:                               ;   in Loop: Header=BB51_57 Depth=1
	s_mov_b32 s13, exec_lo
                                        ; implicit-def: $vgpr6
	v_cmpx_lt_u32_e32 0x3c7fffff, v4
	s_xor_b32 s13, exec_lo, s13
; %bb.65:                               ;   in Loop: Header=BB51_57 Depth=1
	v_bfe_u32 v4, v2, 20, 1
	s_delay_alu instid0(VALU_DEP_1) | instskip(NEXT) | instid1(VALU_DEP_1)
	v_add3_u32 v4, v2, v4, 0x407ffff
	v_lshrrev_b32_e32 v6, 20, v4
; %bb.66:                               ;   in Loop: Header=BB51_57 Depth=1
	s_and_not1_saveexec_b32 s13, s13
; %bb.67:                               ;   in Loop: Header=BB51_57 Depth=1
	v_add_f32_e64 v6, 0x46800000, |v2|
; %bb.68:                               ;   in Loop: Header=BB51_57 Depth=1
	s_or_b32 exec_lo, exec_lo, s13
.LBB51_69:                              ;   in Loop: Header=BB51_57 Depth=1
	s_delay_alu instid0(SALU_CYCLE_1) | instskip(SKIP_2) | instid1(VALU_DEP_1)
	s_or_b32 exec_lo, exec_lo, s12
	v_fma_mixlo_f16 v4, v28, v3, 0 op_sel_hi:[0,1,0]
	s_mov_b32 s12, exec_lo
	v_mul_f16_e32 v4, v5, v4
	s_delay_alu instid0(VALU_DEP_1) | instskip(NEXT) | instid1(VALU_DEP_1)
	v_cvt_f32_f16_e32 v4, v4
	v_div_scale_f32 v10, null, v9, v9, v4
	v_div_scale_f32 v13, vcc_lo, v4, v9, v4
	s_delay_alu instid0(VALU_DEP_2) | instskip(SKIP_2) | instid1(VALU_DEP_1)
	v_rcp_f32_e32 v11, v10
	s_waitcnt_depctr 0xfff
	v_fma_f32 v12, -v10, v11, 1.0
	v_fmac_f32_e32 v11, v12, v11
	s_delay_alu instid0(VALU_DEP_1) | instskip(NEXT) | instid1(VALU_DEP_1)
	v_mul_f32_e32 v12, v13, v11
	v_fma_f32 v14, -v10, v12, v13
	s_delay_alu instid0(VALU_DEP_1) | instskip(NEXT) | instid1(VALU_DEP_1)
	v_fmac_f32_e32 v12, v14, v11
	v_fma_f32 v10, -v10, v12, v13
	s_delay_alu instid0(VALU_DEP_1) | instskip(NEXT) | instid1(VALU_DEP_1)
	v_div_fmas_f32 v10, v10, v11, v12
	v_div_fixup_f32 v4, v10, v9, v4
	v_mov_b32_e32 v10, 0x7f
	s_delay_alu instid0(VALU_DEP_2) | instskip(SKIP_1) | instid1(VALU_DEP_2)
	v_minmax_f32 v11, v4, s7, 0xc3e00000
	v_mov_b32_e32 v4, 0x7f
	v_and_b32_e32 v12, 0x7fffffff, v11
	s_delay_alu instid0(VALU_DEP_1)
	v_cmpx_gt_u32_e32 0x43f00000, v12
	s_cbranch_execz .LBB51_75
; %bb.70:                               ;   in Loop: Header=BB51_57 Depth=1
	s_mov_b32 s13, exec_lo
                                        ; implicit-def: $vgpr10
	v_cmpx_lt_u32_e32 0x3c7fffff, v12
	s_xor_b32 s13, exec_lo, s13
; %bb.71:                               ;   in Loop: Header=BB51_57 Depth=1
	v_bfe_u32 v10, v11, 20, 1
	s_delay_alu instid0(VALU_DEP_1) | instskip(NEXT) | instid1(VALU_DEP_1)
	v_add3_u32 v10, v11, v10, 0x407ffff
	v_lshrrev_b32_e32 v10, 20, v10
; %bb.72:                               ;   in Loop: Header=BB51_57 Depth=1
	s_and_not1_saveexec_b32 s13, s13
; %bb.73:                               ;   in Loop: Header=BB51_57 Depth=1
	v_add_f32_e64 v10, 0x46800000, |v11|
; %bb.74:                               ;   in Loop: Header=BB51_57 Depth=1
	s_or_b32 exec_lo, exec_lo, s13
.LBB51_75:                              ;   in Loop: Header=BB51_57 Depth=1
	s_delay_alu instid0(SALU_CYCLE_1) | instskip(SKIP_3) | instid1(VALU_DEP_1)
	s_or_b32 exec_lo, exec_lo, s12
	v_lshrrev_b32_e32 v5, 16, v5
	v_fma_mixlo_f16 v3, v28, v3, 0 op_sel:[0,1,0] op_sel_hi:[0,1,0]
	s_mov_b32 s12, exec_lo
	v_mul_f16_e32 v3, v5, v3
	s_delay_alu instid0(VALU_DEP_1) | instskip(NEXT) | instid1(VALU_DEP_1)
	v_cvt_f32_f16_e32 v3, v3
	v_div_scale_f32 v5, null, v9, v9, v3
	s_delay_alu instid0(VALU_DEP_1) | instskip(SKIP_2) | instid1(VALU_DEP_1)
	v_rcp_f32_e32 v12, v5
	s_waitcnt_depctr 0xfff
	v_fma_f32 v13, -v5, v12, 1.0
	v_fmac_f32_e32 v12, v13, v12
	v_div_scale_f32 v13, vcc_lo, v3, v9, v3
	s_delay_alu instid0(VALU_DEP_1) | instskip(NEXT) | instid1(VALU_DEP_1)
	v_mul_f32_e32 v14, v13, v12
	v_fma_f32 v15, -v5, v14, v13
	s_delay_alu instid0(VALU_DEP_1) | instskip(NEXT) | instid1(VALU_DEP_1)
	v_fmac_f32_e32 v14, v15, v12
	v_fma_f32 v5, -v5, v14, v13
	s_delay_alu instid0(VALU_DEP_1) | instskip(NEXT) | instid1(VALU_DEP_1)
	v_div_fmas_f32 v5, v5, v12, v14
	v_div_fixup_f32 v3, v5, v9, v3
	s_delay_alu instid0(VALU_DEP_1) | instskip(NEXT) | instid1(VALU_DEP_1)
	v_minmax_f32 v3, v3, s7, 0xc3e00000
	v_and_b32_e32 v5, 0x7fffffff, v3
	s_delay_alu instid0(VALU_DEP_1)
	v_cmpx_gt_u32_e32 0x43f00000, v5
	s_cbranch_execz .LBB51_81
; %bb.76:                               ;   in Loop: Header=BB51_57 Depth=1
	s_mov_b32 s13, exec_lo
                                        ; implicit-def: $vgpr4
	v_cmpx_lt_u32_e32 0x3c7fffff, v5
	s_xor_b32 s13, exec_lo, s13
; %bb.77:                               ;   in Loop: Header=BB51_57 Depth=1
	v_bfe_u32 v4, v3, 20, 1
	s_delay_alu instid0(VALU_DEP_1) | instskip(NEXT) | instid1(VALU_DEP_1)
	v_add3_u32 v4, v3, v4, 0x407ffff
	v_lshrrev_b32_e32 v4, 20, v4
; %bb.78:                               ;   in Loop: Header=BB51_57 Depth=1
	s_and_not1_saveexec_b32 s13, s13
; %bb.79:                               ;   in Loop: Header=BB51_57 Depth=1
	v_add_f32_e64 v4, 0x46800000, |v3|
; %bb.80:                               ;   in Loop: Header=BB51_57 Depth=1
	s_or_b32 exec_lo, exec_lo, s13
.LBB51_81:                              ;   in Loop: Header=BB51_57 Depth=1
	s_delay_alu instid0(SALU_CYCLE_1)
	s_or_b32 exec_lo, exec_lo, s12
	v_lshrrev_b32_e32 v5, 24, v11
	v_lshrrev_b32_e32 v2, 24, v2
	;; [unrolled: 1-line block ×3, first 2 shown]
	v_lshlrev_b32_e32 v9, 24, v4
	v_and_b32_e32 v7, 0xff, v7
	v_and_b32_e32 v5, 0x80, v5
	;; [unrolled: 1-line block ×3, first 2 shown]
	s_mov_b32 s13, -1
	s_mov_b32 s12, exec_lo
	s_delay_alu instid0(VALU_DEP_2)
	v_and_or_b32 v5, 0xff, v10, v5
	v_and_b32_e32 v10, 0x80000000, v3
	v_and_or_b32 v2, 0xff, v6, v2
	v_lshlrev_b64 v[3:4], 2, v[0:1]
	v_and_or_b32 v6, 0x80, v8, v7
	v_lshlrev_b32_e32 v5, 16, v5
	s_delay_alu instid0(VALU_DEP_4) | instskip(SKIP_2) | instid1(VALU_DEP_4)
	v_lshlrev_b32_e32 v7, 8, v2
	v_add_nc_u32_e32 v2, s27, v0
	v_add_co_u32 v3, vcc_lo, s2, v3
	v_or3_b32 v5, v10, v9, v5
	v_add_co_ci_u32_e32 v4, vcc_lo, s3, v4, vcc_lo
	s_delay_alu instid0(VALU_DEP_2)
	v_or3_b32 v5, v5, v7, v6
	global_store_b32 v[3:4], v5, off
	v_cmpx_gt_u32_e64 s8, v2
	s_cbranch_execz .LBB51_56
; %bb.82:                               ;   in Loop: Header=BB51_57 Depth=1
	v_lshrrev_b32_e32 v10, 3, v2
	v_mov_b32_e32 v3, v1
	s_mov_b32 s13, exec_lo
	s_delay_alu instid0(VALU_DEP_1) | instskip(NEXT) | instid1(VALU_DEP_1)
	v_lshlrev_b64 v[4:5], 3, v[2:3]
	v_add_co_u32 v6, vcc_lo, s14, v4
	s_delay_alu instid0(VALU_DEP_2)
	v_add_co_ci_u32_e32 v7, vcc_lo, s26, v5, vcc_lo
	v_add_co_u32 v8, vcc_lo, s10, v4
	v_add_co_ci_u32_e32 v9, vcc_lo, s11, v5, vcc_lo
	global_load_b64 v[4:5], v[6:7], off
	global_load_b64 v[6:7], v[8:9], off
	v_and_b32_e32 v8, 0x7fffffc, v10
	global_load_b32 v11, v8, s[0:1]
	s_waitcnt vmcnt(2)
	v_fma_mixlo_f16 v8, v28, v4, 0 op_sel_hi:[0,1,0]
	s_waitcnt vmcnt(1)
	s_delay_alu instid0(VALU_DEP_1) | instskip(NEXT) | instid1(VALU_DEP_1)
	v_mul_f16_e32 v8, v6, v8
	v_cvt_f32_f16_e32 v8, v8
	s_waitcnt vmcnt(0)
	s_delay_alu instid0(VALU_DEP_1) | instskip(SKIP_1) | instid1(VALU_DEP_2)
	v_div_scale_f32 v9, null, v11, v11, v8
	v_div_scale_f32 v13, vcc_lo, v8, v11, v8
	v_rcp_f32_e32 v10, v9
	s_waitcnt_depctr 0xfff
	v_fma_f32 v12, -v9, v10, 1.0
	s_delay_alu instid0(VALU_DEP_1) | instskip(NEXT) | instid1(VALU_DEP_1)
	v_fmac_f32_e32 v10, v12, v10
	v_mul_f32_e32 v12, v13, v10
	s_delay_alu instid0(VALU_DEP_1) | instskip(NEXT) | instid1(VALU_DEP_1)
	v_fma_f32 v14, -v9, v12, v13
	v_fmac_f32_e32 v12, v14, v10
	s_delay_alu instid0(VALU_DEP_1) | instskip(NEXT) | instid1(VALU_DEP_1)
	v_fma_f32 v9, -v9, v12, v13
	v_div_fmas_f32 v9, v9, v10, v12
	s_delay_alu instid0(VALU_DEP_1) | instskip(SKIP_1) | instid1(VALU_DEP_2)
	v_div_fixup_f32 v8, v9, v11, v8
	v_mov_b32_e32 v9, 0x7f
	v_minmax_f32 v10, v8, s7, 0xc3e00000
	v_mov_b32_e32 v8, 0x7f
	s_delay_alu instid0(VALU_DEP_2) | instskip(NEXT) | instid1(VALU_DEP_1)
	v_and_b32_e32 v12, 0x7fffffff, v10
	v_cmpx_gt_u32_e32 0x43f00000, v12
	s_cbranch_execz .LBB51_88
; %bb.83:                               ;   in Loop: Header=BB51_57 Depth=1
	s_mov_b32 s15, exec_lo
                                        ; implicit-def: $vgpr9
	v_cmpx_lt_u32_e32 0x3c7fffff, v12
	s_xor_b32 s15, exec_lo, s15
; %bb.84:                               ;   in Loop: Header=BB51_57 Depth=1
	v_bfe_u32 v9, v10, 20, 1
	s_delay_alu instid0(VALU_DEP_1) | instskip(NEXT) | instid1(VALU_DEP_1)
	v_add3_u32 v9, v10, v9, 0x407ffff
	v_lshrrev_b32_e32 v9, 20, v9
; %bb.85:                               ;   in Loop: Header=BB51_57 Depth=1
	s_and_not1_saveexec_b32 s15, s15
; %bb.86:                               ;   in Loop: Header=BB51_57 Depth=1
	v_add_f32_e64 v9, 0x46800000, |v10|
; %bb.87:                               ;   in Loop: Header=BB51_57 Depth=1
	s_or_b32 exec_lo, exec_lo, s15
.LBB51_88:                              ;   in Loop: Header=BB51_57 Depth=1
	s_delay_alu instid0(SALU_CYCLE_1) | instskip(SKIP_3) | instid1(VALU_DEP_1)
	s_or_b32 exec_lo, exec_lo, s13
	v_lshrrev_b32_e32 v6, 16, v6
	v_fma_mixlo_f16 v4, v28, v4, 0 op_sel:[0,1,0] op_sel_hi:[0,1,0]
	s_mov_b32 s13, exec_lo
	v_mul_f16_e32 v4, v6, v4
	s_delay_alu instid0(VALU_DEP_1) | instskip(NEXT) | instid1(VALU_DEP_1)
	v_cvt_f32_f16_e32 v4, v4
	v_div_scale_f32 v6, null, v11, v11, v4
	s_delay_alu instid0(VALU_DEP_1) | instskip(SKIP_2) | instid1(VALU_DEP_1)
	v_rcp_f32_e32 v12, v6
	s_waitcnt_depctr 0xfff
	v_fma_f32 v13, -v6, v12, 1.0
	v_fmac_f32_e32 v12, v13, v12
	v_div_scale_f32 v13, vcc_lo, v4, v11, v4
	s_delay_alu instid0(VALU_DEP_1) | instskip(NEXT) | instid1(VALU_DEP_1)
	v_mul_f32_e32 v14, v13, v12
	v_fma_f32 v15, -v6, v14, v13
	s_delay_alu instid0(VALU_DEP_1) | instskip(NEXT) | instid1(VALU_DEP_1)
	v_fmac_f32_e32 v14, v15, v12
	v_fma_f32 v6, -v6, v14, v13
	s_delay_alu instid0(VALU_DEP_1) | instskip(NEXT) | instid1(VALU_DEP_1)
	v_div_fmas_f32 v6, v6, v12, v14
	v_div_fixup_f32 v4, v6, v11, v4
	s_delay_alu instid0(VALU_DEP_1) | instskip(NEXT) | instid1(VALU_DEP_1)
	v_minmax_f32 v4, v4, s7, 0xc3e00000
	v_and_b32_e32 v6, 0x7fffffff, v4
	s_delay_alu instid0(VALU_DEP_1)
	v_cmpx_gt_u32_e32 0x43f00000, v6
	s_cbranch_execz .LBB51_94
; %bb.89:                               ;   in Loop: Header=BB51_57 Depth=1
	s_mov_b32 s15, exec_lo
                                        ; implicit-def: $vgpr8
	v_cmpx_lt_u32_e32 0x3c7fffff, v6
	s_xor_b32 s15, exec_lo, s15
; %bb.90:                               ;   in Loop: Header=BB51_57 Depth=1
	v_bfe_u32 v6, v4, 20, 1
	s_delay_alu instid0(VALU_DEP_1) | instskip(NEXT) | instid1(VALU_DEP_1)
	v_add3_u32 v6, v4, v6, 0x407ffff
	v_lshrrev_b32_e32 v8, 20, v6
; %bb.91:                               ;   in Loop: Header=BB51_57 Depth=1
	s_and_not1_saveexec_b32 s15, s15
; %bb.92:                               ;   in Loop: Header=BB51_57 Depth=1
	v_add_f32_e64 v8, 0x46800000, |v4|
; %bb.93:                               ;   in Loop: Header=BB51_57 Depth=1
	s_or_b32 exec_lo, exec_lo, s15
.LBB51_94:                              ;   in Loop: Header=BB51_57 Depth=1
	s_delay_alu instid0(SALU_CYCLE_1) | instskip(SKIP_2) | instid1(VALU_DEP_1)
	s_or_b32 exec_lo, exec_lo, s13
	v_fma_mixlo_f16 v6, v28, v5, 0 op_sel_hi:[0,1,0]
	s_mov_b32 s13, exec_lo
	v_mul_f16_e32 v6, v7, v6
	s_delay_alu instid0(VALU_DEP_1) | instskip(NEXT) | instid1(VALU_DEP_1)
	v_cvt_f32_f16_e32 v6, v6
	v_div_scale_f32 v12, null, v11, v11, v6
	v_div_scale_f32 v15, vcc_lo, v6, v11, v6
	s_delay_alu instid0(VALU_DEP_2) | instskip(SKIP_2) | instid1(VALU_DEP_1)
	v_rcp_f32_e32 v13, v12
	s_waitcnt_depctr 0xfff
	v_fma_f32 v14, -v12, v13, 1.0
	v_fmac_f32_e32 v13, v14, v13
	s_delay_alu instid0(VALU_DEP_1) | instskip(NEXT) | instid1(VALU_DEP_1)
	v_mul_f32_e32 v14, v15, v13
	v_fma_f32 v16, -v12, v14, v15
	s_delay_alu instid0(VALU_DEP_1) | instskip(NEXT) | instid1(VALU_DEP_1)
	v_fmac_f32_e32 v14, v16, v13
	v_fma_f32 v12, -v12, v14, v15
	s_delay_alu instid0(VALU_DEP_1) | instskip(NEXT) | instid1(VALU_DEP_1)
	v_div_fmas_f32 v12, v12, v13, v14
	v_div_fixup_f32 v6, v12, v11, v6
	v_mov_b32_e32 v12, 0x7f
	s_delay_alu instid0(VALU_DEP_2) | instskip(SKIP_1) | instid1(VALU_DEP_2)
	v_minmax_f32 v13, v6, s7, 0xc3e00000
	v_mov_b32_e32 v6, 0x7f
	v_and_b32_e32 v14, 0x7fffffff, v13
	s_delay_alu instid0(VALU_DEP_1)
	v_cmpx_gt_u32_e32 0x43f00000, v14
	s_cbranch_execz .LBB51_100
; %bb.95:                               ;   in Loop: Header=BB51_57 Depth=1
	s_mov_b32 s15, exec_lo
                                        ; implicit-def: $vgpr12
	v_cmpx_lt_u32_e32 0x3c7fffff, v14
	s_xor_b32 s15, exec_lo, s15
; %bb.96:                               ;   in Loop: Header=BB51_57 Depth=1
	v_bfe_u32 v12, v13, 20, 1
	s_delay_alu instid0(VALU_DEP_1) | instskip(NEXT) | instid1(VALU_DEP_1)
	v_add3_u32 v12, v13, v12, 0x407ffff
	v_lshrrev_b32_e32 v12, 20, v12
; %bb.97:                               ;   in Loop: Header=BB51_57 Depth=1
	s_and_not1_saveexec_b32 s15, s15
; %bb.98:                               ;   in Loop: Header=BB51_57 Depth=1
	v_add_f32_e64 v12, 0x46800000, |v13|
; %bb.99:                               ;   in Loop: Header=BB51_57 Depth=1
	s_or_b32 exec_lo, exec_lo, s15
.LBB51_100:                             ;   in Loop: Header=BB51_57 Depth=1
	s_delay_alu instid0(SALU_CYCLE_1) | instskip(SKIP_3) | instid1(VALU_DEP_1)
	s_or_b32 exec_lo, exec_lo, s13
	v_lshrrev_b32_e32 v7, 16, v7
	v_fma_mixlo_f16 v5, v28, v5, 0 op_sel:[0,1,0] op_sel_hi:[0,1,0]
	s_mov_b32 s13, exec_lo
	v_mul_f16_e32 v5, v7, v5
	s_delay_alu instid0(VALU_DEP_1) | instskip(NEXT) | instid1(VALU_DEP_1)
	v_cvt_f32_f16_e32 v5, v5
	v_div_scale_f32 v7, null, v11, v11, v5
	s_delay_alu instid0(VALU_DEP_1) | instskip(SKIP_2) | instid1(VALU_DEP_1)
	v_rcp_f32_e32 v14, v7
	s_waitcnt_depctr 0xfff
	v_fma_f32 v15, -v7, v14, 1.0
	v_fmac_f32_e32 v14, v15, v14
	v_div_scale_f32 v15, vcc_lo, v5, v11, v5
	s_delay_alu instid0(VALU_DEP_1) | instskip(NEXT) | instid1(VALU_DEP_1)
	v_mul_f32_e32 v16, v15, v14
	v_fma_f32 v17, -v7, v16, v15
	s_delay_alu instid0(VALU_DEP_1) | instskip(NEXT) | instid1(VALU_DEP_1)
	v_fmac_f32_e32 v16, v17, v14
	v_fma_f32 v7, -v7, v16, v15
	s_delay_alu instid0(VALU_DEP_1) | instskip(NEXT) | instid1(VALU_DEP_1)
	v_div_fmas_f32 v7, v7, v14, v16
	v_div_fixup_f32 v5, v7, v11, v5
	s_delay_alu instid0(VALU_DEP_1) | instskip(NEXT) | instid1(VALU_DEP_1)
	v_minmax_f32 v5, v5, s7, 0xc3e00000
	v_and_b32_e32 v7, 0x7fffffff, v5
	s_delay_alu instid0(VALU_DEP_1)
	v_cmpx_gt_u32_e32 0x43f00000, v7
	s_cbranch_execz .LBB51_106
; %bb.101:                              ;   in Loop: Header=BB51_57 Depth=1
	s_mov_b32 s15, exec_lo
                                        ; implicit-def: $vgpr6
	v_cmpx_lt_u32_e32 0x3c7fffff, v7
	s_xor_b32 s15, exec_lo, s15
; %bb.102:                              ;   in Loop: Header=BB51_57 Depth=1
	v_bfe_u32 v6, v5, 20, 1
	s_delay_alu instid0(VALU_DEP_1) | instskip(NEXT) | instid1(VALU_DEP_1)
	v_add3_u32 v6, v5, v6, 0x407ffff
	v_lshrrev_b32_e32 v6, 20, v6
; %bb.103:                              ;   in Loop: Header=BB51_57 Depth=1
	s_and_not1_saveexec_b32 s15, s15
; %bb.104:                              ;   in Loop: Header=BB51_57 Depth=1
	v_add_f32_e64 v6, 0x46800000, |v5|
; %bb.105:                              ;   in Loop: Header=BB51_57 Depth=1
	s_or_b32 exec_lo, exec_lo, s15
.LBB51_106:                             ;   in Loop: Header=BB51_57 Depth=1
	s_delay_alu instid0(SALU_CYCLE_1)
	s_or_b32 exec_lo, exec_lo, s13
	v_lshrrev_b32_e32 v7, 24, v13
	v_lshrrev_b32_e32 v4, 24, v4
	;; [unrolled: 1-line block ×3, first 2 shown]
	v_lshlrev_b32_e32 v6, 24, v6
	v_and_b32_e32 v11, 0x80000000, v5
	v_and_b32_e32 v7, 0x80, v7
	;; [unrolled: 1-line block ×4, first 2 shown]
	s_mov_b32 s15, -1
	s_mov_b32 s13, exec_lo
	v_and_or_b32 v7, 0xff, v12, v7
	v_and_or_b32 v8, 0xff, v8, v4
	v_lshlrev_b64 v[4:5], 2, v[2:3]
	v_and_or_b32 v9, 0x80, v10, v9
	v_add_nc_u32_e32 v3, s5, v0
	v_lshlrev_b32_e32 v7, 16, v7
	v_lshlrev_b32_e32 v8, 8, v8
	v_add_co_u32 v4, vcc_lo, s2, v4
	s_delay_alu instid0(VALU_DEP_3) | instskip(SKIP_1) | instid1(VALU_DEP_2)
	v_or3_b32 v6, v11, v6, v7
	v_add_co_ci_u32_e32 v5, vcc_lo, s3, v5, vcc_lo
	v_or3_b32 v6, v6, v8, v9
	global_store_b32 v[4:5], v6, off
	v_cmpx_gt_u32_e64 s8, v3
	s_cbranch_execz .LBB51_55
; %bb.107:                              ;   in Loop: Header=BB51_57 Depth=1
	v_lshrrev_b32_e32 v11, 3, v3
	v_mov_b32_e32 v4, v1
	s_mov_b32 s15, exec_lo
	s_delay_alu instid0(VALU_DEP_1) | instskip(NEXT) | instid1(VALU_DEP_1)
	v_lshlrev_b64 v[5:6], 3, v[3:4]
	v_add_co_u32 v7, vcc_lo, s14, v5
	s_delay_alu instid0(VALU_DEP_2)
	v_add_co_ci_u32_e32 v8, vcc_lo, s26, v6, vcc_lo
	v_add_co_u32 v9, vcc_lo, s10, v5
	v_add_co_ci_u32_e32 v10, vcc_lo, s11, v6, vcc_lo
	global_load_b64 v[5:6], v[7:8], off
	global_load_b64 v[7:8], v[9:10], off
	v_and_b32_e32 v9, 0x7fffffc, v11
	global_load_b32 v12, v9, s[0:1]
	s_waitcnt vmcnt(2)
	v_fma_mixlo_f16 v9, v28, v5, 0 op_sel_hi:[0,1,0]
	s_waitcnt vmcnt(1)
	s_delay_alu instid0(VALU_DEP_1) | instskip(NEXT) | instid1(VALU_DEP_1)
	v_mul_f16_e32 v9, v7, v9
	v_cvt_f32_f16_e32 v9, v9
	s_waitcnt vmcnt(0)
	s_delay_alu instid0(VALU_DEP_1) | instskip(SKIP_1) | instid1(VALU_DEP_2)
	v_div_scale_f32 v10, null, v12, v12, v9
	v_div_scale_f32 v14, vcc_lo, v9, v12, v9
	v_rcp_f32_e32 v11, v10
	s_waitcnt_depctr 0xfff
	v_fma_f32 v13, -v10, v11, 1.0
	s_delay_alu instid0(VALU_DEP_1) | instskip(NEXT) | instid1(VALU_DEP_1)
	v_fmac_f32_e32 v11, v13, v11
	v_mul_f32_e32 v13, v14, v11
	s_delay_alu instid0(VALU_DEP_1) | instskip(NEXT) | instid1(VALU_DEP_1)
	v_fma_f32 v15, -v10, v13, v14
	v_fmac_f32_e32 v13, v15, v11
	s_delay_alu instid0(VALU_DEP_1) | instskip(NEXT) | instid1(VALU_DEP_1)
	v_fma_f32 v10, -v10, v13, v14
	v_div_fmas_f32 v10, v10, v11, v13
	s_delay_alu instid0(VALU_DEP_1) | instskip(SKIP_1) | instid1(VALU_DEP_2)
	v_div_fixup_f32 v9, v10, v12, v9
	v_mov_b32_e32 v10, 0x7f
	v_minmax_f32 v11, v9, s7, 0xc3e00000
	v_mov_b32_e32 v9, 0x7f
	s_delay_alu instid0(VALU_DEP_2) | instskip(NEXT) | instid1(VALU_DEP_1)
	v_and_b32_e32 v13, 0x7fffffff, v11
	v_cmpx_gt_u32_e32 0x43f00000, v13
	s_cbranch_execz .LBB51_113
; %bb.108:                              ;   in Loop: Header=BB51_57 Depth=1
	s_mov_b32 s16, exec_lo
                                        ; implicit-def: $vgpr10
	v_cmpx_lt_u32_e32 0x3c7fffff, v13
	s_xor_b32 s16, exec_lo, s16
; %bb.109:                              ;   in Loop: Header=BB51_57 Depth=1
	v_bfe_u32 v10, v11, 20, 1
	s_delay_alu instid0(VALU_DEP_1) | instskip(NEXT) | instid1(VALU_DEP_1)
	v_add3_u32 v10, v11, v10, 0x407ffff
	v_lshrrev_b32_e32 v10, 20, v10
; %bb.110:                              ;   in Loop: Header=BB51_57 Depth=1
	s_and_not1_saveexec_b32 s16, s16
; %bb.111:                              ;   in Loop: Header=BB51_57 Depth=1
	v_add_f32_e64 v10, 0x46800000, |v11|
; %bb.112:                              ;   in Loop: Header=BB51_57 Depth=1
	s_or_b32 exec_lo, exec_lo, s16
.LBB51_113:                             ;   in Loop: Header=BB51_57 Depth=1
	s_delay_alu instid0(SALU_CYCLE_1) | instskip(SKIP_3) | instid1(VALU_DEP_1)
	s_or_b32 exec_lo, exec_lo, s15
	v_lshrrev_b32_e32 v7, 16, v7
	v_fma_mixlo_f16 v5, v28, v5, 0 op_sel:[0,1,0] op_sel_hi:[0,1,0]
	s_mov_b32 s15, exec_lo
	v_mul_f16_e32 v5, v7, v5
	s_delay_alu instid0(VALU_DEP_1) | instskip(NEXT) | instid1(VALU_DEP_1)
	v_cvt_f32_f16_e32 v5, v5
	v_div_scale_f32 v7, null, v12, v12, v5
	s_delay_alu instid0(VALU_DEP_1) | instskip(SKIP_2) | instid1(VALU_DEP_1)
	v_rcp_f32_e32 v13, v7
	s_waitcnt_depctr 0xfff
	v_fma_f32 v14, -v7, v13, 1.0
	v_fmac_f32_e32 v13, v14, v13
	v_div_scale_f32 v14, vcc_lo, v5, v12, v5
	s_delay_alu instid0(VALU_DEP_1) | instskip(NEXT) | instid1(VALU_DEP_1)
	v_mul_f32_e32 v15, v14, v13
	v_fma_f32 v16, -v7, v15, v14
	s_delay_alu instid0(VALU_DEP_1) | instskip(NEXT) | instid1(VALU_DEP_1)
	v_fmac_f32_e32 v15, v16, v13
	v_fma_f32 v7, -v7, v15, v14
	s_delay_alu instid0(VALU_DEP_1) | instskip(NEXT) | instid1(VALU_DEP_1)
	v_div_fmas_f32 v7, v7, v13, v15
	v_div_fixup_f32 v5, v7, v12, v5
	s_delay_alu instid0(VALU_DEP_1) | instskip(NEXT) | instid1(VALU_DEP_1)
	v_minmax_f32 v5, v5, s7, 0xc3e00000
	v_and_b32_e32 v7, 0x7fffffff, v5
	s_delay_alu instid0(VALU_DEP_1)
	v_cmpx_gt_u32_e32 0x43f00000, v7
	s_cbranch_execz .LBB51_119
; %bb.114:                              ;   in Loop: Header=BB51_57 Depth=1
	s_mov_b32 s16, exec_lo
                                        ; implicit-def: $vgpr9
	v_cmpx_lt_u32_e32 0x3c7fffff, v7
	s_xor_b32 s16, exec_lo, s16
; %bb.115:                              ;   in Loop: Header=BB51_57 Depth=1
	v_bfe_u32 v7, v5, 20, 1
	s_delay_alu instid0(VALU_DEP_1) | instskip(NEXT) | instid1(VALU_DEP_1)
	v_add3_u32 v7, v5, v7, 0x407ffff
	v_lshrrev_b32_e32 v9, 20, v7
; %bb.116:                              ;   in Loop: Header=BB51_57 Depth=1
	s_and_not1_saveexec_b32 s16, s16
; %bb.117:                              ;   in Loop: Header=BB51_57 Depth=1
	v_add_f32_e64 v9, 0x46800000, |v5|
; %bb.118:                              ;   in Loop: Header=BB51_57 Depth=1
	s_or_b32 exec_lo, exec_lo, s16
.LBB51_119:                             ;   in Loop: Header=BB51_57 Depth=1
	s_delay_alu instid0(SALU_CYCLE_1) | instskip(SKIP_2) | instid1(VALU_DEP_1)
	s_or_b32 exec_lo, exec_lo, s15
	v_fma_mixlo_f16 v7, v28, v6, 0 op_sel_hi:[0,1,0]
	s_mov_b32 s15, exec_lo
	v_mul_f16_e32 v7, v8, v7
	s_delay_alu instid0(VALU_DEP_1) | instskip(NEXT) | instid1(VALU_DEP_1)
	v_cvt_f32_f16_e32 v7, v7
	v_div_scale_f32 v13, null, v12, v12, v7
	v_div_scale_f32 v16, vcc_lo, v7, v12, v7
	s_delay_alu instid0(VALU_DEP_2) | instskip(SKIP_2) | instid1(VALU_DEP_1)
	v_rcp_f32_e32 v14, v13
	s_waitcnt_depctr 0xfff
	v_fma_f32 v15, -v13, v14, 1.0
	v_fmac_f32_e32 v14, v15, v14
	s_delay_alu instid0(VALU_DEP_1) | instskip(NEXT) | instid1(VALU_DEP_1)
	v_mul_f32_e32 v15, v16, v14
	v_fma_f32 v17, -v13, v15, v16
	s_delay_alu instid0(VALU_DEP_1) | instskip(NEXT) | instid1(VALU_DEP_1)
	v_fmac_f32_e32 v15, v17, v14
	v_fma_f32 v13, -v13, v15, v16
	s_delay_alu instid0(VALU_DEP_1) | instskip(NEXT) | instid1(VALU_DEP_1)
	v_div_fmas_f32 v13, v13, v14, v15
	v_div_fixup_f32 v7, v13, v12, v7
	v_mov_b32_e32 v13, 0x7f
	s_delay_alu instid0(VALU_DEP_2) | instskip(SKIP_1) | instid1(VALU_DEP_2)
	v_minmax_f32 v14, v7, s7, 0xc3e00000
	v_mov_b32_e32 v7, 0x7f
	v_and_b32_e32 v15, 0x7fffffff, v14
	s_delay_alu instid0(VALU_DEP_1)
	v_cmpx_gt_u32_e32 0x43f00000, v15
	s_cbranch_execz .LBB51_125
; %bb.120:                              ;   in Loop: Header=BB51_57 Depth=1
	s_mov_b32 s16, exec_lo
                                        ; implicit-def: $vgpr13
	v_cmpx_lt_u32_e32 0x3c7fffff, v15
	s_xor_b32 s16, exec_lo, s16
; %bb.121:                              ;   in Loop: Header=BB51_57 Depth=1
	v_bfe_u32 v13, v14, 20, 1
	s_delay_alu instid0(VALU_DEP_1) | instskip(NEXT) | instid1(VALU_DEP_1)
	v_add3_u32 v13, v14, v13, 0x407ffff
	v_lshrrev_b32_e32 v13, 20, v13
; %bb.122:                              ;   in Loop: Header=BB51_57 Depth=1
	s_and_not1_saveexec_b32 s16, s16
; %bb.123:                              ;   in Loop: Header=BB51_57 Depth=1
	v_add_f32_e64 v13, 0x46800000, |v14|
; %bb.124:                              ;   in Loop: Header=BB51_57 Depth=1
	s_or_b32 exec_lo, exec_lo, s16
.LBB51_125:                             ;   in Loop: Header=BB51_57 Depth=1
	s_delay_alu instid0(SALU_CYCLE_1) | instskip(SKIP_3) | instid1(VALU_DEP_1)
	s_or_b32 exec_lo, exec_lo, s15
	v_lshrrev_b32_e32 v8, 16, v8
	v_fma_mixlo_f16 v6, v28, v6, 0 op_sel:[0,1,0] op_sel_hi:[0,1,0]
	s_mov_b32 s15, exec_lo
	v_mul_f16_e32 v6, v8, v6
	s_delay_alu instid0(VALU_DEP_1) | instskip(NEXT) | instid1(VALU_DEP_1)
	v_cvt_f32_f16_e32 v6, v6
	v_div_scale_f32 v8, null, v12, v12, v6
	s_delay_alu instid0(VALU_DEP_1) | instskip(SKIP_2) | instid1(VALU_DEP_1)
	v_rcp_f32_e32 v15, v8
	s_waitcnt_depctr 0xfff
	v_fma_f32 v16, -v8, v15, 1.0
	v_fmac_f32_e32 v15, v16, v15
	v_div_scale_f32 v16, vcc_lo, v6, v12, v6
	s_delay_alu instid0(VALU_DEP_1) | instskip(NEXT) | instid1(VALU_DEP_1)
	v_mul_f32_e32 v17, v16, v15
	v_fma_f32 v18, -v8, v17, v16
	s_delay_alu instid0(VALU_DEP_1) | instskip(NEXT) | instid1(VALU_DEP_1)
	v_fmac_f32_e32 v17, v18, v15
	v_fma_f32 v8, -v8, v17, v16
	s_delay_alu instid0(VALU_DEP_1) | instskip(NEXT) | instid1(VALU_DEP_1)
	v_div_fmas_f32 v8, v8, v15, v17
	v_div_fixup_f32 v6, v8, v12, v6
	s_delay_alu instid0(VALU_DEP_1) | instskip(NEXT) | instid1(VALU_DEP_1)
	v_minmax_f32 v6, v6, s7, 0xc3e00000
	v_and_b32_e32 v8, 0x7fffffff, v6
	s_delay_alu instid0(VALU_DEP_1)
	v_cmpx_gt_u32_e32 0x43f00000, v8
	s_cbranch_execz .LBB51_131
; %bb.126:                              ;   in Loop: Header=BB51_57 Depth=1
	s_mov_b32 s16, exec_lo
                                        ; implicit-def: $vgpr7
	v_cmpx_lt_u32_e32 0x3c7fffff, v8
	s_xor_b32 s16, exec_lo, s16
; %bb.127:                              ;   in Loop: Header=BB51_57 Depth=1
	v_bfe_u32 v7, v6, 20, 1
	s_delay_alu instid0(VALU_DEP_1) | instskip(NEXT) | instid1(VALU_DEP_1)
	v_add3_u32 v7, v6, v7, 0x407ffff
	v_lshrrev_b32_e32 v7, 20, v7
; %bb.128:                              ;   in Loop: Header=BB51_57 Depth=1
	s_and_not1_saveexec_b32 s16, s16
; %bb.129:                              ;   in Loop: Header=BB51_57 Depth=1
	v_add_f32_e64 v7, 0x46800000, |v6|
; %bb.130:                              ;   in Loop: Header=BB51_57 Depth=1
	s_or_b32 exec_lo, exec_lo, s16
.LBB51_131:                             ;   in Loop: Header=BB51_57 Depth=1
	s_delay_alu instid0(SALU_CYCLE_1)
	s_or_b32 exec_lo, exec_lo, s15
	v_lshrrev_b32_e32 v8, 24, v14
	v_lshrrev_b32_e32 v5, 24, v5
	;; [unrolled: 1-line block ×3, first 2 shown]
	v_lshlrev_b32_e32 v7, 24, v7
	v_and_b32_e32 v6, 0x80000000, v6
	v_and_b32_e32 v8, 0x80, v8
	;; [unrolled: 1-line block ×4, first 2 shown]
	v_lshlrev_b64 v[3:4], 2, v[3:4]
	v_add_nc_u32_e32 v0, s4, v0
	v_and_or_b32 v8, 0xff, v13, v8
	v_and_or_b32 v5, 0xff, v9, v5
	;; [unrolled: 1-line block ×3, first 2 shown]
	s_mov_b32 s16, -1
	v_add_co_u32 v3, vcc_lo, s2, v3
	v_lshlrev_b32_e32 v8, 16, v8
	v_lshlrev_b32_e32 v5, 8, v5
	v_add_co_ci_u32_e32 v4, vcc_lo, s3, v4, vcc_lo
	s_mov_b32 s15, exec_lo
	s_delay_alu instid0(VALU_DEP_3) | instskip(NEXT) | instid1(VALU_DEP_1)
	v_or3_b32 v6, v6, v7, v8
	v_or3_b32 v5, v6, v5, v9
	global_store_b32 v[3:4], v5, off
	v_cmpx_gt_u32_e64 s8, v0
	s_cbranch_execz .LBB51_54
; %bb.132:                              ;   in Loop: Header=BB51_57 Depth=1
	v_lshlrev_b64 v[3:4], 3, v[0:1]
	v_lshrrev_b32_e32 v9, 3, v0
	s_mov_b32 s16, exec_lo
	s_delay_alu instid0(VALU_DEP_2) | instskip(NEXT) | instid1(VALU_DEP_3)
	v_add_co_u32 v5, vcc_lo, s14, v3
	v_add_co_ci_u32_e32 v6, vcc_lo, s26, v4, vcc_lo
	v_add_co_u32 v7, vcc_lo, s10, v3
	v_add_co_ci_u32_e32 v8, vcc_lo, s11, v4, vcc_lo
	global_load_b64 v[3:4], v[5:6], off
	global_load_b64 v[5:6], v[7:8], off
	v_and_b32_e32 v7, 0x7fffffc, v9
	global_load_b32 v10, v7, s[0:1]
	s_waitcnt vmcnt(2)
	v_fma_mixlo_f16 v7, v28, v3, 0 op_sel_hi:[0,1,0]
	s_waitcnt vmcnt(1)
	s_delay_alu instid0(VALU_DEP_1) | instskip(NEXT) | instid1(VALU_DEP_1)
	v_mul_f16_e32 v7, v5, v7
	v_cvt_f32_f16_e32 v7, v7
	s_waitcnt vmcnt(0)
	s_delay_alu instid0(VALU_DEP_1) | instskip(SKIP_1) | instid1(VALU_DEP_2)
	v_div_scale_f32 v8, null, v10, v10, v7
	v_div_scale_f32 v12, vcc_lo, v7, v10, v7
	v_rcp_f32_e32 v9, v8
	s_waitcnt_depctr 0xfff
	v_fma_f32 v11, -v8, v9, 1.0
	s_delay_alu instid0(VALU_DEP_1) | instskip(NEXT) | instid1(VALU_DEP_1)
	v_fmac_f32_e32 v9, v11, v9
	v_mul_f32_e32 v11, v12, v9
	s_delay_alu instid0(VALU_DEP_1) | instskip(NEXT) | instid1(VALU_DEP_1)
	v_fma_f32 v13, -v8, v11, v12
	v_fmac_f32_e32 v11, v13, v9
	s_delay_alu instid0(VALU_DEP_1) | instskip(NEXT) | instid1(VALU_DEP_1)
	v_fma_f32 v8, -v8, v11, v12
	v_div_fmas_f32 v8, v8, v9, v11
	s_delay_alu instid0(VALU_DEP_1) | instskip(SKIP_1) | instid1(VALU_DEP_2)
	v_div_fixup_f32 v7, v8, v10, v7
	v_mov_b32_e32 v8, 0x7f
	v_minmax_f32 v9, v7, s7, 0xc3e00000
	v_mov_b32_e32 v7, 0x7f
	s_delay_alu instid0(VALU_DEP_2) | instskip(NEXT) | instid1(VALU_DEP_1)
	v_and_b32_e32 v11, 0x7fffffff, v9
	v_cmpx_gt_u32_e32 0x43f00000, v11
	s_cbranch_execz .LBB51_138
; %bb.133:                              ;   in Loop: Header=BB51_57 Depth=1
	s_mov_b32 s17, exec_lo
                                        ; implicit-def: $vgpr8
	v_cmpx_lt_u32_e32 0x3c7fffff, v11
	s_xor_b32 s17, exec_lo, s17
; %bb.134:                              ;   in Loop: Header=BB51_57 Depth=1
	v_bfe_u32 v8, v9, 20, 1
	s_delay_alu instid0(VALU_DEP_1) | instskip(NEXT) | instid1(VALU_DEP_1)
	v_add3_u32 v8, v9, v8, 0x407ffff
	v_lshrrev_b32_e32 v8, 20, v8
; %bb.135:                              ;   in Loop: Header=BB51_57 Depth=1
	s_and_not1_saveexec_b32 s17, s17
; %bb.136:                              ;   in Loop: Header=BB51_57 Depth=1
	v_add_f32_e64 v8, 0x46800000, |v9|
; %bb.137:                              ;   in Loop: Header=BB51_57 Depth=1
	s_or_b32 exec_lo, exec_lo, s17
.LBB51_138:                             ;   in Loop: Header=BB51_57 Depth=1
	s_delay_alu instid0(SALU_CYCLE_1) | instskip(SKIP_3) | instid1(VALU_DEP_1)
	s_or_b32 exec_lo, exec_lo, s16
	v_lshrrev_b32_e32 v5, 16, v5
	v_fma_mixlo_f16 v3, v28, v3, 0 op_sel:[0,1,0] op_sel_hi:[0,1,0]
	s_mov_b32 s16, exec_lo
	v_mul_f16_e32 v3, v5, v3
	s_delay_alu instid0(VALU_DEP_1) | instskip(NEXT) | instid1(VALU_DEP_1)
	v_cvt_f32_f16_e32 v3, v3
	v_div_scale_f32 v5, null, v10, v10, v3
	s_delay_alu instid0(VALU_DEP_1) | instskip(SKIP_2) | instid1(VALU_DEP_1)
	v_rcp_f32_e32 v11, v5
	s_waitcnt_depctr 0xfff
	v_fma_f32 v12, -v5, v11, 1.0
	v_fmac_f32_e32 v11, v12, v11
	v_div_scale_f32 v12, vcc_lo, v3, v10, v3
	s_delay_alu instid0(VALU_DEP_1) | instskip(NEXT) | instid1(VALU_DEP_1)
	v_mul_f32_e32 v13, v12, v11
	v_fma_f32 v14, -v5, v13, v12
	s_delay_alu instid0(VALU_DEP_1) | instskip(NEXT) | instid1(VALU_DEP_1)
	v_fmac_f32_e32 v13, v14, v11
	v_fma_f32 v5, -v5, v13, v12
	s_delay_alu instid0(VALU_DEP_1) | instskip(NEXT) | instid1(VALU_DEP_1)
	v_div_fmas_f32 v5, v5, v11, v13
	v_div_fixup_f32 v3, v5, v10, v3
	s_delay_alu instid0(VALU_DEP_1) | instskip(NEXT) | instid1(VALU_DEP_1)
	v_minmax_f32 v3, v3, s7, 0xc3e00000
	v_and_b32_e32 v5, 0x7fffffff, v3
	s_delay_alu instid0(VALU_DEP_1)
	v_cmpx_gt_u32_e32 0x43f00000, v5
	s_cbranch_execz .LBB51_144
; %bb.139:                              ;   in Loop: Header=BB51_57 Depth=1
	s_mov_b32 s17, exec_lo
                                        ; implicit-def: $vgpr7
	v_cmpx_lt_u32_e32 0x3c7fffff, v5
	s_xor_b32 s17, exec_lo, s17
; %bb.140:                              ;   in Loop: Header=BB51_57 Depth=1
	v_bfe_u32 v5, v3, 20, 1
	s_delay_alu instid0(VALU_DEP_1) | instskip(NEXT) | instid1(VALU_DEP_1)
	v_add3_u32 v5, v3, v5, 0x407ffff
	v_lshrrev_b32_e32 v7, 20, v5
; %bb.141:                              ;   in Loop: Header=BB51_57 Depth=1
	s_and_not1_saveexec_b32 s17, s17
; %bb.142:                              ;   in Loop: Header=BB51_57 Depth=1
	v_add_f32_e64 v7, 0x46800000, |v3|
; %bb.143:                              ;   in Loop: Header=BB51_57 Depth=1
	s_or_b32 exec_lo, exec_lo, s17
.LBB51_144:                             ;   in Loop: Header=BB51_57 Depth=1
	s_delay_alu instid0(SALU_CYCLE_1) | instskip(SKIP_2) | instid1(VALU_DEP_1)
	s_or_b32 exec_lo, exec_lo, s16
	v_fma_mixlo_f16 v5, v28, v4, 0 op_sel_hi:[0,1,0]
	s_mov_b32 s16, exec_lo
	v_mul_f16_e32 v5, v6, v5
	s_delay_alu instid0(VALU_DEP_1) | instskip(NEXT) | instid1(VALU_DEP_1)
	v_cvt_f32_f16_e32 v5, v5
	v_div_scale_f32 v11, null, v10, v10, v5
	v_div_scale_f32 v14, vcc_lo, v5, v10, v5
	s_delay_alu instid0(VALU_DEP_2) | instskip(SKIP_2) | instid1(VALU_DEP_1)
	v_rcp_f32_e32 v12, v11
	s_waitcnt_depctr 0xfff
	v_fma_f32 v13, -v11, v12, 1.0
	v_fmac_f32_e32 v12, v13, v12
	s_delay_alu instid0(VALU_DEP_1) | instskip(NEXT) | instid1(VALU_DEP_1)
	v_mul_f32_e32 v13, v14, v12
	v_fma_f32 v15, -v11, v13, v14
	s_delay_alu instid0(VALU_DEP_1) | instskip(NEXT) | instid1(VALU_DEP_1)
	v_fmac_f32_e32 v13, v15, v12
	v_fma_f32 v11, -v11, v13, v14
	s_delay_alu instid0(VALU_DEP_1) | instskip(NEXT) | instid1(VALU_DEP_1)
	v_div_fmas_f32 v11, v11, v12, v13
	v_div_fixup_f32 v5, v11, v10, v5
	v_mov_b32_e32 v11, 0x7f
	s_delay_alu instid0(VALU_DEP_2) | instskip(SKIP_1) | instid1(VALU_DEP_2)
	v_minmax_f32 v12, v5, s7, 0xc3e00000
	v_mov_b32_e32 v5, 0x7f
	v_and_b32_e32 v13, 0x7fffffff, v12
	s_delay_alu instid0(VALU_DEP_1)
	v_cmpx_gt_u32_e32 0x43f00000, v13
	s_cbranch_execz .LBB51_150
; %bb.145:                              ;   in Loop: Header=BB51_57 Depth=1
	s_mov_b32 s17, exec_lo
                                        ; implicit-def: $vgpr11
	v_cmpx_lt_u32_e32 0x3c7fffff, v13
	s_xor_b32 s17, exec_lo, s17
; %bb.146:                              ;   in Loop: Header=BB51_57 Depth=1
	v_bfe_u32 v11, v12, 20, 1
	s_delay_alu instid0(VALU_DEP_1) | instskip(NEXT) | instid1(VALU_DEP_1)
	v_add3_u32 v11, v12, v11, 0x407ffff
	v_lshrrev_b32_e32 v11, 20, v11
; %bb.147:                              ;   in Loop: Header=BB51_57 Depth=1
	s_and_not1_saveexec_b32 s17, s17
; %bb.148:                              ;   in Loop: Header=BB51_57 Depth=1
	v_add_f32_e64 v11, 0x46800000, |v12|
; %bb.149:                              ;   in Loop: Header=BB51_57 Depth=1
	s_or_b32 exec_lo, exec_lo, s17
.LBB51_150:                             ;   in Loop: Header=BB51_57 Depth=1
	s_delay_alu instid0(SALU_CYCLE_1) | instskip(SKIP_3) | instid1(VALU_DEP_1)
	s_or_b32 exec_lo, exec_lo, s16
	v_lshrrev_b32_e32 v6, 16, v6
	v_fma_mixlo_f16 v4, v28, v4, 0 op_sel:[0,1,0] op_sel_hi:[0,1,0]
	s_mov_b32 s16, exec_lo
	v_mul_f16_e32 v4, v6, v4
	s_delay_alu instid0(VALU_DEP_1) | instskip(NEXT) | instid1(VALU_DEP_1)
	v_cvt_f32_f16_e32 v4, v4
	v_div_scale_f32 v6, null, v10, v10, v4
	s_delay_alu instid0(VALU_DEP_1) | instskip(SKIP_2) | instid1(VALU_DEP_1)
	v_rcp_f32_e32 v13, v6
	s_waitcnt_depctr 0xfff
	v_fma_f32 v14, -v6, v13, 1.0
	v_fmac_f32_e32 v13, v14, v13
	v_div_scale_f32 v14, vcc_lo, v4, v10, v4
	s_delay_alu instid0(VALU_DEP_1) | instskip(NEXT) | instid1(VALU_DEP_1)
	v_mul_f32_e32 v15, v14, v13
	v_fma_f32 v16, -v6, v15, v14
	s_delay_alu instid0(VALU_DEP_1) | instskip(NEXT) | instid1(VALU_DEP_1)
	v_fmac_f32_e32 v15, v16, v13
	v_fma_f32 v6, -v6, v15, v14
	s_delay_alu instid0(VALU_DEP_1) | instskip(NEXT) | instid1(VALU_DEP_1)
	v_div_fmas_f32 v6, v6, v13, v15
	v_div_fixup_f32 v4, v6, v10, v4
	s_delay_alu instid0(VALU_DEP_1) | instskip(NEXT) | instid1(VALU_DEP_1)
	v_minmax_f32 v4, v4, s7, 0xc3e00000
	v_and_b32_e32 v6, 0x7fffffff, v4
	s_delay_alu instid0(VALU_DEP_1)
	v_cmpx_gt_u32_e32 0x43f00000, v6
	s_cbranch_execz .LBB51_53
; %bb.151:                              ;   in Loop: Header=BB51_57 Depth=1
	s_mov_b32 s17, exec_lo
                                        ; implicit-def: $vgpr5
	v_cmpx_lt_u32_e32 0x3c7fffff, v6
	s_xor_b32 s17, exec_lo, s17
; %bb.152:                              ;   in Loop: Header=BB51_57 Depth=1
	v_bfe_u32 v5, v4, 20, 1
	s_delay_alu instid0(VALU_DEP_1) | instskip(NEXT) | instid1(VALU_DEP_1)
	v_add3_u32 v5, v4, v5, 0x407ffff
	v_lshrrev_b32_e32 v5, 20, v5
; %bb.153:                              ;   in Loop: Header=BB51_57 Depth=1
	s_and_not1_saveexec_b32 s17, s17
	s_cbranch_execz .LBB51_52
; %bb.154:                              ;   in Loop: Header=BB51_57 Depth=1
	v_add_f32_e64 v5, 0x46800000, |v4|
	s_branch .LBB51_52
.LBB51_155:
	s_nop 0
	s_sendmsg sendmsg(MSG_DEALLOC_VGPRS)
	s_endpgm
	.section	.rodata,"a",@progbits
	.p2align	6, 0x0
	.amdhsa_kernel _ZN4vllm31rms_norm_per_block_quant_kernelIN3c104HalfENS1_13Float8_e4m3fnELb0ELb0ELi128EEEvPT0_PfPKT_S9_PKffiiPS7_l
		.amdhsa_group_segment_fixed_size 4228
		.amdhsa_private_segment_fixed_size 0
		.amdhsa_kernarg_size 328
		.amdhsa_user_sgpr_count 15
		.amdhsa_user_sgpr_dispatch_ptr 0
		.amdhsa_user_sgpr_queue_ptr 0
		.amdhsa_user_sgpr_kernarg_segment_ptr 1
		.amdhsa_user_sgpr_dispatch_id 0
		.amdhsa_user_sgpr_private_segment_size 0
		.amdhsa_wavefront_size32 1
		.amdhsa_uses_dynamic_stack 0
		.amdhsa_enable_private_segment 0
		.amdhsa_system_sgpr_workgroup_id_x 1
		.amdhsa_system_sgpr_workgroup_id_y 0
		.amdhsa_system_sgpr_workgroup_id_z 0
		.amdhsa_system_sgpr_workgroup_info 0
		.amdhsa_system_vgpr_workitem_id 0
		.amdhsa_next_free_vgpr 35
		.amdhsa_next_free_sgpr 36
		.amdhsa_reserve_vcc 1
		.amdhsa_float_round_mode_32 0
		.amdhsa_float_round_mode_16_64 0
		.amdhsa_float_denorm_mode_32 3
		.amdhsa_float_denorm_mode_16_64 3
		.amdhsa_dx10_clamp 1
		.amdhsa_ieee_mode 1
		.amdhsa_fp16_overflow 0
		.amdhsa_workgroup_processor_mode 1
		.amdhsa_memory_ordered 1
		.amdhsa_forward_progress 0
		.amdhsa_shared_vgpr_count 0
		.amdhsa_exception_fp_ieee_invalid_op 0
		.amdhsa_exception_fp_denorm_src 0
		.amdhsa_exception_fp_ieee_div_zero 0
		.amdhsa_exception_fp_ieee_overflow 0
		.amdhsa_exception_fp_ieee_underflow 0
		.amdhsa_exception_fp_ieee_inexact 0
		.amdhsa_exception_int_div_zero 0
	.end_amdhsa_kernel
	.section	.text._ZN4vllm31rms_norm_per_block_quant_kernelIN3c104HalfENS1_13Float8_e4m3fnELb0ELb0ELi128EEEvPT0_PfPKT_S9_PKffiiPS7_l,"axG",@progbits,_ZN4vllm31rms_norm_per_block_quant_kernelIN3c104HalfENS1_13Float8_e4m3fnELb0ELb0ELi128EEEvPT0_PfPKT_S9_PKffiiPS7_l,comdat
.Lfunc_end51:
	.size	_ZN4vllm31rms_norm_per_block_quant_kernelIN3c104HalfENS1_13Float8_e4m3fnELb0ELb0ELi128EEEvPT0_PfPKT_S9_PKffiiPS7_l, .Lfunc_end51-_ZN4vllm31rms_norm_per_block_quant_kernelIN3c104HalfENS1_13Float8_e4m3fnELb0ELb0ELi128EEEvPT0_PfPKT_S9_PKffiiPS7_l
                                        ; -- End function
	.section	.AMDGPU.csdata,"",@progbits
; Kernel info:
; codeLenInByte = 9204
; NumSgprs: 38
; NumVgprs: 35
; ScratchSize: 0
; MemoryBound: 0
; FloatMode: 240
; IeeeMode: 1
; LDSByteSize: 4228 bytes/workgroup (compile time only)
; SGPRBlocks: 4
; VGPRBlocks: 4
; NumSGPRsForWavesPerEU: 38
; NumVGPRsForWavesPerEU: 35
; Occupancy: 16
; WaveLimiterHint : 0
; COMPUTE_PGM_RSRC2:SCRATCH_EN: 0
; COMPUTE_PGM_RSRC2:USER_SGPR: 15
; COMPUTE_PGM_RSRC2:TRAP_HANDLER: 0
; COMPUTE_PGM_RSRC2:TGID_X_EN: 1
; COMPUTE_PGM_RSRC2:TGID_Y_EN: 0
; COMPUTE_PGM_RSRC2:TGID_Z_EN: 0
; COMPUTE_PGM_RSRC2:TIDIG_COMP_CNT: 0
	.section	.text._ZN4vllm31rms_norm_per_block_quant_kernelIN3c104HalfENS1_15Float8_e4m3fnuzELb0ELb0ELi128EEEvPT0_PfPKT_S9_PKffiiPS7_l,"axG",@progbits,_ZN4vllm31rms_norm_per_block_quant_kernelIN3c104HalfENS1_15Float8_e4m3fnuzELb0ELb0ELi128EEEvPT0_PfPKT_S9_PKffiiPS7_l,comdat
	.protected	_ZN4vllm31rms_norm_per_block_quant_kernelIN3c104HalfENS1_15Float8_e4m3fnuzELb0ELb0ELi128EEEvPT0_PfPKT_S9_PKffiiPS7_l ; -- Begin function _ZN4vllm31rms_norm_per_block_quant_kernelIN3c104HalfENS1_15Float8_e4m3fnuzELb0ELb0ELi128EEEvPT0_PfPKT_S9_PKffiiPS7_l
	.globl	_ZN4vllm31rms_norm_per_block_quant_kernelIN3c104HalfENS1_15Float8_e4m3fnuzELb0ELb0ELi128EEEvPT0_PfPKT_S9_PKffiiPS7_l
	.p2align	8
	.type	_ZN4vllm31rms_norm_per_block_quant_kernelIN3c104HalfENS1_15Float8_e4m3fnuzELb0ELb0ELi128EEEvPT0_PfPKT_S9_PKffiiPS7_l,@function
_ZN4vllm31rms_norm_per_block_quant_kernelIN3c104HalfENS1_15Float8_e4m3fnuzELb0ELb0ELi128EEEvPT0_PfPKT_S9_PKffiiPS7_l: ; @_ZN4vllm31rms_norm_per_block_quant_kernelIN3c104HalfENS1_15Float8_e4m3fnuzELb0ELb0ELi128EEEvPT0_PfPKT_S9_PKffiiPS7_l
; %bb.0:
	s_clause 0x1
	s_load_b128 s[16:19], s[0:1], 0x28
	s_load_b256 s[4:11], s[0:1], 0x0
	v_mov_b32_e32 v6, 0
	s_waitcnt lgkmcnt(0)
	s_ashr_i32 s2, s18, 31
	s_mul_hi_u32 s3, s18, s15
	s_mul_i32 s12, s2, s15
	s_mul_i32 s2, s18, s15
	s_add_i32 s3, s3, s12
	s_mov_b32 s12, s17
	s_lshl_b64 s[2:3], s[2:3], 1
	s_delay_alu instid0(SALU_CYCLE_1)
	s_add_u32 s14, s8, s2
	s_addc_u32 s26, s9, s3
	s_ashr_i32 s8, s17, 2
	s_add_u32 s18, s0, 0x48
	v_cmp_gt_u32_e64 s2, s8, v0
	s_mov_b32 s9, 0
	s_addc_u32 s19, s1, 0
	s_delay_alu instid0(VALU_DEP_1)
	s_and_saveexec_b32 s3, s2
	s_cbranch_execz .LBB52_10
; %bb.1:
	s_load_b32 s13, s[18:19], 0x0
	v_dual_mov_b32 v2, 0 :: v_dual_mov_b32 v1, v0
	s_waitcnt lgkmcnt(0)
	s_cmp_lt_u32 s15, s13
	s_cselect_b32 s13, 12, 18
	s_delay_alu instid0(SALU_CYCLE_1)
	s_add_u32 s20, s18, s13
	s_addc_u32 s21, s19, 0
                                        ; implicit-def: $sgpr13
	global_load_u16 v7, v2, s[20:21]
	s_waitcnt vmcnt(0)
	v_lshlrev_b32_e32 v9, 1, v7
	v_mul_lo_u32 v8, v7, 3
	v_add_nc_u32_e32 v10, v7, v7
	v_mov_b32_e32 v6, v2
	s_branch .LBB52_5
.LBB52_2:                               ;   in Loop: Header=BB52_5 Depth=1
	s_or_b32 exec_lo, exec_lo, s22
	s_delay_alu instid0(SALU_CYCLE_1)
	s_or_not1_b32 s22, s23, exec_lo
.LBB52_3:                               ;   in Loop: Header=BB52_5 Depth=1
	s_or_b32 exec_lo, exec_lo, s21
	s_delay_alu instid0(SALU_CYCLE_1) | instskip(SKIP_1) | instid1(SALU_CYCLE_1)
	s_and_not1_b32 s13, s13, exec_lo
	s_and_b32 s21, s22, exec_lo
	s_or_b32 s13, s13, s21
.LBB52_4:                               ;   in Loop: Header=BB52_5 Depth=1
	s_or_b32 exec_lo, exec_lo, s20
	s_delay_alu instid0(SALU_CYCLE_1) | instskip(NEXT) | instid1(SALU_CYCLE_1)
	s_and_b32 s20, exec_lo, s13
	s_or_b32 s9, s20, s9
	s_delay_alu instid0(SALU_CYCLE_1)
	s_and_not1_b32 exec_lo, exec_lo, s9
	s_cbranch_execz .LBB52_9
.LBB52_5:                               ; =>This Inner Loop Header: Depth=1
	v_lshlrev_b64 v[3:4], 3, v[1:2]
	s_or_b32 s13, s13, exec_lo
	s_mov_b32 s20, exec_lo
	s_delay_alu instid0(VALU_DEP_1) | instskip(NEXT) | instid1(VALU_DEP_2)
	v_add_co_u32 v3, vcc_lo, s14, v3
	v_add_co_ci_u32_e32 v4, vcc_lo, s26, v4, vcc_lo
	global_load_b64 v[3:4], v[3:4], off
	s_waitcnt vmcnt(0)
	v_fma_mix_f32 v5, v3, v3, v6 op_sel_hi:[1,1,0]
	s_delay_alu instid0(VALU_DEP_1) | instskip(NEXT) | instid1(VALU_DEP_1)
	v_fma_mix_f32 v3, v3, v3, v5 op_sel:[1,1,0] op_sel_hi:[1,1,0]
	v_fma_mix_f32 v5, v4, v4, v3 op_sel_hi:[1,1,0]
	v_add_nc_u32_e32 v3, v1, v7
	s_delay_alu instid0(VALU_DEP_2) | instskip(NEXT) | instid1(VALU_DEP_2)
	v_fma_mix_f32 v6, v4, v4, v5 op_sel:[1,1,0] op_sel_hi:[1,1,0]
	v_cmpx_gt_u32_e64 s8, v3
	s_cbranch_execz .LBB52_4
; %bb.6:                                ;   in Loop: Header=BB52_5 Depth=1
	v_mov_b32_e32 v4, v2
	s_mov_b32 s22, -1
	s_mov_b32 s21, exec_lo
	s_delay_alu instid0(VALU_DEP_1) | instskip(NEXT) | instid1(VALU_DEP_1)
	v_lshlrev_b64 v[4:5], 3, v[3:4]
	v_add_co_u32 v4, vcc_lo, s14, v4
	s_delay_alu instid0(VALU_DEP_2) | instskip(SKIP_3) | instid1(VALU_DEP_1)
	v_add_co_ci_u32_e32 v5, vcc_lo, s26, v5, vcc_lo
	global_load_b64 v[4:5], v[4:5], off
	s_waitcnt vmcnt(0)
	v_fma_mix_f32 v6, v4, v4, v6 op_sel_hi:[1,1,0]
	v_fma_mix_f32 v4, v4, v4, v6 op_sel:[1,1,0] op_sel_hi:[1,1,0]
	s_delay_alu instid0(VALU_DEP_1) | instskip(SKIP_1) | instid1(VALU_DEP_2)
	v_fma_mix_f32 v6, v5, v5, v4 op_sel_hi:[1,1,0]
	v_add_nc_u32_e32 v4, v9, v1
	v_fma_mix_f32 v6, v5, v5, v6 op_sel:[1,1,0] op_sel_hi:[1,1,0]
	s_delay_alu instid0(VALU_DEP_2)
	v_cmpx_gt_u32_e64 s8, v4
	s_cbranch_execz .LBB52_3
; %bb.7:                                ;   in Loop: Header=BB52_5 Depth=1
	v_mov_b32_e32 v5, v2
	v_add_nc_u32_e32 v1, v8, v1
	s_mov_b32 s23, -1
	s_mov_b32 s22, exec_lo
	s_delay_alu instid0(VALU_DEP_2) | instskip(NEXT) | instid1(VALU_DEP_1)
	v_lshlrev_b64 v[4:5], 3, v[4:5]
	v_add_co_u32 v4, vcc_lo, s14, v4
	s_delay_alu instid0(VALU_DEP_2) | instskip(SKIP_3) | instid1(VALU_DEP_1)
	v_add_co_ci_u32_e32 v5, vcc_lo, s26, v5, vcc_lo
	global_load_b64 v[4:5], v[4:5], off
	s_waitcnt vmcnt(0)
	v_fma_mix_f32 v6, v4, v4, v6 op_sel_hi:[1,1,0]
	v_fma_mix_f32 v4, v4, v4, v6 op_sel:[1,1,0] op_sel_hi:[1,1,0]
	s_delay_alu instid0(VALU_DEP_1) | instskip(NEXT) | instid1(VALU_DEP_1)
	v_fma_mix_f32 v4, v5, v5, v4 op_sel_hi:[1,1,0]
	v_fma_mix_f32 v6, v5, v5, v4 op_sel:[1,1,0] op_sel_hi:[1,1,0]
	v_cmpx_gt_u32_e64 s8, v1
	s_xor_b32 s22, exec_lo, s22
	s_cbranch_execz .LBB52_2
; %bb.8:                                ;   in Loop: Header=BB52_5 Depth=1
	v_lshlrev_b64 v[4:5], 3, v[1:2]
	s_delay_alu instid0(VALU_DEP_1) | instskip(NEXT) | instid1(VALU_DEP_2)
	v_add_co_u32 v4, vcc_lo, s14, v4
	v_add_co_ci_u32_e32 v5, vcc_lo, s26, v5, vcc_lo
	global_load_b64 v[4:5], v[4:5], off
	s_waitcnt vmcnt(0)
	v_fma_mix_f32 v1, v4, v4, v6 op_sel_hi:[1,1,0]
	s_delay_alu instid0(VALU_DEP_1) | instskip(SKIP_1) | instid1(VALU_DEP_2)
	v_fma_mix_f32 v4, v4, v4, v1 op_sel:[1,1,0] op_sel_hi:[1,1,0]
	v_add3_u32 v1, v10, v7, v3
	v_fma_mix_f32 v3, v5, v5, v4 op_sel_hi:[1,1,0]
	s_delay_alu instid0(VALU_DEP_2) | instskip(NEXT) | instid1(VALU_DEP_2)
	v_cmp_le_u32_e32 vcc_lo, s8, v1
	v_fma_mix_f32 v6, v5, v5, v3 op_sel:[1,1,0] op_sel_hi:[1,1,0]
	s_or_not1_b32 s23, vcc_lo, exec_lo
	s_branch .LBB52_2
.LBB52_9:
	s_or_b32 exec_lo, exec_lo, s9
.LBB52_10:
	s_delay_alu instid0(SALU_CYCLE_1) | instskip(SKIP_3) | instid1(VALU_DEP_2)
	s_or_b32 exec_lo, exec_lo, s3
	v_mbcnt_lo_u32_b32 v1, -1, 0
	s_load_b32 s3, s[18:19], 0xc
	v_and_b32_e32 v7, 0x3e0, v0
	v_cmp_ne_u32_e32 vcc_lo, 31, v1
	v_add_nc_u32_e32 v3, 1, v1
	v_add_co_ci_u32_e32 v2, vcc_lo, 0, v1, vcc_lo
	v_cmp_gt_u32_e32 vcc_lo, 30, v1
	s_delay_alu instid0(VALU_DEP_2)
	v_lshlrev_b32_e32 v2, 2, v2
	v_cndmask_b32_e64 v5, 0, 1, vcc_lo
	ds_bpermute_b32 v4, v2, v6
	s_waitcnt lgkmcnt(0)
	s_and_b32 s27, s3, 0xffff
	v_lshlrev_b32_e32 v5, 1, v5
	v_sub_nc_u32_e64 v12, s27, v7 clamp
	s_mov_b32 s3, exec_lo
	s_delay_alu instid0(VALU_DEP_1) | instskip(SKIP_2) | instid1(VALU_DEP_2)
	v_cmp_lt_u32_e32 vcc_lo, v3, v12
	v_add_f32_e32 v7, v6, v4
	v_add_lshl_u32 v4, v5, v1, 2
	v_cndmask_b32_e32 v7, v6, v7, vcc_lo
	v_cmp_gt_u32_e32 vcc_lo, 28, v1
	v_cndmask_b32_e64 v5, 0, 1, vcc_lo
	s_delay_alu instid0(VALU_DEP_1) | instskip(SKIP_2) | instid1(VALU_DEP_1)
	v_lshlrev_b32_e32 v8, 2, v5
	ds_bpermute_b32 v6, v4, v7
	v_add_nc_u32_e32 v5, 2, v1
	v_cmp_lt_u32_e32 vcc_lo, v5, v12
	s_waitcnt lgkmcnt(0)
	v_add_f32_e32 v9, v7, v6
	v_add_lshl_u32 v6, v8, v1, 2
	s_delay_alu instid0(VALU_DEP_2) | instskip(SKIP_3) | instid1(VALU_DEP_1)
	v_cndmask_b32_e32 v9, v7, v9, vcc_lo
	v_cmp_gt_u32_e32 vcc_lo, 24, v1
	ds_bpermute_b32 v8, v6, v9
	v_cndmask_b32_e64 v7, 0, 1, vcc_lo
	v_lshlrev_b32_e32 v10, 3, v7
	v_add_nc_u32_e32 v7, 4, v1
	s_delay_alu instid0(VALU_DEP_1) | instskip(SKIP_3) | instid1(VALU_DEP_2)
	v_cmp_lt_u32_e32 vcc_lo, v7, v12
	s_waitcnt lgkmcnt(0)
	v_add_f32_e32 v11, v9, v8
	v_add_lshl_u32 v8, v10, v1, 2
	v_cndmask_b32_e32 v11, v9, v11, vcc_lo
	v_cmp_gt_u32_e32 vcc_lo, 16, v1
	ds_bpermute_b32 v10, v8, v11
	v_cndmask_b32_e64 v9, 0, 1, vcc_lo
	s_delay_alu instid0(VALU_DEP_1) | instskip(SKIP_1) | instid1(VALU_DEP_1)
	v_lshlrev_b32_e32 v13, 4, v9
	v_add_nc_u32_e32 v9, 8, v1
	v_cmp_lt_u32_e32 vcc_lo, v9, v12
	s_waitcnt lgkmcnt(0)
	v_add_f32_e32 v14, v11, v10
	v_add_lshl_u32 v10, v13, v1, 2
	s_delay_alu instid0(VALU_DEP_2)
	v_cndmask_b32_e32 v13, v11, v14, vcc_lo
	v_add_nc_u32_e32 v11, 16, v1
	ds_bpermute_b32 v14, v10, v13
	v_cmp_lt_u32_e32 vcc_lo, v11, v12
	s_waitcnt lgkmcnt(0)
	v_add_f32_e32 v14, v13, v14
	s_delay_alu instid0(VALU_DEP_1)
	v_cndmask_b32_e32 v12, v13, v14, vcc_lo
	v_cmpx_eq_u32_e32 0, v1
	s_cbranch_execz .LBB52_12
; %bb.11:
	v_lshrrev_b32_e32 v13, 3, v0
	s_delay_alu instid0(VALU_DEP_1)
	v_and_b32_e32 v13, 0x7c, v13
	ds_store_b32 v13, v12 offset:4096
.LBB52_12:
	s_or_b32 exec_lo, exec_lo, s3
	s_delay_alu instid0(SALU_CYCLE_1)
	s_mov_b32 s3, exec_lo
	s_waitcnt lgkmcnt(0)
	s_barrier
	buffer_gl0_inv
	v_cmpx_gt_u32_e32 32, v0
	s_cbranch_execz .LBB52_14
; %bb.13:
	v_lshlrev_b32_e32 v1, 2, v1
	s_add_i32 s9, s27, 31
	s_delay_alu instid0(SALU_CYCLE_1) | instskip(NEXT) | instid1(SALU_CYCLE_1)
	s_lshr_b32 s9, s9, 5
	v_cmp_gt_u32_e32 vcc_lo, s9, v3
	ds_load_b32 v1, v1 offset:4096
	s_waitcnt lgkmcnt(0)
	ds_bpermute_b32 v2, v2, v1
	s_waitcnt lgkmcnt(0)
	v_add_f32_e32 v2, v1, v2
	s_delay_alu instid0(VALU_DEP_1) | instskip(SKIP_4) | instid1(VALU_DEP_1)
	v_cndmask_b32_e32 v1, v1, v2, vcc_lo
	v_cmp_gt_u32_e32 vcc_lo, s9, v5
	ds_bpermute_b32 v2, v4, v1
	s_waitcnt lgkmcnt(0)
	v_add_f32_e32 v2, v1, v2
	v_cndmask_b32_e32 v1, v1, v2, vcc_lo
	v_cmp_gt_u32_e32 vcc_lo, s9, v7
	ds_bpermute_b32 v2, v6, v1
	s_waitcnt lgkmcnt(0)
	v_add_f32_e32 v2, v1, v2
	s_delay_alu instid0(VALU_DEP_1) | instskip(SKIP_4) | instid1(VALU_DEP_1)
	v_cndmask_b32_e32 v1, v1, v2, vcc_lo
	v_cmp_gt_u32_e32 vcc_lo, s9, v9
	ds_bpermute_b32 v2, v8, v1
	s_waitcnt lgkmcnt(0)
	v_add_f32_e32 v2, v1, v2
	v_cndmask_b32_e32 v1, v1, v2, vcc_lo
	v_cmp_gt_u32_e32 vcc_lo, s9, v11
	ds_bpermute_b32 v2, v10, v1
	s_waitcnt lgkmcnt(0)
	v_add_f32_e32 v2, v1, v2
	s_delay_alu instid0(VALU_DEP_1)
	v_cndmask_b32_e32 v12, v1, v2, vcc_lo
.LBB52_14:
	s_or_b32 exec_lo, exec_lo, s3
	s_delay_alu instid0(SALU_CYCLE_1)
	s_mov_b32 s3, exec_lo
	v_cmpx_eq_u32_e32 0, v0
	s_cbranch_execz .LBB52_16
; %bb.15:
	v_cvt_f32_i32_e32 v1, s17
	s_delay_alu instid0(VALU_DEP_1) | instskip(SKIP_1) | instid1(VALU_DEP_2)
	v_div_scale_f32 v2, null, v1, v1, v12
	v_div_scale_f32 v5, vcc_lo, v12, v1, v12
	v_rcp_f32_e32 v3, v2
	s_waitcnt_depctr 0xfff
	v_fma_f32 v4, -v2, v3, 1.0
	s_delay_alu instid0(VALU_DEP_1) | instskip(NEXT) | instid1(VALU_DEP_1)
	v_fmac_f32_e32 v3, v4, v3
	v_mul_f32_e32 v4, v5, v3
	s_delay_alu instid0(VALU_DEP_1) | instskip(NEXT) | instid1(VALU_DEP_1)
	v_fma_f32 v6, -v2, v4, v5
	v_fmac_f32_e32 v4, v6, v3
	s_delay_alu instid0(VALU_DEP_1) | instskip(NEXT) | instid1(VALU_DEP_1)
	v_fma_f32 v2, -v2, v4, v5
	v_div_fmas_f32 v2, v2, v3, v4
	s_delay_alu instid0(VALU_DEP_1) | instskip(NEXT) | instid1(VALU_DEP_1)
	v_div_fixup_f32 v1, v2, v1, v12
	v_add_f32_e32 v1, s16, v1
	s_delay_alu instid0(VALU_DEP_1) | instskip(SKIP_1) | instid1(VALU_DEP_2)
	v_mul_f32_e32 v2, 0x4b800000, v1
	v_cmp_gt_f32_e32 vcc_lo, 0x800000, v1
	v_cndmask_b32_e32 v1, v1, v2, vcc_lo
	s_delay_alu instid0(VALU_DEP_1) | instskip(SKIP_2) | instid1(VALU_DEP_1)
	v_rsq_f32_e32 v1, v1
	s_waitcnt_depctr 0xfff
	v_mul_f32_e32 v2, 0x45800000, v1
	v_dual_cndmask_b32 v1, v1, v2 :: v_dual_mov_b32 v2, 0
	ds_store_b32 v2, v1 offset:4224
.LBB52_16:
	s_or_b32 exec_lo, exec_lo, s3
	s_ashr_i32 s13, s17, 31
	s_waitcnt lgkmcnt(0)
	s_lshr_b32 s3, s13, 25
	s_barrier
	s_add_i32 s3, s17, s3
	buffer_gl0_inv
	s_ashr_i32 s16, s3, 7
	s_ashr_i32 s3, s3, 31
	s_abs_i32 s9, s16
	s_delay_alu instid0(SALU_CYCLE_1) | instskip(SKIP_1) | instid1(VALU_DEP_1)
	v_cvt_f32_u32_e32 v1, s9
	s_sub_i32 s18, 0, s9
	v_rcp_iflag_f32_e32 v1, v1
	s_waitcnt_depctr 0xfff
	v_mul_f32_e32 v1, 0x4f7ffffe, v1
	s_delay_alu instid0(VALU_DEP_1) | instskip(NEXT) | instid1(VALU_DEP_1)
	v_cvt_u32_f32_e32 v1, v1
	v_readfirstlane_b32 s17, v1
	s_delay_alu instid0(VALU_DEP_1) | instskip(NEXT) | instid1(SALU_CYCLE_1)
	s_mul_i32 s18, s18, s17
	s_mul_hi_u32 s18, s17, s18
	s_delay_alu instid0(SALU_CYCLE_1) | instskip(NEXT) | instid1(SALU_CYCLE_1)
	s_add_i32 s17, s17, s18
	s_mul_hi_u32 s17, s27, s17
	s_delay_alu instid0(SALU_CYCLE_1) | instskip(SKIP_2) | instid1(SALU_CYCLE_1)
	s_mul_i32 s18, s17, s9
	s_add_i32 s19, s17, 1
	s_sub_i32 s18, s27, s18
	s_sub_i32 s20, s18, s9
	s_cmp_ge_u32 s18, s9
	s_cselect_b32 s17, s19, s17
	s_cselect_b32 s18, s20, s18
	s_add_i32 s19, s17, 1
	s_cmp_ge_u32 s18, s9
	s_cselect_b32 s9, s19, s17
	s_delay_alu instid0(SALU_CYCLE_1) | instskip(NEXT) | instid1(SALU_CYCLE_1)
	s_xor_b32 s9, s9, s3
	s_sub_i32 s18, s9, s3
	s_delay_alu instid0(SALU_CYCLE_1) | instskip(SKIP_3) | instid1(VALU_DEP_1)
	s_abs_i32 s3, s18
	s_ashr_i32 s19, s18, 31
	v_cvt_f32_u32_e32 v1, s3
	s_sub_i32 s9, 0, s3
	v_rcp_iflag_f32_e32 v1, v1
	s_waitcnt_depctr 0xfff
	v_mul_f32_e32 v1, 0x4f7ffffe, v1
	s_delay_alu instid0(VALU_DEP_1) | instskip(NEXT) | instid1(VALU_DEP_1)
	v_cvt_u32_f32_e32 v1, v1
	v_mul_lo_u32 v2, s9, v1
	s_ashr_i32 s9, s8, 31
	s_delay_alu instid0(VALU_DEP_1) | instskip(NEXT) | instid1(VALU_DEP_1)
	v_mul_hi_u32 v2, v1, v2
	v_add_nc_u32_e32 v1, v1, v2
	s_delay_alu instid0(VALU_DEP_1) | instskip(NEXT) | instid1(VALU_DEP_1)
	v_mul_hi_u32 v1, v0, v1
	v_mul_lo_u32 v2, v1, s3
	v_add_nc_u32_e32 v3, 1, v1
	s_delay_alu instid0(VALU_DEP_2) | instskip(NEXT) | instid1(VALU_DEP_1)
	v_sub_nc_u32_e32 v2, v0, v2
	v_subrev_nc_u32_e32 v4, s3, v2
	v_cmp_le_u32_e32 vcc_lo, s3, v2
	s_delay_alu instid0(VALU_DEP_2) | instskip(NEXT) | instid1(VALU_DEP_1)
	v_dual_cndmask_b32 v1, v1, v3 :: v_dual_cndmask_b32 v2, v2, v4
	v_dual_mov_b32 v4, 0 :: v_dual_add_nc_u32 v3, 1, v1
	s_delay_alu instid0(VALU_DEP_2) | instskip(SKIP_2) | instid1(VALU_DEP_1)
	v_cmp_le_u32_e32 vcc_lo, s3, v2
	ds_load_b32 v28, v4 offset:4224
	v_cndmask_b32_e32 v1, v1, v3, vcc_lo
	v_xor_b32_e32 v1, s19, v1
	s_delay_alu instid0(VALU_DEP_1) | instskip(NEXT) | instid1(VALU_DEP_1)
	v_subrev_nc_u32_e32 v1, s19, v1
	v_ashrrev_i32_e32 v2, 31, v1
	v_mul_lo_u32 v3, v1, s18
	s_delay_alu instid0(VALU_DEP_2) | instskip(NEXT) | instid1(VALU_DEP_2)
	v_lshlrev_b64 v[7:8], 5, v[1:2]
	v_sub_nc_u32_e32 v3, v0, v3
	s_delay_alu instid0(VALU_DEP_2) | instskip(NEXT) | instid1(VALU_DEP_3)
	v_add_co_u32 v5, vcc_lo, v7, 32
	v_add_co_ci_u32_e32 v6, vcc_lo, 0, v8, vcc_lo
	s_delay_alu instid0(VALU_DEP_1) | instskip(SKIP_4) | instid1(VALU_DEP_3)
	v_cmp_gt_i64_e32 vcc_lo, s[8:9], v[5:6]
	v_cndmask_b32_e32 v6, s9, v6, vcc_lo
	v_cndmask_b32_e32 v5, s8, v5, vcc_lo
	v_add_co_u32 v7, vcc_lo, v7, v3
	v_add_co_ci_u32_e32 v8, vcc_lo, 0, v8, vcc_lo
	v_ashrrev_i32_e32 v10, 31, v5
	v_mov_b32_e32 v9, v5
	s_mov_b32 s9, exec_lo
	s_delay_alu instid0(VALU_DEP_1)
	v_cmpx_lt_i64_e64 v[7:8], v[9:10]
	s_cbranch_execz .LBB52_26
; %bb.17:
	v_lshlrev_b64 v[11:12], 8, v[1:2]
	v_lshlrev_b64 v[13:14], 3, v[3:4]
	v_mov_b32_e32 v4, 0
	s_lshl_b64 s[20:21], s[18:19], 5
	s_mul_hi_i32 s17, s18, 3
	s_mul_i32 s28, s18, 3
	s_lshl_b64 s[22:23], s[18:19], 1
	v_add_co_u32 v19, vcc_lo, v11, v13
	v_add_co_ci_u32_e32 v20, vcc_lo, v12, v14, vcc_lo
	v_dual_mov_b32 v12, v8 :: v_dual_mov_b32 v11, v7
	s_lshl_b64 s[24:25], s[18:19], 3
	s_mov_b32 s29, 0
                                        ; implicit-def: $sgpr30
	s_branch .LBB52_21
.LBB52_18:                              ;   in Loop: Header=BB52_21 Depth=1
	s_or_b32 exec_lo, exec_lo, s34
	s_delay_alu instid0(SALU_CYCLE_1)
	s_or_not1_b32 s3, s3, exec_lo
.LBB52_19:                              ;   in Loop: Header=BB52_21 Depth=1
	s_or_b32 exec_lo, exec_lo, s33
	s_delay_alu instid0(SALU_CYCLE_1) | instskip(SKIP_1) | instid1(SALU_CYCLE_1)
	s_and_not1_b32 s30, s30, exec_lo
	s_and_b32 s3, s3, exec_lo
	s_or_b32 s30, s30, s3
.LBB52_20:                              ;   in Loop: Header=BB52_21 Depth=1
	s_or_b32 exec_lo, exec_lo, s31
	s_delay_alu instid0(SALU_CYCLE_1) | instskip(NEXT) | instid1(SALU_CYCLE_1)
	s_and_b32 s3, exec_lo, s30
	s_or_b32 s29, s3, s29
	s_delay_alu instid0(SALU_CYCLE_1)
	s_and_not1_b32 exec_lo, exec_lo, s29
	s_cbranch_execz .LBB52_25
.LBB52_21:                              ; =>This Inner Loop Header: Depth=1
	v_add_co_u32 v17, vcc_lo, s10, v19
	v_add_co_ci_u32_e32 v18, vcc_lo, s11, v20, vcc_lo
	v_add_co_u32 v15, vcc_lo, s14, v19
	v_add_co_ci_u32_e32 v16, vcc_lo, s26, v20, vcc_lo
	s_or_b32 s30, s30, exec_lo
	global_load_b64 v[13:14], v[17:18], off
	global_load_b64 v[21:22], v[15:16], off
	s_mov_b32 s31, exec_lo
	s_waitcnt vmcnt(1)
	v_lshrrev_b32_e32 v23, 16, v13
	s_waitcnt vmcnt(0) lgkmcnt(0)
	v_fma_mixlo_f16 v24, v28, v21, 0 op_sel_hi:[0,1,0]
	v_fma_mixlo_f16 v21, v28, v21, 0 op_sel:[0,1,0] op_sel_hi:[0,1,0]
	v_lshrrev_b32_e32 v25, 16, v14
	v_fma_mixlo_f16 v26, v28, v22, 0 op_sel_hi:[0,1,0]
	v_fma_mixlo_f16 v22, v28, v22, 0 op_sel:[0,1,0] op_sel_hi:[0,1,0]
	v_mul_f16_e32 v13, v13, v24
	v_mul_f16_e32 v21, v23, v21
	s_delay_alu instid0(VALU_DEP_4) | instskip(NEXT) | instid1(VALU_DEP_4)
	v_mul_f16_e32 v23, v14, v26
	v_mul_f16_e32 v22, v25, v22
	s_delay_alu instid0(VALU_DEP_4) | instskip(NEXT) | instid1(VALU_DEP_4)
	v_cvt_f32_f16_e64 v24, |v13|
	v_cvt_f32_f16_e64 v21, |v21|
	v_add_co_u32 v13, vcc_lo, v11, s18
	v_cvt_f32_f16_e64 v23, |v23|
	v_add_co_ci_u32_e32 v14, vcc_lo, s19, v12, vcc_lo
	s_delay_alu instid0(VALU_DEP_4) | instskip(SKIP_1) | instid1(VALU_DEP_1)
	v_max3_f32 v4, v4, v24, v21
	v_cvt_f32_f16_e64 v21, |v22|
	v_max3_f32 v4, v4, v23, v21
	s_delay_alu instid0(VALU_DEP_4)
	v_cmpx_lt_i64_e64 v[13:14], v[9:10]
	s_cbranch_execz .LBB52_20
; %bb.22:                               ;   in Loop: Header=BB52_21 Depth=1
	v_add_co_u32 v17, vcc_lo, v17, s24
	v_add_co_ci_u32_e32 v18, vcc_lo, s25, v18, vcc_lo
	v_add_co_u32 v15, vcc_lo, v15, s24
	v_add_co_ci_u32_e32 v16, vcc_lo, s25, v16, vcc_lo
	s_mov_b32 s3, -1
	global_load_b64 v[21:22], v[17:18], off
	global_load_b64 v[23:24], v[15:16], off
	s_mov_b32 s33, exec_lo
	s_waitcnt vmcnt(1)
	v_lshrrev_b32_e32 v25, 16, v21
	s_waitcnt vmcnt(0)
	v_fma_mixlo_f16 v26, v28, v23, 0 op_sel_hi:[0,1,0]
	v_fma_mixlo_f16 v23, v28, v23, 0 op_sel:[0,1,0] op_sel_hi:[0,1,0]
	v_lshrrev_b32_e32 v27, 16, v22
	v_fma_mixlo_f16 v29, v28, v24, 0 op_sel_hi:[0,1,0]
	v_fma_mixlo_f16 v24, v28, v24, 0 op_sel:[0,1,0] op_sel_hi:[0,1,0]
	v_mul_f16_e32 v21, v21, v26
	v_mul_f16_e32 v23, v25, v23
	s_delay_alu instid0(VALU_DEP_4) | instskip(NEXT) | instid1(VALU_DEP_4)
	v_mul_f16_e32 v25, v22, v29
	v_mul_f16_e32 v24, v27, v24
	s_delay_alu instid0(VALU_DEP_4) | instskip(NEXT) | instid1(VALU_DEP_4)
	v_cvt_f32_f16_e64 v26, |v21|
	v_cvt_f32_f16_e64 v23, |v23|
	v_add_co_u32 v21, vcc_lo, s22, v11
	v_cvt_f32_f16_e64 v25, |v25|
	v_add_co_ci_u32_e32 v22, vcc_lo, s23, v12, vcc_lo
	s_delay_alu instid0(VALU_DEP_4) | instskip(SKIP_1) | instid1(VALU_DEP_1)
	v_max3_f32 v4, v4, v26, v23
	v_cvt_f32_f16_e64 v23, |v24|
	v_max3_f32 v4, v4, v25, v23
	s_delay_alu instid0(VALU_DEP_4)
	v_cmpx_lt_i64_e64 v[21:22], v[9:10]
	s_cbranch_execz .LBB52_19
; %bb.23:                               ;   in Loop: Header=BB52_21 Depth=1
	v_add_co_u32 v17, vcc_lo, v17, s24
	v_add_co_ci_u32_e32 v18, vcc_lo, s25, v18, vcc_lo
	v_add_co_u32 v15, vcc_lo, v15, s24
	v_add_co_ci_u32_e32 v16, vcc_lo, s25, v16, vcc_lo
	v_add_co_u32 v11, vcc_lo, s28, v11
	global_load_b64 v[21:22], v[17:18], off
	global_load_b64 v[23:24], v[15:16], off
	v_add_co_ci_u32_e32 v12, vcc_lo, s17, v12, vcc_lo
	s_delay_alu instid0(VALU_DEP_1)
	v_cmp_lt_i64_e32 vcc_lo, v[11:12], v[9:10]
                                        ; implicit-def: $vgpr11_vgpr12
	s_waitcnt vmcnt(1)
	v_lshrrev_b32_e32 v25, 16, v21
	s_waitcnt vmcnt(0)
	v_fma_mixlo_f16 v26, v28, v23, 0 op_sel_hi:[0,1,0]
	v_fma_mixlo_f16 v23, v28, v23, 0 op_sel:[0,1,0] op_sel_hi:[0,1,0]
	v_lshrrev_b32_e32 v27, 16, v22
	v_fma_mixlo_f16 v29, v28, v24, 0 op_sel_hi:[0,1,0]
	v_fma_mixlo_f16 v24, v28, v24, 0 op_sel:[0,1,0] op_sel_hi:[0,1,0]
	v_mul_f16_e32 v21, v21, v26
	v_mul_f16_e32 v23, v25, v23
	s_delay_alu instid0(VALU_DEP_4) | instskip(NEXT) | instid1(VALU_DEP_4)
	v_mul_f16_e32 v22, v22, v29
	v_mul_f16_e32 v24, v27, v24
	s_delay_alu instid0(VALU_DEP_4) | instskip(NEXT) | instid1(VALU_DEP_4)
	v_cvt_f32_f16_e64 v21, |v21|
	v_cvt_f32_f16_e64 v23, |v23|
	s_delay_alu instid0(VALU_DEP_4) | instskip(NEXT) | instid1(VALU_DEP_2)
	v_cvt_f32_f16_e64 v22, |v22|
	v_max3_f32 v4, v4, v21, v23
	v_cvt_f32_f16_e64 v21, |v24|
	s_delay_alu instid0(VALU_DEP_1) | instskip(SKIP_1) | instid1(SALU_CYCLE_1)
	v_max3_f32 v4, v4, v22, v21
	s_and_saveexec_b32 s34, vcc_lo
	s_xor_b32 s34, exec_lo, s34
	s_cbranch_execz .LBB52_18
; %bb.24:                               ;   in Loop: Header=BB52_21 Depth=1
	v_add_co_u32 v11, vcc_lo, v17, s24
	v_add_co_ci_u32_e32 v12, vcc_lo, s25, v18, vcc_lo
	v_add_co_u32 v15, vcc_lo, v15, s24
	v_add_co_ci_u32_e32 v16, vcc_lo, s25, v16, vcc_lo
	s_add_u32 s3, s18, s18
	global_load_b64 v[11:12], v[11:12], off
	global_load_b64 v[15:16], v[15:16], off
	s_addc_u32 s35, s19, s19
	s_add_u32 s3, s3, s18
	s_addc_u32 s35, s35, s19
	s_waitcnt vmcnt(1)
	v_lshrrev_b32_e32 v17, 16, v11
	s_waitcnt vmcnt(0)
	v_fma_mixlo_f16 v18, v28, v15, 0 op_sel_hi:[0,1,0]
	v_fma_mixlo_f16 v15, v28, v15, 0 op_sel:[0,1,0] op_sel_hi:[0,1,0]
	v_lshrrev_b32_e32 v21, 16, v12
	v_fma_mixlo_f16 v22, v28, v16, 0 op_sel_hi:[0,1,0]
	v_fma_mixlo_f16 v16, v28, v16, 0 op_sel:[0,1,0] op_sel_hi:[0,1,0]
	v_mul_f16_e32 v11, v11, v18
	v_mul_f16_e32 v15, v17, v15
	s_delay_alu instid0(VALU_DEP_4) | instskip(NEXT) | instid1(VALU_DEP_4)
	v_mul_f16_e32 v17, v12, v22
	v_mul_f16_e32 v16, v21, v16
	s_delay_alu instid0(VALU_DEP_4) | instskip(NEXT) | instid1(VALU_DEP_4)
	v_cvt_f32_f16_e64 v18, |v11|
	v_cvt_f32_f16_e64 v15, |v15|
	v_add_co_u32 v11, vcc_lo, s3, v13
	v_add_co_ci_u32_e32 v12, vcc_lo, s35, v14, vcc_lo
	v_cvt_f32_f16_e64 v13, |v17|
	v_cvt_f32_f16_e64 v14, |v16|
	v_max3_f32 v4, v4, v18, v15
	s_delay_alu instid0(VALU_DEP_4) | instskip(SKIP_1) | instid1(VALU_DEP_1)
	v_cmp_ge_i64_e32 vcc_lo, v[11:12], v[9:10]
	v_add_co_u32 v19, s3, v19, s20
	v_add_co_ci_u32_e64 v20, s3, s21, v20, s3
	s_delay_alu instid0(VALU_DEP_4)
	v_max3_f32 v4, v4, v13, v14
	s_or_not1_b32 s3, vcc_lo, exec_lo
	s_branch .LBB52_18
.LBB52_25:
	s_or_b32 exec_lo, exec_lo, s29
.LBB52_26:
	s_delay_alu instid0(SALU_CYCLE_1)
	s_or_b32 exec_lo, exec_lo, s9
	s_lshr_b32 s9, s27, 5
	v_lshlrev_b32_e32 v29, 2, v0
	v_cvt_f32_u32_e32 v9, s9
	s_sub_i32 s17, 0, s9
	s_add_i32 s20, s16, s9
	s_delay_alu instid0(SALU_CYCLE_1) | instskip(NEXT) | instid1(VALU_DEP_1)
	s_add_i32 s20, s20, -1
	v_rcp_iflag_f32_e32 v9, v9
	s_abs_i32 s21, s20
	s_ashr_i32 s20, s20, 31
	ds_store_b32 v29, v4
	s_waitcnt lgkmcnt(0)
	s_barrier
	buffer_gl0_inv
	v_mul_f32_e32 v9, 0x4f7ffffe, v9
	s_delay_alu instid0(VALU_DEP_1) | instskip(NEXT) | instid1(VALU_DEP_1)
	v_cvt_u32_f32_e32 v9, v9
	v_readfirstlane_b32 s3, v9
	s_delay_alu instid0(VALU_DEP_1) | instskip(NEXT) | instid1(SALU_CYCLE_1)
	s_mul_i32 s17, s17, s3
	s_mul_hi_u32 s17, s3, s17
	s_delay_alu instid0(SALU_CYCLE_1) | instskip(SKIP_2) | instid1(SALU_CYCLE_1)
	s_add_i32 s3, s3, s17
	s_ashr_i32 s17, s16, 31
	s_mul_hi_u32 s3, s21, s3
	s_mul_i32 s22, s3, s9
	s_delay_alu instid0(SALU_CYCLE_1)
	s_sub_i32 s21, s21, s22
	s_add_i32 s22, s3, 1
	s_sub_i32 s23, s21, s9
	s_cmp_ge_u32 s21, s9
	s_cselect_b32 s3, s22, s3
	s_cselect_b32 s21, s23, s21
	s_add_i32 s22, s3, 1
	s_cmp_ge_u32 s21, s9
	s_cselect_b32 s3, s22, s3
	s_delay_alu instid0(SALU_CYCLE_1) | instskip(NEXT) | instid1(SALU_CYCLE_1)
	s_xor_b32 s3, s3, s20
	s_sub_i32 s20, s3, s20
	s_delay_alu instid0(SALU_CYCLE_1) | instskip(NEXT) | instid1(SALU_CYCLE_1)
	s_ashr_i32 s21, s20, 31
	v_cmp_lt_i64_e64 s3, s[20:21], 1
	s_delay_alu instid0(VALU_DEP_1)
	s_and_b32 vcc_lo, exec_lo, s3
	s_cbranch_vccnz .LBB52_46
; %bb.27:
	v_lshrrev_b32_e32 v9, 5, v0
	v_and_b32_e32 v4, 31, v0
	s_mov_b64 s[22:23], 0
	s_mov_b64 s[24:25], src_shared_base
	s_delay_alu instid0(VALU_DEP_2) | instskip(NEXT) | instid1(VALU_DEP_2)
	v_mul_lo_u32 v19, s18, v9
	v_add_co_u32 v11, s3, v4, 16
	s_delay_alu instid0(VALU_DEP_1) | instskip(SKIP_1) | instid1(VALU_DEP_1)
	v_add_co_ci_u32_e64 v12, null, 0, 0, s3
	v_add_co_u32 v13, s3, v4, 8
	v_add_co_ci_u32_e64 v14, null, 0, 0, s3
	v_add_co_u32 v15, s3, v4, 4
	v_dual_mov_b32 v10, 0 :: v_dual_lshlrev_b32 v21, 2, v19
	v_lshlrev_b32_e32 v22, 2, v4
	v_add_co_ci_u32_e64 v16, null, 0, 0, s3
	v_add_co_u32 v17, s3, v4, 2
	s_delay_alu instid0(VALU_DEP_1) | instskip(SKIP_1) | instid1(VALU_DEP_1)
	v_add_co_ci_u32_e64 v18, null, 0, 0, s3
	v_add_co_u32 v19, s3, v4, 1
	v_add_co_ci_u32_e64 v20, null, 0, 0, s3
	v_add3_u32 v30, v21, v22, 0x80
	s_mul_i32 s3, s18, s9
	s_delay_alu instid0(SALU_CYCLE_1)
	s_lshl_b32 s28, s3, 2
	s_branch .LBB52_30
.LBB52_28:                              ;   in Loop: Header=BB52_30 Depth=1
	s_or_b32 exec_lo, exec_lo, s3
	v_mov_b32_e32 v22, s25
	flat_load_b32 v21, v[21:22] glc dlc
	s_waitcnt vmcnt(0)
.LBB52_29:                              ;   in Loop: Header=BB52_30 Depth=1
	s_or_b32 exec_lo, exec_lo, s24
	s_add_u32 s22, s22, 1
	v_add_nc_u32_e32 v30, s28, v30
	s_addc_u32 s23, s23, 0
	s_delay_alu instid0(SALU_CYCLE_1)
	s_cmp_eq_u64 s[22:23], s[20:21]
	s_cbranch_scc1 .LBB52_46
.LBB52_30:                              ; =>This Loop Header: Depth=1
                                        ;     Child Loop BB52_33 Depth 2
	s_waitcnt lgkmcnt(0)
	v_mad_u64_u32 v[21:22], null, s22, s9, v[9:10]
	s_mov_b32 s24, exec_lo
	s_delay_alu instid0(VALU_DEP_1) | instskip(NEXT) | instid1(VALU_DEP_1)
	v_mad_u64_u32 v[23:24], null, s23, s9, v[22:23]
	v_mov_b32_e32 v22, v23
	s_delay_alu instid0(VALU_DEP_1)
	v_cmpx_gt_i64_e64 s[16:17], v[21:22]
	s_cbranch_execz .LBB52_29
; %bb.31:                               ;   in Loop: Header=BB52_30 Depth=1
	v_mul_lo_u32 v24, v22, s18
	v_mul_lo_u32 v25, v21, s19
	v_mad_u64_u32 v[22:23], null, v21, s18, 0
	s_delay_alu instid0(VALU_DEP_1) | instskip(NEXT) | instid1(VALU_DEP_2)
	v_add3_u32 v23, v23, v25, v24
	v_add_co_u32 v24, vcc_lo, v22, s18
	v_add_co_u32 v31, s3, v22, v4
	s_delay_alu instid0(VALU_DEP_3) | instskip(SKIP_2) | instid1(VALU_DEP_2)
	v_add_co_ci_u32_e32 v25, vcc_lo, s19, v23, vcc_lo
	v_add_co_ci_u32_e64 v21, s3, 0, v23, s3
	s_mov_b32 s3, exec_lo
	v_cmp_gt_i64_e32 vcc_lo, s[12:13], v[24:25]
	v_cndmask_b32_e32 v25, s13, v25, vcc_lo
	v_cndmask_b32_e32 v24, s12, v24, vcc_lo
	v_add_co_u32 v26, vcc_lo, v31, 32
	v_add_co_ci_u32_e32 v27, vcc_lo, 0, v21, vcc_lo
	v_lshlrev_b32_e32 v21, 2, v31
	s_delay_alu instid0(VALU_DEP_2)
	v_cmpx_lt_i64_e64 v[26:27], v[24:25]
	s_cbranch_execz .LBB52_34
; %bb.32:                               ;   in Loop: Header=BB52_30 Depth=1
	ds_load_b32 v33, v21
	v_mov_b32_e32 v32, v30
	s_mov_b32 s29, 0
.LBB52_33:                              ;   Parent Loop BB52_30 Depth=1
                                        ; =>  This Inner Loop Header: Depth=2
	ds_load_b32 v34, v32
	v_add_co_u32 v26, vcc_lo, v26, 32
	v_add_co_ci_u32_e32 v27, vcc_lo, 0, v27, vcc_lo
	s_waitcnt lgkmcnt(1)
	v_dual_max_f32 v33, v33, v33 :: v_dual_add_nc_u32 v32, 0x80, v32
	s_delay_alu instid0(VALU_DEP_2) | instskip(SKIP_3) | instid1(VALU_DEP_1)
	v_cmp_ge_i64_e32 vcc_lo, v[26:27], v[24:25]
	s_or_b32 s29, vcc_lo, s29
	s_waitcnt lgkmcnt(0)
	v_max_f32_e32 v34, v34, v34
	v_max_f32_e32 v33, v33, v34
	ds_store_b32 v21, v33
	s_and_not1_b32 exec_lo, exec_lo, s29
	s_cbranch_execnz .LBB52_33
.LBB52_34:                              ;   in Loop: Header=BB52_30 Depth=1
	s_or_b32 exec_lo, exec_lo, s3
	v_sub_co_u32 v22, vcc_lo, v24, v22
	v_sub_co_ci_u32_e32 v23, vcc_lo, v25, v23, vcc_lo
	s_mov_b32 s3, exec_lo
	s_delay_alu instid0(VALU_DEP_1) | instskip(SKIP_1) | instid1(VALU_DEP_1)
	v_cmp_gt_i64_e32 vcc_lo, 32, v[22:23]
	v_dual_cndmask_b32 v24, 0, v23 :: v_dual_cndmask_b32 v23, 32, v22
	v_cmpx_lt_i64_e64 v[11:12], v[23:24]
	s_cbranch_execz .LBB52_36
; %bb.35:                               ;   in Loop: Header=BB52_30 Depth=1
	v_dual_mov_b32 v22, s25 :: v_dual_add_nc_u32 v25, 64, v21
	v_mov_b32_e32 v26, s25
	flat_load_b32 v27, v[21:22] glc dlc
	s_waitcnt vmcnt(0)
	flat_load_b32 v25, v[25:26] glc dlc
	s_waitcnt vmcnt(0) lgkmcnt(0)
	v_dual_max_f32 v26, v27, v27 :: v_dual_max_f32 v25, v25, v25
	s_delay_alu instid0(VALU_DEP_1)
	v_max_f32_e32 v25, v26, v25
	flat_store_b32 v[21:22], v25 dlc
	s_waitcnt_vscnt null, 0x0
.LBB52_36:                              ;   in Loop: Header=BB52_30 Depth=1
	s_or_b32 exec_lo, exec_lo, s3
	s_delay_alu instid0(SALU_CYCLE_1)
	s_mov_b32 s3, exec_lo
	v_cmpx_lt_i64_e64 v[13:14], v[23:24]
	s_cbranch_execz .LBB52_38
; %bb.37:                               ;   in Loop: Header=BB52_30 Depth=1
	v_dual_mov_b32 v22, s25 :: v_dual_add_nc_u32 v25, 32, v21
	v_mov_b32_e32 v26, s25
	flat_load_b32 v27, v[21:22] glc dlc
	s_waitcnt vmcnt(0)
	flat_load_b32 v25, v[25:26] glc dlc
	s_waitcnt vmcnt(0) lgkmcnt(0)
	v_dual_max_f32 v26, v27, v27 :: v_dual_max_f32 v25, v25, v25
	s_delay_alu instid0(VALU_DEP_1)
	v_max_f32_e32 v25, v26, v25
	flat_store_b32 v[21:22], v25 dlc
	s_waitcnt_vscnt null, 0x0
.LBB52_38:                              ;   in Loop: Header=BB52_30 Depth=1
	s_or_b32 exec_lo, exec_lo, s3
	s_delay_alu instid0(SALU_CYCLE_1)
	s_mov_b32 s3, exec_lo
	v_cmpx_ge_i64_e64 v[15:16], v[23:24]
	s_xor_b32 s3, exec_lo, s3
; %bb.39:                               ;   in Loop: Header=BB52_30 Depth=1
                                        ; implicit-def: $vgpr21
; %bb.40:                               ;   in Loop: Header=BB52_30 Depth=1
	s_delay_alu instid0(SALU_CYCLE_1)
	s_and_not1_saveexec_b32 s3, s3
	s_cbranch_execz .LBB52_42
; %bb.41:                               ;   in Loop: Header=BB52_30 Depth=1
	v_dual_mov_b32 v22, s25 :: v_dual_add_nc_u32 v25, 16, v21
	v_mov_b32_e32 v26, s25
	flat_load_b32 v27, v[21:22] glc dlc
	s_waitcnt vmcnt(0)
	flat_load_b32 v25, v[25:26] glc dlc
	s_waitcnt vmcnt(0) lgkmcnt(0)
	v_dual_max_f32 v26, v27, v27 :: v_dual_max_f32 v25, v25, v25
	s_delay_alu instid0(VALU_DEP_1)
	v_max_f32_e32 v25, v26, v25
	flat_store_b32 v[21:22], v25 dlc
	s_waitcnt_vscnt null, 0x0
.LBB52_42:                              ;   in Loop: Header=BB52_30 Depth=1
	s_or_b32 exec_lo, exec_lo, s3
	v_lshlrev_b32_e32 v21, 2, v31
	s_mov_b32 s3, exec_lo
	v_cmpx_lt_i64_e64 v[17:18], v[23:24]
	s_cbranch_execz .LBB52_44
; %bb.43:                               ;   in Loop: Header=BB52_30 Depth=1
	s_delay_alu instid0(VALU_DEP_2)
	v_dual_mov_b32 v22, s25 :: v_dual_add_nc_u32 v25, 8, v21
	v_mov_b32_e32 v26, s25
	flat_load_b32 v27, v[21:22] glc dlc
	s_waitcnt vmcnt(0)
	flat_load_b32 v25, v[25:26] glc dlc
	s_waitcnt vmcnt(0) lgkmcnt(0)
	v_dual_max_f32 v26, v27, v27 :: v_dual_max_f32 v25, v25, v25
	s_delay_alu instid0(VALU_DEP_1)
	v_max_f32_e32 v25, v26, v25
	flat_store_b32 v[21:22], v25 dlc
	s_waitcnt_vscnt null, 0x0
.LBB52_44:                              ;   in Loop: Header=BB52_30 Depth=1
	s_or_b32 exec_lo, exec_lo, s3
	s_delay_alu instid0(SALU_CYCLE_1)
	s_mov_b32 s3, exec_lo
	v_cmpx_lt_i64_e64 v[19:20], v[23:24]
	s_cbranch_execz .LBB52_28
; %bb.45:                               ;   in Loop: Header=BB52_30 Depth=1
	v_dual_mov_b32 v22, s25 :: v_dual_add_nc_u32 v23, 4, v21
	v_mov_b32_e32 v24, s25
	flat_load_b32 v25, v[21:22] glc dlc
	s_waitcnt vmcnt(0)
	flat_load_b32 v23, v[23:24] glc dlc
	s_waitcnt vmcnt(0) lgkmcnt(0)
	v_dual_max_f32 v24, v25, v25 :: v_dual_max_f32 v23, v23, v23
	s_delay_alu instid0(VALU_DEP_1)
	v_max_f32_e32 v23, v24, v23
	flat_store_b32 v[21:22], v23 dlc
	s_waitcnt_vscnt null, 0x0
	s_branch .LBB52_28
.LBB52_46:
	v_cmp_lt_i64_e32 vcc_lo, v[7:8], v[5:6]
	v_cmp_eq_u32_e64 s3, 0, v3
	s_mul_i32 s9, s17, s15
	s_mul_hi_u32 s18, s16, s15
	s_mul_i32 s16, s16, s15
	s_waitcnt lgkmcnt(0)
	s_and_b32 s17, s3, vcc_lo
	s_barrier
	buffer_gl0_inv
	s_and_saveexec_b32 s3, s17
	s_cbranch_execz .LBB52_50
; %bb.47:
	s_load_b64 s[0:1], s[0:1], 0x20
	ds_load_b32 v3, v29
	s_waitcnt lgkmcnt(0)
	s_cmp_eq_u64 s[0:1], 0
	s_cbranch_scc1 .LBB52_49
; %bb.48:
	s_load_b32 s0, s[0:1], 0x0
	v_max_f32_e32 v3, v3, v3
	s_waitcnt lgkmcnt(0)
	v_max_f32_e64 v4, s0, s0
	s_delay_alu instid0(VALU_DEP_1)
	v_min_f32_e32 v3, v3, v4
.LBB52_49:
	s_delay_alu instid0(VALU_DEP_1) | instskip(SKIP_2) | instid1(VALU_DEP_2)
	v_div_scale_f32 v4, null, 0x43600000, 0x43600000, v3
	v_div_scale_f32 v7, vcc_lo, v3, 0x43600000, v3
	s_add_i32 s17, s18, s9
	v_rcp_f32_e32 v5, v4
	v_lshlrev_b64 v[1:2], 2, v[1:2]
	s_lshl_b64 s[0:1], s[16:17], 2
	s_delay_alu instid0(SALU_CYCLE_1) | instskip(SKIP_3) | instid1(VALU_DEP_1)
	s_add_u32 s0, s6, s0
	s_addc_u32 s1, s7, s1
	s_waitcnt_depctr 0xfff
	v_fma_f32 v6, -v4, v5, 1.0
	v_fmac_f32_e32 v5, v6, v5
	s_delay_alu instid0(VALU_DEP_1) | instskip(NEXT) | instid1(VALU_DEP_1)
	v_mul_f32_e32 v6, v7, v5
	v_fma_f32 v8, -v4, v6, v7
	s_delay_alu instid0(VALU_DEP_1) | instskip(NEXT) | instid1(VALU_DEP_1)
	v_fmac_f32_e32 v6, v8, v5
	v_fma_f32 v4, -v4, v6, v7
	s_delay_alu instid0(VALU_DEP_1) | instskip(SKIP_2) | instid1(VALU_DEP_3)
	v_div_fmas_f32 v4, v4, v5, v6
	v_add_co_u32 v1, vcc_lo, s0, v1
	v_add_co_ci_u32_e32 v2, vcc_lo, s1, v2, vcc_lo
	v_div_fixup_f32 v3, v4, 0x43600000, v3
	s_delay_alu instid0(VALU_DEP_1)
	v_max_f32_e32 v3, 0x37124925, v3
	global_store_b32 v[1:2], v3, off
.LBB52_50:
	s_or_b32 exec_lo, exec_lo, s3
	s_waitcnt_vscnt null, 0x0
	s_barrier
	buffer_gl0_inv
	s_and_saveexec_b32 s0, s2
	s_cbranch_execz .LBB52_187
; %bb.51:
	s_mul_i32 s0, s13, s15
	s_mul_hi_u32 s1, s12, s15
	s_mul_i32 s2, s12, s15
	s_add_i32 s1, s1, s0
	s_add_u32 s2, s4, s2
	s_addc_u32 s3, s5, s1
	s_add_i32 s17, s18, s9
	v_mov_b32_e32 v1, 0
	s_lshl_b64 s[0:1], s[16:17], 2
	s_mul_i32 s4, s27, 3
	s_add_u32 s0, s6, s0
	s_addc_u32 s1, s7, s1
	s_lshl_b32 s5, s27, 1
	s_mov_b32 s6, 0
	s_mov_b32 s7, 0x43600000
	s_branch .LBB52_57
.LBB52_52:                              ;   in Loop: Header=BB52_57 Depth=1
	s_or_b32 exec_lo, exec_lo, s17
.LBB52_53:                              ;   in Loop: Header=BB52_57 Depth=1
	s_delay_alu instid0(SALU_CYCLE_1)
	s_or_b32 exec_lo, exec_lo, s15
	v_lshlrev_b32_e32 v6, 16, v5
	v_lshlrev_b64 v[4:5], 2, v[0:1]
	v_lshlrev_b32_e32 v8, 8, v8
	s_add_i32 s15, s27, s27
	v_and_b32_e32 v7, 0xff, v7
	v_add3_u32 v0, s15, s27, v2
	v_perm_b32 v6, v3, v6, 0x4020c0c
	v_and_b32_e32 v8, 0xff00, v8
	v_add_co_u32 v2, vcc_lo, s2, v4
	v_add_co_ci_u32_e32 v3, vcc_lo, s3, v5, vcc_lo
	v_cmp_le_u32_e32 vcc_lo, s8, v0
	s_delay_alu instid0(VALU_DEP_4)
	v_or3_b32 v4, v6, v8, v7
	s_or_not1_b32 s15, vcc_lo, exec_lo
	global_store_b32 v[2:3], v4, off
.LBB52_54:                              ;   in Loop: Header=BB52_57 Depth=1
	s_or_b32 exec_lo, exec_lo, s13
	s_delay_alu instid0(SALU_CYCLE_1)
	s_or_not1_b32 s13, s15, exec_lo
.LBB52_55:                              ;   in Loop: Header=BB52_57 Depth=1
	s_or_b32 exec_lo, exec_lo, s12
	s_delay_alu instid0(SALU_CYCLE_1)
	s_or_not1_b32 s12, s13, exec_lo
.LBB52_56:                              ;   in Loop: Header=BB52_57 Depth=1
	s_or_b32 exec_lo, exec_lo, s9
	s_delay_alu instid0(SALU_CYCLE_1) | instskip(NEXT) | instid1(SALU_CYCLE_1)
	s_and_b32 s9, exec_lo, s12
	s_or_b32 s6, s9, s6
	s_delay_alu instid0(SALU_CYCLE_1)
	s_and_not1_b32 exec_lo, exec_lo, s6
	s_cbranch_execz .LBB52_187
.LBB52_57:                              ; =>This Inner Loop Header: Depth=1
	v_lshlrev_b64 v[2:3], 3, v[0:1]
	v_lshrrev_b32_e32 v8, 3, v0
	s_mov_b32 s9, exec_lo
	s_delay_alu instid0(VALU_DEP_2) | instskip(NEXT) | instid1(VALU_DEP_3)
	v_add_co_u32 v4, vcc_lo, s14, v2
	v_add_co_ci_u32_e32 v5, vcc_lo, s26, v3, vcc_lo
	v_add_co_u32 v6, vcc_lo, s10, v2
	v_add_co_ci_u32_e32 v7, vcc_lo, s11, v3, vcc_lo
	global_load_b64 v[2:3], v[4:5], off
	global_load_b64 v[4:5], v[6:7], off
	v_and_b32_e32 v6, 0x7fffffc, v8
	global_load_b32 v8, v6, s[0:1]
	s_waitcnt vmcnt(2)
	v_fma_mixlo_f16 v6, v28, v2, 0 op_sel_hi:[0,1,0]
	s_waitcnt vmcnt(1)
	s_delay_alu instid0(VALU_DEP_1) | instskip(NEXT) | instid1(VALU_DEP_1)
	v_mul_f16_e32 v6, v4, v6
	v_cvt_f32_f16_e32 v6, v6
	s_waitcnt vmcnt(0)
	s_delay_alu instid0(VALU_DEP_1) | instskip(SKIP_1) | instid1(VALU_DEP_2)
	v_div_scale_f32 v7, null, v8, v8, v6
	v_div_scale_f32 v11, vcc_lo, v6, v8, v6
	v_rcp_f32_e32 v9, v7
	s_waitcnt_depctr 0xfff
	v_fma_f32 v10, -v7, v9, 1.0
	s_delay_alu instid0(VALU_DEP_1) | instskip(NEXT) | instid1(VALU_DEP_1)
	v_fmac_f32_e32 v9, v10, v9
	v_mul_f32_e32 v10, v11, v9
	s_delay_alu instid0(VALU_DEP_1) | instskip(NEXT) | instid1(VALU_DEP_1)
	v_fma_f32 v12, -v7, v10, v11
	v_fmac_f32_e32 v10, v12, v9
	s_delay_alu instid0(VALU_DEP_1) | instskip(NEXT) | instid1(VALU_DEP_1)
	v_fma_f32 v7, -v7, v10, v11
	v_div_fmas_f32 v7, v7, v9, v10
	s_delay_alu instid0(VALU_DEP_1) | instskip(SKIP_1) | instid1(VALU_DEP_2)
	v_div_fixup_f32 v6, v7, v8, v6
	v_mov_b32_e32 v7, 0x80
	v_minmax_f32 v9, v6, s7, 0xc3600000
	v_mov_b32_e32 v6, 0x80
	s_delay_alu instid0(VALU_DEP_2) | instskip(NEXT) | instid1(VALU_DEP_1)
	v_and_b32_e32 v10, 0x7fffffff, v9
	v_cmpx_gt_u32_e32 0x43800000, v10
	s_cbranch_execz .LBB52_63
; %bb.58:                               ;   in Loop: Header=BB52_57 Depth=1
	v_cmp_lt_u32_e32 vcc_lo, 0x3bffffff, v10
	s_mov_b32 s12, 0
                                        ; implicit-def: $vgpr10
	s_and_saveexec_b32 s13, vcc_lo
	s_delay_alu instid0(SALU_CYCLE_1)
	s_xor_b32 s13, exec_lo, s13
	s_cbranch_execnz .LBB52_154
; %bb.59:                               ;   in Loop: Header=BB52_57 Depth=1
	s_or_saveexec_b32 s13, s13
                                        ; implicit-def: $sgpr15
	s_delay_alu instid0(SALU_CYCLE_1)
	s_xor_b32 exec_lo, exec_lo, s13
	s_cbranch_execnz .LBB52_155
.LBB52_60:                              ;   in Loop: Header=BB52_57 Depth=1
	s_or_b32 exec_lo, exec_lo, s13
	v_mov_b32_e32 v7, s15
	s_and_saveexec_b32 s13, s12
.LBB52_61:                              ;   in Loop: Header=BB52_57 Depth=1
	v_lshrrev_b32_e32 v7, 24, v9
	s_delay_alu instid0(VALU_DEP_1)
	v_and_or_b32 v7, 0x80, v7, v10
.LBB52_62:                              ;   in Loop: Header=BB52_57 Depth=1
	s_or_b32 exec_lo, exec_lo, s13
.LBB52_63:                              ;   in Loop: Header=BB52_57 Depth=1
	s_delay_alu instid0(SALU_CYCLE_1) | instskip(SKIP_3) | instid1(VALU_DEP_1)
	s_or_b32 exec_lo, exec_lo, s9
	v_lshrrev_b32_e32 v4, 16, v4
	v_fma_mixlo_f16 v2, v28, v2, 0 op_sel:[0,1,0] op_sel_hi:[0,1,0]
	s_mov_b32 s9, exec_lo
	v_mul_f16_e32 v2, v4, v2
	s_delay_alu instid0(VALU_DEP_1) | instskip(NEXT) | instid1(VALU_DEP_1)
	v_cvt_f32_f16_e32 v2, v2
	v_div_scale_f32 v4, null, v8, v8, v2
	s_delay_alu instid0(VALU_DEP_1) | instskip(SKIP_2) | instid1(VALU_DEP_1)
	v_rcp_f32_e32 v9, v4
	s_waitcnt_depctr 0xfff
	v_fma_f32 v10, -v4, v9, 1.0
	v_fmac_f32_e32 v9, v10, v9
	v_div_scale_f32 v10, vcc_lo, v2, v8, v2
	s_delay_alu instid0(VALU_DEP_1) | instskip(NEXT) | instid1(VALU_DEP_1)
	v_mul_f32_e32 v11, v10, v9
	v_fma_f32 v12, -v4, v11, v10
	s_delay_alu instid0(VALU_DEP_1) | instskip(NEXT) | instid1(VALU_DEP_1)
	v_fmac_f32_e32 v11, v12, v9
	v_fma_f32 v4, -v4, v11, v10
	s_delay_alu instid0(VALU_DEP_1) | instskip(NEXT) | instid1(VALU_DEP_1)
	v_div_fmas_f32 v4, v4, v9, v11
	v_div_fixup_f32 v2, v4, v8, v2
	s_delay_alu instid0(VALU_DEP_1) | instskip(NEXT) | instid1(VALU_DEP_1)
	v_minmax_f32 v2, v2, s7, 0xc3600000
	v_and_b32_e32 v4, 0x7fffffff, v2
	s_delay_alu instid0(VALU_DEP_1)
	v_cmpx_gt_u32_e32 0x43800000, v4
	s_cbranch_execz .LBB52_69
; %bb.64:                               ;   in Loop: Header=BB52_57 Depth=1
	v_cmp_lt_u32_e32 vcc_lo, 0x3bffffff, v4
	s_mov_b32 s12, 0
                                        ; implicit-def: $vgpr4
	s_and_saveexec_b32 s13, vcc_lo
	s_delay_alu instid0(SALU_CYCLE_1)
	s_xor_b32 s13, exec_lo, s13
	s_cbranch_execnz .LBB52_156
; %bb.65:                               ;   in Loop: Header=BB52_57 Depth=1
	s_or_saveexec_b32 s13, s13
                                        ; implicit-def: $sgpr15
	s_delay_alu instid0(SALU_CYCLE_1)
	s_xor_b32 exec_lo, exec_lo, s13
	s_cbranch_execnz .LBB52_157
.LBB52_66:                              ;   in Loop: Header=BB52_57 Depth=1
	s_or_b32 exec_lo, exec_lo, s13
	v_mov_b32_e32 v6, s15
	s_and_saveexec_b32 s13, s12
.LBB52_67:                              ;   in Loop: Header=BB52_57 Depth=1
	v_lshrrev_b32_e32 v2, 24, v2
	s_delay_alu instid0(VALU_DEP_1)
	v_and_or_b32 v6, 0x80, v2, v4
.LBB52_68:                              ;   in Loop: Header=BB52_57 Depth=1
	s_or_b32 exec_lo, exec_lo, s13
.LBB52_69:                              ;   in Loop: Header=BB52_57 Depth=1
	s_delay_alu instid0(SALU_CYCLE_1) | instskip(SKIP_2) | instid1(VALU_DEP_1)
	s_or_b32 exec_lo, exec_lo, s9
	v_fma_mixlo_f16 v2, v28, v3, 0 op_sel_hi:[0,1,0]
	s_mov_b32 s9, exec_lo
	v_mul_f16_e32 v2, v5, v2
	s_delay_alu instid0(VALU_DEP_1) | instskip(NEXT) | instid1(VALU_DEP_1)
	v_cvt_f32_f16_e32 v2, v2
	v_div_scale_f32 v4, null, v8, v8, v2
	v_div_scale_f32 v11, vcc_lo, v2, v8, v2
	s_delay_alu instid0(VALU_DEP_2) | instskip(SKIP_2) | instid1(VALU_DEP_1)
	v_rcp_f32_e32 v9, v4
	s_waitcnt_depctr 0xfff
	v_fma_f32 v10, -v4, v9, 1.0
	v_fmac_f32_e32 v9, v10, v9
	s_delay_alu instid0(VALU_DEP_1) | instskip(NEXT) | instid1(VALU_DEP_1)
	v_mul_f32_e32 v10, v11, v9
	v_fma_f32 v12, -v4, v10, v11
	s_delay_alu instid0(VALU_DEP_1) | instskip(NEXT) | instid1(VALU_DEP_1)
	v_fmac_f32_e32 v10, v12, v9
	v_fma_f32 v4, -v4, v10, v11
	s_delay_alu instid0(VALU_DEP_1) | instskip(NEXT) | instid1(VALU_DEP_1)
	v_div_fmas_f32 v4, v4, v9, v10
	v_div_fixup_f32 v2, v4, v8, v2
	v_mov_b32_e32 v4, 0x80
	s_delay_alu instid0(VALU_DEP_2) | instskip(SKIP_1) | instid1(VALU_DEP_2)
	v_minmax_f32 v9, v2, s7, 0xc3600000
	v_mov_b32_e32 v2, 0x80
	v_and_b32_e32 v10, 0x7fffffff, v9
	s_delay_alu instid0(VALU_DEP_1)
	v_cmpx_gt_u32_e32 0x43800000, v10
	s_cbranch_execz .LBB52_75
; %bb.70:                               ;   in Loop: Header=BB52_57 Depth=1
	v_cmp_lt_u32_e32 vcc_lo, 0x3bffffff, v10
	s_mov_b32 s12, 0
                                        ; implicit-def: $vgpr10
	s_and_saveexec_b32 s13, vcc_lo
	s_delay_alu instid0(SALU_CYCLE_1)
	s_xor_b32 s13, exec_lo, s13
	s_cbranch_execnz .LBB52_158
; %bb.71:                               ;   in Loop: Header=BB52_57 Depth=1
	s_or_saveexec_b32 s13, s13
                                        ; implicit-def: $sgpr15
	s_delay_alu instid0(SALU_CYCLE_1)
	s_xor_b32 exec_lo, exec_lo, s13
	s_cbranch_execnz .LBB52_159
.LBB52_72:                              ;   in Loop: Header=BB52_57 Depth=1
	s_or_b32 exec_lo, exec_lo, s13
	v_mov_b32_e32 v4, s15
	s_and_saveexec_b32 s13, s12
.LBB52_73:                              ;   in Loop: Header=BB52_57 Depth=1
	v_lshrrev_b32_e32 v4, 24, v9
	s_delay_alu instid0(VALU_DEP_1)
	v_and_or_b32 v4, 0x80, v4, v10
.LBB52_74:                              ;   in Loop: Header=BB52_57 Depth=1
	s_or_b32 exec_lo, exec_lo, s13
.LBB52_75:                              ;   in Loop: Header=BB52_57 Depth=1
	s_delay_alu instid0(SALU_CYCLE_1) | instskip(SKIP_3) | instid1(VALU_DEP_1)
	s_or_b32 exec_lo, exec_lo, s9
	v_lshrrev_b32_e32 v5, 16, v5
	v_fma_mixlo_f16 v3, v28, v3, 0 op_sel:[0,1,0] op_sel_hi:[0,1,0]
	s_mov_b32 s9, exec_lo
	v_mul_f16_e32 v3, v5, v3
	s_delay_alu instid0(VALU_DEP_1) | instskip(NEXT) | instid1(VALU_DEP_1)
	v_cvt_f32_f16_e32 v3, v3
	v_div_scale_f32 v5, null, v8, v8, v3
	s_delay_alu instid0(VALU_DEP_1) | instskip(SKIP_2) | instid1(VALU_DEP_1)
	v_rcp_f32_e32 v9, v5
	s_waitcnt_depctr 0xfff
	v_fma_f32 v10, -v5, v9, 1.0
	v_fmac_f32_e32 v9, v10, v9
	v_div_scale_f32 v10, vcc_lo, v3, v8, v3
	s_delay_alu instid0(VALU_DEP_1) | instskip(NEXT) | instid1(VALU_DEP_1)
	v_mul_f32_e32 v11, v10, v9
	v_fma_f32 v12, -v5, v11, v10
	s_delay_alu instid0(VALU_DEP_1) | instskip(NEXT) | instid1(VALU_DEP_1)
	v_fmac_f32_e32 v11, v12, v9
	v_fma_f32 v5, -v5, v11, v10
	s_delay_alu instid0(VALU_DEP_1) | instskip(NEXT) | instid1(VALU_DEP_1)
	v_div_fmas_f32 v5, v5, v9, v11
	v_div_fixup_f32 v3, v5, v8, v3
	s_delay_alu instid0(VALU_DEP_1) | instskip(NEXT) | instid1(VALU_DEP_1)
	v_minmax_f32 v3, v3, s7, 0xc3600000
	v_and_b32_e32 v5, 0x7fffffff, v3
	s_delay_alu instid0(VALU_DEP_1)
	v_cmpx_gt_u32_e32 0x43800000, v5
	s_cbranch_execz .LBB52_81
; %bb.76:                               ;   in Loop: Header=BB52_57 Depth=1
	v_cmp_lt_u32_e32 vcc_lo, 0x3bffffff, v5
	s_mov_b32 s12, 0
                                        ; implicit-def: $vgpr5
	s_and_saveexec_b32 s13, vcc_lo
	s_delay_alu instid0(SALU_CYCLE_1)
	s_xor_b32 s13, exec_lo, s13
	s_cbranch_execnz .LBB52_160
; %bb.77:                               ;   in Loop: Header=BB52_57 Depth=1
	s_or_saveexec_b32 s13, s13
                                        ; implicit-def: $sgpr15
	s_delay_alu instid0(SALU_CYCLE_1)
	s_xor_b32 exec_lo, exec_lo, s13
	s_cbranch_execnz .LBB52_161
.LBB52_78:                              ;   in Loop: Header=BB52_57 Depth=1
	s_or_b32 exec_lo, exec_lo, s13
	v_mov_b32_e32 v2, s15
	s_and_saveexec_b32 s13, s12
.LBB52_79:                              ;   in Loop: Header=BB52_57 Depth=1
	v_lshrrev_b32_e32 v2, 24, v3
	s_delay_alu instid0(VALU_DEP_1)
	v_and_or_b32 v2, 0x80, v2, v5
.LBB52_80:                              ;   in Loop: Header=BB52_57 Depth=1
	s_or_b32 exec_lo, exec_lo, s13
.LBB52_81:                              ;   in Loop: Header=BB52_57 Depth=1
	s_delay_alu instid0(SALU_CYCLE_1)
	s_or_b32 exec_lo, exec_lo, s9
	v_lshlrev_b32_e32 v5, 16, v4
	v_lshlrev_b32_e32 v6, 8, v6
	v_lshlrev_b64 v[3:4], 2, v[0:1]
	v_and_b32_e32 v7, 0xff, v7
	s_mov_b32 s12, -1
	v_perm_b32 v5, v2, v5, 0x4020c0c
	v_and_b32_e32 v6, 0xff00, v6
	v_add_nc_u32_e32 v2, s27, v0
	v_add_co_u32 v3, vcc_lo, s2, v3
	v_add_co_ci_u32_e32 v4, vcc_lo, s3, v4, vcc_lo
	s_delay_alu instid0(VALU_DEP_4)
	v_or3_b32 v5, v5, v6, v7
	s_mov_b32 s9, exec_lo
	global_store_b32 v[3:4], v5, off
	v_cmpx_gt_u32_e64 s8, v2
	s_cbranch_execz .LBB52_56
; %bb.82:                               ;   in Loop: Header=BB52_57 Depth=1
	v_lshrrev_b32_e32 v10, 3, v2
	v_mov_b32_e32 v3, v1
	s_mov_b32 s12, exec_lo
	s_delay_alu instid0(VALU_DEP_1) | instskip(NEXT) | instid1(VALU_DEP_1)
	v_lshlrev_b64 v[4:5], 3, v[2:3]
	v_add_co_u32 v6, vcc_lo, s14, v4
	s_delay_alu instid0(VALU_DEP_2)
	v_add_co_ci_u32_e32 v7, vcc_lo, s26, v5, vcc_lo
	v_add_co_u32 v8, vcc_lo, s10, v4
	v_add_co_ci_u32_e32 v9, vcc_lo, s11, v5, vcc_lo
	global_load_b64 v[4:5], v[6:7], off
	global_load_b64 v[6:7], v[8:9], off
	v_and_b32_e32 v8, 0x7fffffc, v10
	global_load_b32 v10, v8, s[0:1]
	s_waitcnt vmcnt(2)
	v_fma_mixlo_f16 v8, v28, v4, 0 op_sel_hi:[0,1,0]
	s_waitcnt vmcnt(1)
	s_delay_alu instid0(VALU_DEP_1) | instskip(NEXT) | instid1(VALU_DEP_1)
	v_mul_f16_e32 v8, v6, v8
	v_cvt_f32_f16_e32 v8, v8
	s_waitcnt vmcnt(0)
	s_delay_alu instid0(VALU_DEP_1) | instskip(SKIP_1) | instid1(VALU_DEP_2)
	v_div_scale_f32 v9, null, v10, v10, v8
	v_div_scale_f32 v13, vcc_lo, v8, v10, v8
	v_rcp_f32_e32 v11, v9
	s_waitcnt_depctr 0xfff
	v_fma_f32 v12, -v9, v11, 1.0
	s_delay_alu instid0(VALU_DEP_1) | instskip(NEXT) | instid1(VALU_DEP_1)
	v_fmac_f32_e32 v11, v12, v11
	v_mul_f32_e32 v12, v13, v11
	s_delay_alu instid0(VALU_DEP_1) | instskip(NEXT) | instid1(VALU_DEP_1)
	v_fma_f32 v14, -v9, v12, v13
	v_fmac_f32_e32 v12, v14, v11
	s_delay_alu instid0(VALU_DEP_1) | instskip(NEXT) | instid1(VALU_DEP_1)
	v_fma_f32 v9, -v9, v12, v13
	v_div_fmas_f32 v9, v9, v11, v12
	s_delay_alu instid0(VALU_DEP_1) | instskip(SKIP_1) | instid1(VALU_DEP_2)
	v_div_fixup_f32 v8, v9, v10, v8
	v_mov_b32_e32 v9, 0x80
	v_minmax_f32 v11, v8, s7, 0xc3600000
	v_mov_b32_e32 v8, 0x80
	s_delay_alu instid0(VALU_DEP_2) | instskip(NEXT) | instid1(VALU_DEP_1)
	v_and_b32_e32 v12, 0x7fffffff, v11
	v_cmpx_gt_u32_e32 0x43800000, v12
	s_cbranch_execz .LBB52_88
; %bb.83:                               ;   in Loop: Header=BB52_57 Depth=1
	v_cmp_lt_u32_e32 vcc_lo, 0x3bffffff, v12
	s_mov_b32 s13, 0
                                        ; implicit-def: $vgpr12
	s_and_saveexec_b32 s15, vcc_lo
	s_delay_alu instid0(SALU_CYCLE_1)
	s_xor_b32 s15, exec_lo, s15
	s_cbranch_execnz .LBB52_162
; %bb.84:                               ;   in Loop: Header=BB52_57 Depth=1
	s_or_saveexec_b32 s15, s15
                                        ; implicit-def: $sgpr16
	s_delay_alu instid0(SALU_CYCLE_1)
	s_xor_b32 exec_lo, exec_lo, s15
	s_cbranch_execnz .LBB52_163
.LBB52_85:                              ;   in Loop: Header=BB52_57 Depth=1
	s_or_b32 exec_lo, exec_lo, s15
	v_mov_b32_e32 v8, s16
	s_and_saveexec_b32 s15, s13
.LBB52_86:                              ;   in Loop: Header=BB52_57 Depth=1
	v_lshrrev_b32_e32 v8, 24, v11
	s_delay_alu instid0(VALU_DEP_1)
	v_and_or_b32 v8, 0x80, v8, v12
.LBB52_87:                              ;   in Loop: Header=BB52_57 Depth=1
	s_or_b32 exec_lo, exec_lo, s15
.LBB52_88:                              ;   in Loop: Header=BB52_57 Depth=1
	s_delay_alu instid0(SALU_CYCLE_1) | instskip(SKIP_3) | instid1(VALU_DEP_1)
	s_or_b32 exec_lo, exec_lo, s12
	v_lshrrev_b32_e32 v6, 16, v6
	v_fma_mixlo_f16 v4, v28, v4, 0 op_sel:[0,1,0] op_sel_hi:[0,1,0]
	s_mov_b32 s12, exec_lo
	v_mul_f16_e32 v4, v6, v4
	s_delay_alu instid0(VALU_DEP_1) | instskip(NEXT) | instid1(VALU_DEP_1)
	v_cvt_f32_f16_e32 v4, v4
	v_div_scale_f32 v6, null, v10, v10, v4
	s_delay_alu instid0(VALU_DEP_1) | instskip(SKIP_2) | instid1(VALU_DEP_1)
	v_rcp_f32_e32 v11, v6
	s_waitcnt_depctr 0xfff
	v_fma_f32 v12, -v6, v11, 1.0
	v_fmac_f32_e32 v11, v12, v11
	v_div_scale_f32 v12, vcc_lo, v4, v10, v4
	s_delay_alu instid0(VALU_DEP_1) | instskip(NEXT) | instid1(VALU_DEP_1)
	v_mul_f32_e32 v13, v12, v11
	v_fma_f32 v14, -v6, v13, v12
	s_delay_alu instid0(VALU_DEP_1) | instskip(NEXT) | instid1(VALU_DEP_1)
	v_fmac_f32_e32 v13, v14, v11
	v_fma_f32 v6, -v6, v13, v12
	s_delay_alu instid0(VALU_DEP_1) | instskip(NEXT) | instid1(VALU_DEP_1)
	v_div_fmas_f32 v6, v6, v11, v13
	v_div_fixup_f32 v4, v6, v10, v4
	s_delay_alu instid0(VALU_DEP_1) | instskip(NEXT) | instid1(VALU_DEP_1)
	v_minmax_f32 v4, v4, s7, 0xc3600000
	v_and_b32_e32 v6, 0x7fffffff, v4
	s_delay_alu instid0(VALU_DEP_1)
	v_cmpx_gt_u32_e32 0x43800000, v6
	s_cbranch_execz .LBB52_94
; %bb.89:                               ;   in Loop: Header=BB52_57 Depth=1
	v_cmp_lt_u32_e32 vcc_lo, 0x3bffffff, v6
	s_mov_b32 s13, 0
                                        ; implicit-def: $vgpr6
	s_and_saveexec_b32 s15, vcc_lo
	s_delay_alu instid0(SALU_CYCLE_1)
	s_xor_b32 s15, exec_lo, s15
	s_cbranch_execnz .LBB52_164
; %bb.90:                               ;   in Loop: Header=BB52_57 Depth=1
	s_or_saveexec_b32 s15, s15
                                        ; implicit-def: $sgpr16
	s_delay_alu instid0(SALU_CYCLE_1)
	s_xor_b32 exec_lo, exec_lo, s15
	s_cbranch_execnz .LBB52_165
.LBB52_91:                              ;   in Loop: Header=BB52_57 Depth=1
	s_or_b32 exec_lo, exec_lo, s15
	v_mov_b32_e32 v9, s16
	s_and_saveexec_b32 s15, s13
.LBB52_92:                              ;   in Loop: Header=BB52_57 Depth=1
	v_lshrrev_b32_e32 v4, 24, v4
	s_delay_alu instid0(VALU_DEP_1)
	v_and_or_b32 v9, 0x80, v4, v6
.LBB52_93:                              ;   in Loop: Header=BB52_57 Depth=1
	s_or_b32 exec_lo, exec_lo, s15
.LBB52_94:                              ;   in Loop: Header=BB52_57 Depth=1
	s_delay_alu instid0(SALU_CYCLE_1) | instskip(SKIP_2) | instid1(VALU_DEP_1)
	s_or_b32 exec_lo, exec_lo, s12
	v_fma_mixlo_f16 v4, v28, v5, 0 op_sel_hi:[0,1,0]
	s_mov_b32 s12, exec_lo
	v_mul_f16_e32 v4, v7, v4
	s_delay_alu instid0(VALU_DEP_1) | instskip(NEXT) | instid1(VALU_DEP_1)
	v_cvt_f32_f16_e32 v4, v4
	v_div_scale_f32 v6, null, v10, v10, v4
	v_div_scale_f32 v13, vcc_lo, v4, v10, v4
	s_delay_alu instid0(VALU_DEP_2) | instskip(SKIP_2) | instid1(VALU_DEP_1)
	v_rcp_f32_e32 v11, v6
	s_waitcnt_depctr 0xfff
	v_fma_f32 v12, -v6, v11, 1.0
	v_fmac_f32_e32 v11, v12, v11
	s_delay_alu instid0(VALU_DEP_1) | instskip(NEXT) | instid1(VALU_DEP_1)
	v_mul_f32_e32 v12, v13, v11
	v_fma_f32 v14, -v6, v12, v13
	s_delay_alu instid0(VALU_DEP_1) | instskip(NEXT) | instid1(VALU_DEP_1)
	v_fmac_f32_e32 v12, v14, v11
	v_fma_f32 v6, -v6, v12, v13
	s_delay_alu instid0(VALU_DEP_1) | instskip(NEXT) | instid1(VALU_DEP_1)
	v_div_fmas_f32 v6, v6, v11, v12
	v_div_fixup_f32 v4, v6, v10, v4
	v_mov_b32_e32 v6, 0x80
	s_delay_alu instid0(VALU_DEP_2) | instskip(SKIP_1) | instid1(VALU_DEP_2)
	v_minmax_f32 v11, v4, s7, 0xc3600000
	v_mov_b32_e32 v4, 0x80
	v_and_b32_e32 v12, 0x7fffffff, v11
	s_delay_alu instid0(VALU_DEP_1)
	v_cmpx_gt_u32_e32 0x43800000, v12
	s_cbranch_execz .LBB52_100
; %bb.95:                               ;   in Loop: Header=BB52_57 Depth=1
	v_cmp_lt_u32_e32 vcc_lo, 0x3bffffff, v12
	s_mov_b32 s13, 0
                                        ; implicit-def: $vgpr12
	s_and_saveexec_b32 s15, vcc_lo
	s_delay_alu instid0(SALU_CYCLE_1)
	s_xor_b32 s15, exec_lo, s15
	s_cbranch_execnz .LBB52_166
; %bb.96:                               ;   in Loop: Header=BB52_57 Depth=1
	s_or_saveexec_b32 s15, s15
                                        ; implicit-def: $sgpr16
	s_delay_alu instid0(SALU_CYCLE_1)
	s_xor_b32 exec_lo, exec_lo, s15
	s_cbranch_execnz .LBB52_167
.LBB52_97:                              ;   in Loop: Header=BB52_57 Depth=1
	s_or_b32 exec_lo, exec_lo, s15
	v_mov_b32_e32 v6, s16
	s_and_saveexec_b32 s15, s13
.LBB52_98:                              ;   in Loop: Header=BB52_57 Depth=1
	v_lshrrev_b32_e32 v6, 24, v11
	s_delay_alu instid0(VALU_DEP_1)
	v_and_or_b32 v6, 0x80, v6, v12
.LBB52_99:                              ;   in Loop: Header=BB52_57 Depth=1
	s_or_b32 exec_lo, exec_lo, s15
.LBB52_100:                             ;   in Loop: Header=BB52_57 Depth=1
	s_delay_alu instid0(SALU_CYCLE_1) | instskip(SKIP_3) | instid1(VALU_DEP_1)
	s_or_b32 exec_lo, exec_lo, s12
	v_lshrrev_b32_e32 v7, 16, v7
	v_fma_mixlo_f16 v5, v28, v5, 0 op_sel:[0,1,0] op_sel_hi:[0,1,0]
	s_mov_b32 s12, exec_lo
	v_mul_f16_e32 v5, v7, v5
	s_delay_alu instid0(VALU_DEP_1) | instskip(NEXT) | instid1(VALU_DEP_1)
	v_cvt_f32_f16_e32 v5, v5
	v_div_scale_f32 v7, null, v10, v10, v5
	s_delay_alu instid0(VALU_DEP_1) | instskip(SKIP_2) | instid1(VALU_DEP_1)
	v_rcp_f32_e32 v11, v7
	s_waitcnt_depctr 0xfff
	v_fma_f32 v12, -v7, v11, 1.0
	v_fmac_f32_e32 v11, v12, v11
	v_div_scale_f32 v12, vcc_lo, v5, v10, v5
	s_delay_alu instid0(VALU_DEP_1) | instskip(NEXT) | instid1(VALU_DEP_1)
	v_mul_f32_e32 v13, v12, v11
	v_fma_f32 v14, -v7, v13, v12
	s_delay_alu instid0(VALU_DEP_1) | instskip(NEXT) | instid1(VALU_DEP_1)
	v_fmac_f32_e32 v13, v14, v11
	v_fma_f32 v7, -v7, v13, v12
	s_delay_alu instid0(VALU_DEP_1) | instskip(NEXT) | instid1(VALU_DEP_1)
	v_div_fmas_f32 v7, v7, v11, v13
	v_div_fixup_f32 v5, v7, v10, v5
	s_delay_alu instid0(VALU_DEP_1) | instskip(NEXT) | instid1(VALU_DEP_1)
	v_minmax_f32 v5, v5, s7, 0xc3600000
	v_and_b32_e32 v7, 0x7fffffff, v5
	s_delay_alu instid0(VALU_DEP_1)
	v_cmpx_gt_u32_e32 0x43800000, v7
	s_cbranch_execz .LBB52_106
; %bb.101:                              ;   in Loop: Header=BB52_57 Depth=1
	v_cmp_lt_u32_e32 vcc_lo, 0x3bffffff, v7
	s_mov_b32 s13, 0
                                        ; implicit-def: $vgpr7
	s_and_saveexec_b32 s15, vcc_lo
	s_delay_alu instid0(SALU_CYCLE_1)
	s_xor_b32 s15, exec_lo, s15
	s_cbranch_execnz .LBB52_168
; %bb.102:                              ;   in Loop: Header=BB52_57 Depth=1
	s_or_saveexec_b32 s15, s15
                                        ; implicit-def: $sgpr16
	s_delay_alu instid0(SALU_CYCLE_1)
	s_xor_b32 exec_lo, exec_lo, s15
	s_cbranch_execnz .LBB52_169
.LBB52_103:                             ;   in Loop: Header=BB52_57 Depth=1
	s_or_b32 exec_lo, exec_lo, s15
	v_mov_b32_e32 v4, s16
	s_and_saveexec_b32 s15, s13
.LBB52_104:                             ;   in Loop: Header=BB52_57 Depth=1
	v_lshrrev_b32_e32 v4, 24, v5
	s_delay_alu instid0(VALU_DEP_1)
	v_and_or_b32 v4, 0x80, v4, v7
.LBB52_105:                             ;   in Loop: Header=BB52_57 Depth=1
	s_or_b32 exec_lo, exec_lo, s15
.LBB52_106:                             ;   in Loop: Header=BB52_57 Depth=1
	s_delay_alu instid0(SALU_CYCLE_1)
	s_or_b32 exec_lo, exec_lo, s12
	v_lshlrev_b32_e32 v7, 16, v6
	v_lshlrev_b32_e32 v9, 8, v9
	v_lshlrev_b64 v[5:6], 2, v[2:3]
	v_and_b32_e32 v8, 0xff, v8
	v_add_nc_u32_e32 v3, s5, v0
	v_perm_b32 v7, v4, v7, 0x4020c0c
	v_and_b32_e32 v9, 0xff00, v9
	s_mov_b32 s13, -1
	v_add_co_u32 v4, vcc_lo, s2, v5
	v_add_co_ci_u32_e32 v5, vcc_lo, s3, v6, vcc_lo
	s_delay_alu instid0(VALU_DEP_3)
	v_or3_b32 v6, v7, v9, v8
	s_mov_b32 s12, exec_lo
	global_store_b32 v[4:5], v6, off
	v_cmpx_gt_u32_e64 s8, v3
	s_cbranch_execz .LBB52_55
; %bb.107:                              ;   in Loop: Header=BB52_57 Depth=1
	v_lshrrev_b32_e32 v11, 3, v3
	v_mov_b32_e32 v4, v1
	s_mov_b32 s13, exec_lo
	s_delay_alu instid0(VALU_DEP_1) | instskip(NEXT) | instid1(VALU_DEP_1)
	v_lshlrev_b64 v[5:6], 3, v[3:4]
	v_add_co_u32 v7, vcc_lo, s14, v5
	s_delay_alu instid0(VALU_DEP_2)
	v_add_co_ci_u32_e32 v8, vcc_lo, s26, v6, vcc_lo
	v_add_co_u32 v9, vcc_lo, s10, v5
	v_add_co_ci_u32_e32 v10, vcc_lo, s11, v6, vcc_lo
	global_load_b64 v[5:6], v[7:8], off
	global_load_b64 v[7:8], v[9:10], off
	v_and_b32_e32 v9, 0x7fffffc, v11
	global_load_b32 v11, v9, s[0:1]
	s_waitcnt vmcnt(2)
	v_fma_mixlo_f16 v9, v28, v5, 0 op_sel_hi:[0,1,0]
	s_waitcnt vmcnt(1)
	s_delay_alu instid0(VALU_DEP_1) | instskip(NEXT) | instid1(VALU_DEP_1)
	v_mul_f16_e32 v9, v7, v9
	v_cvt_f32_f16_e32 v9, v9
	s_waitcnt vmcnt(0)
	s_delay_alu instid0(VALU_DEP_1) | instskip(SKIP_1) | instid1(VALU_DEP_2)
	v_div_scale_f32 v10, null, v11, v11, v9
	v_div_scale_f32 v14, vcc_lo, v9, v11, v9
	v_rcp_f32_e32 v12, v10
	s_waitcnt_depctr 0xfff
	v_fma_f32 v13, -v10, v12, 1.0
	s_delay_alu instid0(VALU_DEP_1) | instskip(NEXT) | instid1(VALU_DEP_1)
	v_fmac_f32_e32 v12, v13, v12
	v_mul_f32_e32 v13, v14, v12
	s_delay_alu instid0(VALU_DEP_1) | instskip(NEXT) | instid1(VALU_DEP_1)
	v_fma_f32 v15, -v10, v13, v14
	v_fmac_f32_e32 v13, v15, v12
	s_delay_alu instid0(VALU_DEP_1) | instskip(NEXT) | instid1(VALU_DEP_1)
	v_fma_f32 v10, -v10, v13, v14
	v_div_fmas_f32 v10, v10, v12, v13
	s_delay_alu instid0(VALU_DEP_1) | instskip(SKIP_1) | instid1(VALU_DEP_2)
	v_div_fixup_f32 v9, v10, v11, v9
	v_mov_b32_e32 v10, 0x80
	v_minmax_f32 v12, v9, s7, 0xc3600000
	v_mov_b32_e32 v9, 0x80
	s_delay_alu instid0(VALU_DEP_2) | instskip(NEXT) | instid1(VALU_DEP_1)
	v_and_b32_e32 v13, 0x7fffffff, v12
	v_cmpx_gt_u32_e32 0x43800000, v13
	s_cbranch_execz .LBB52_113
; %bb.108:                              ;   in Loop: Header=BB52_57 Depth=1
	v_cmp_lt_u32_e32 vcc_lo, 0x3bffffff, v13
	s_mov_b32 s15, 0
                                        ; implicit-def: $vgpr13
	s_and_saveexec_b32 s16, vcc_lo
	s_delay_alu instid0(SALU_CYCLE_1)
	s_xor_b32 s16, exec_lo, s16
	s_cbranch_execnz .LBB52_170
; %bb.109:                              ;   in Loop: Header=BB52_57 Depth=1
	s_or_saveexec_b32 s16, s16
                                        ; implicit-def: $sgpr17
	s_delay_alu instid0(SALU_CYCLE_1)
	s_xor_b32 exec_lo, exec_lo, s16
	s_cbranch_execnz .LBB52_171
.LBB52_110:                             ;   in Loop: Header=BB52_57 Depth=1
	s_or_b32 exec_lo, exec_lo, s16
	v_mov_b32_e32 v9, s17
	s_and_saveexec_b32 s16, s15
.LBB52_111:                             ;   in Loop: Header=BB52_57 Depth=1
	v_lshrrev_b32_e32 v9, 24, v12
	s_delay_alu instid0(VALU_DEP_1)
	v_and_or_b32 v9, 0x80, v9, v13
.LBB52_112:                             ;   in Loop: Header=BB52_57 Depth=1
	s_or_b32 exec_lo, exec_lo, s16
.LBB52_113:                             ;   in Loop: Header=BB52_57 Depth=1
	s_delay_alu instid0(SALU_CYCLE_1) | instskip(SKIP_3) | instid1(VALU_DEP_1)
	s_or_b32 exec_lo, exec_lo, s13
	v_lshrrev_b32_e32 v7, 16, v7
	v_fma_mixlo_f16 v5, v28, v5, 0 op_sel:[0,1,0] op_sel_hi:[0,1,0]
	s_mov_b32 s13, exec_lo
	v_mul_f16_e32 v5, v7, v5
	s_delay_alu instid0(VALU_DEP_1) | instskip(NEXT) | instid1(VALU_DEP_1)
	v_cvt_f32_f16_e32 v5, v5
	v_div_scale_f32 v7, null, v11, v11, v5
	s_delay_alu instid0(VALU_DEP_1) | instskip(SKIP_2) | instid1(VALU_DEP_1)
	v_rcp_f32_e32 v12, v7
	s_waitcnt_depctr 0xfff
	v_fma_f32 v13, -v7, v12, 1.0
	v_fmac_f32_e32 v12, v13, v12
	v_div_scale_f32 v13, vcc_lo, v5, v11, v5
	s_delay_alu instid0(VALU_DEP_1) | instskip(NEXT) | instid1(VALU_DEP_1)
	v_mul_f32_e32 v14, v13, v12
	v_fma_f32 v15, -v7, v14, v13
	s_delay_alu instid0(VALU_DEP_1) | instskip(NEXT) | instid1(VALU_DEP_1)
	v_fmac_f32_e32 v14, v15, v12
	v_fma_f32 v7, -v7, v14, v13
	s_delay_alu instid0(VALU_DEP_1) | instskip(NEXT) | instid1(VALU_DEP_1)
	v_div_fmas_f32 v7, v7, v12, v14
	v_div_fixup_f32 v5, v7, v11, v5
	s_delay_alu instid0(VALU_DEP_1) | instskip(NEXT) | instid1(VALU_DEP_1)
	v_minmax_f32 v5, v5, s7, 0xc3600000
	v_and_b32_e32 v7, 0x7fffffff, v5
	s_delay_alu instid0(VALU_DEP_1)
	v_cmpx_gt_u32_e32 0x43800000, v7
	s_cbranch_execz .LBB52_119
; %bb.114:                              ;   in Loop: Header=BB52_57 Depth=1
	v_cmp_lt_u32_e32 vcc_lo, 0x3bffffff, v7
	s_mov_b32 s15, 0
                                        ; implicit-def: $vgpr7
	s_and_saveexec_b32 s16, vcc_lo
	s_delay_alu instid0(SALU_CYCLE_1)
	s_xor_b32 s16, exec_lo, s16
	s_cbranch_execnz .LBB52_172
; %bb.115:                              ;   in Loop: Header=BB52_57 Depth=1
	s_or_saveexec_b32 s16, s16
                                        ; implicit-def: $sgpr17
	s_delay_alu instid0(SALU_CYCLE_1)
	s_xor_b32 exec_lo, exec_lo, s16
	s_cbranch_execnz .LBB52_173
.LBB52_116:                             ;   in Loop: Header=BB52_57 Depth=1
	s_or_b32 exec_lo, exec_lo, s16
	v_mov_b32_e32 v10, s17
	s_and_saveexec_b32 s16, s15
.LBB52_117:                             ;   in Loop: Header=BB52_57 Depth=1
	v_lshrrev_b32_e32 v5, 24, v5
	s_delay_alu instid0(VALU_DEP_1)
	v_and_or_b32 v10, 0x80, v5, v7
.LBB52_118:                             ;   in Loop: Header=BB52_57 Depth=1
	s_or_b32 exec_lo, exec_lo, s16
.LBB52_119:                             ;   in Loop: Header=BB52_57 Depth=1
	s_delay_alu instid0(SALU_CYCLE_1) | instskip(SKIP_2) | instid1(VALU_DEP_1)
	s_or_b32 exec_lo, exec_lo, s13
	v_fma_mixlo_f16 v5, v28, v6, 0 op_sel_hi:[0,1,0]
	s_mov_b32 s13, exec_lo
	v_mul_f16_e32 v5, v8, v5
	s_delay_alu instid0(VALU_DEP_1) | instskip(NEXT) | instid1(VALU_DEP_1)
	v_cvt_f32_f16_e32 v5, v5
	v_div_scale_f32 v7, null, v11, v11, v5
	v_div_scale_f32 v14, vcc_lo, v5, v11, v5
	s_delay_alu instid0(VALU_DEP_2) | instskip(SKIP_2) | instid1(VALU_DEP_1)
	v_rcp_f32_e32 v12, v7
	s_waitcnt_depctr 0xfff
	v_fma_f32 v13, -v7, v12, 1.0
	v_fmac_f32_e32 v12, v13, v12
	s_delay_alu instid0(VALU_DEP_1) | instskip(NEXT) | instid1(VALU_DEP_1)
	v_mul_f32_e32 v13, v14, v12
	v_fma_f32 v15, -v7, v13, v14
	s_delay_alu instid0(VALU_DEP_1) | instskip(NEXT) | instid1(VALU_DEP_1)
	v_fmac_f32_e32 v13, v15, v12
	v_fma_f32 v7, -v7, v13, v14
	s_delay_alu instid0(VALU_DEP_1) | instskip(NEXT) | instid1(VALU_DEP_1)
	v_div_fmas_f32 v7, v7, v12, v13
	v_div_fixup_f32 v5, v7, v11, v5
	v_mov_b32_e32 v7, 0x80
	s_delay_alu instid0(VALU_DEP_2) | instskip(SKIP_1) | instid1(VALU_DEP_2)
	v_minmax_f32 v12, v5, s7, 0xc3600000
	v_mov_b32_e32 v5, 0x80
	v_and_b32_e32 v13, 0x7fffffff, v12
	s_delay_alu instid0(VALU_DEP_1)
	v_cmpx_gt_u32_e32 0x43800000, v13
	s_cbranch_execz .LBB52_125
; %bb.120:                              ;   in Loop: Header=BB52_57 Depth=1
	v_cmp_lt_u32_e32 vcc_lo, 0x3bffffff, v13
	s_mov_b32 s15, 0
                                        ; implicit-def: $vgpr13
	s_and_saveexec_b32 s16, vcc_lo
	s_delay_alu instid0(SALU_CYCLE_1)
	s_xor_b32 s16, exec_lo, s16
	s_cbranch_execnz .LBB52_174
; %bb.121:                              ;   in Loop: Header=BB52_57 Depth=1
	s_or_saveexec_b32 s16, s16
                                        ; implicit-def: $sgpr17
	s_delay_alu instid0(SALU_CYCLE_1)
	s_xor_b32 exec_lo, exec_lo, s16
	s_cbranch_execnz .LBB52_175
.LBB52_122:                             ;   in Loop: Header=BB52_57 Depth=1
	s_or_b32 exec_lo, exec_lo, s16
	v_mov_b32_e32 v7, s17
	s_and_saveexec_b32 s16, s15
.LBB52_123:                             ;   in Loop: Header=BB52_57 Depth=1
	v_lshrrev_b32_e32 v7, 24, v12
	s_delay_alu instid0(VALU_DEP_1)
	v_and_or_b32 v7, 0x80, v7, v13
.LBB52_124:                             ;   in Loop: Header=BB52_57 Depth=1
	s_or_b32 exec_lo, exec_lo, s16
.LBB52_125:                             ;   in Loop: Header=BB52_57 Depth=1
	s_delay_alu instid0(SALU_CYCLE_1) | instskip(SKIP_3) | instid1(VALU_DEP_1)
	s_or_b32 exec_lo, exec_lo, s13
	v_lshrrev_b32_e32 v8, 16, v8
	v_fma_mixlo_f16 v6, v28, v6, 0 op_sel:[0,1,0] op_sel_hi:[0,1,0]
	s_mov_b32 s13, exec_lo
	v_mul_f16_e32 v6, v8, v6
	s_delay_alu instid0(VALU_DEP_1) | instskip(NEXT) | instid1(VALU_DEP_1)
	v_cvt_f32_f16_e32 v6, v6
	v_div_scale_f32 v8, null, v11, v11, v6
	s_delay_alu instid0(VALU_DEP_1) | instskip(SKIP_2) | instid1(VALU_DEP_1)
	v_rcp_f32_e32 v12, v8
	s_waitcnt_depctr 0xfff
	v_fma_f32 v13, -v8, v12, 1.0
	v_fmac_f32_e32 v12, v13, v12
	v_div_scale_f32 v13, vcc_lo, v6, v11, v6
	s_delay_alu instid0(VALU_DEP_1) | instskip(NEXT) | instid1(VALU_DEP_1)
	v_mul_f32_e32 v14, v13, v12
	v_fma_f32 v15, -v8, v14, v13
	s_delay_alu instid0(VALU_DEP_1) | instskip(NEXT) | instid1(VALU_DEP_1)
	v_fmac_f32_e32 v14, v15, v12
	v_fma_f32 v8, -v8, v14, v13
	s_delay_alu instid0(VALU_DEP_1) | instskip(NEXT) | instid1(VALU_DEP_1)
	v_div_fmas_f32 v8, v8, v12, v14
	v_div_fixup_f32 v6, v8, v11, v6
	s_delay_alu instid0(VALU_DEP_1) | instskip(NEXT) | instid1(VALU_DEP_1)
	v_minmax_f32 v6, v6, s7, 0xc3600000
	v_and_b32_e32 v8, 0x7fffffff, v6
	s_delay_alu instid0(VALU_DEP_1)
	v_cmpx_gt_u32_e32 0x43800000, v8
	s_cbranch_execz .LBB52_131
; %bb.126:                              ;   in Loop: Header=BB52_57 Depth=1
	v_cmp_lt_u32_e32 vcc_lo, 0x3bffffff, v8
	s_mov_b32 s15, 0
                                        ; implicit-def: $vgpr8
	s_and_saveexec_b32 s16, vcc_lo
	s_delay_alu instid0(SALU_CYCLE_1)
	s_xor_b32 s16, exec_lo, s16
	s_cbranch_execnz .LBB52_176
; %bb.127:                              ;   in Loop: Header=BB52_57 Depth=1
	s_or_saveexec_b32 s16, s16
                                        ; implicit-def: $sgpr17
	s_delay_alu instid0(SALU_CYCLE_1)
	s_xor_b32 exec_lo, exec_lo, s16
	s_cbranch_execnz .LBB52_177
.LBB52_128:                             ;   in Loop: Header=BB52_57 Depth=1
	s_or_b32 exec_lo, exec_lo, s16
	v_mov_b32_e32 v5, s17
	s_and_saveexec_b32 s16, s15
.LBB52_129:                             ;   in Loop: Header=BB52_57 Depth=1
	v_lshrrev_b32_e32 v5, 24, v6
	s_delay_alu instid0(VALU_DEP_1)
	v_and_or_b32 v5, 0x80, v5, v8
.LBB52_130:                             ;   in Loop: Header=BB52_57 Depth=1
	s_or_b32 exec_lo, exec_lo, s16
.LBB52_131:                             ;   in Loop: Header=BB52_57 Depth=1
	s_delay_alu instid0(SALU_CYCLE_1)
	s_or_b32 exec_lo, exec_lo, s13
	v_lshlrev_b32_e32 v6, 16, v7
	v_lshlrev_b32_e32 v7, 8, v10
	v_lshlrev_b64 v[3:4], 2, v[3:4]
	v_and_b32_e32 v8, 0xff, v9
	v_add_nc_u32_e32 v0, s4, v0
	v_perm_b32 v5, v5, v6, 0x4020c0c
	v_and_b32_e32 v6, 0xff00, v7
	s_mov_b32 s15, -1
	v_add_co_u32 v3, vcc_lo, s2, v3
	v_add_co_ci_u32_e32 v4, vcc_lo, s3, v4, vcc_lo
	s_delay_alu instid0(VALU_DEP_3)
	v_or3_b32 v5, v5, v6, v8
	s_mov_b32 s13, exec_lo
	global_store_b32 v[3:4], v5, off
	v_cmpx_gt_u32_e64 s8, v0
	s_cbranch_execz .LBB52_54
; %bb.132:                              ;   in Loop: Header=BB52_57 Depth=1
	v_lshlrev_b64 v[3:4], 3, v[0:1]
	v_lshrrev_b32_e32 v9, 3, v0
	s_mov_b32 s15, exec_lo
	s_delay_alu instid0(VALU_DEP_2) | instskip(NEXT) | instid1(VALU_DEP_3)
	v_add_co_u32 v5, vcc_lo, s14, v3
	v_add_co_ci_u32_e32 v6, vcc_lo, s26, v4, vcc_lo
	v_add_co_u32 v7, vcc_lo, s10, v3
	v_add_co_ci_u32_e32 v8, vcc_lo, s11, v4, vcc_lo
	global_load_b64 v[3:4], v[5:6], off
	global_load_b64 v[5:6], v[7:8], off
	v_and_b32_e32 v7, 0x7fffffc, v9
	global_load_b32 v9, v7, s[0:1]
	s_waitcnt vmcnt(2)
	v_fma_mixlo_f16 v7, v28, v3, 0 op_sel_hi:[0,1,0]
	s_waitcnt vmcnt(1)
	s_delay_alu instid0(VALU_DEP_1) | instskip(NEXT) | instid1(VALU_DEP_1)
	v_mul_f16_e32 v7, v5, v7
	v_cvt_f32_f16_e32 v7, v7
	s_waitcnt vmcnt(0)
	s_delay_alu instid0(VALU_DEP_1) | instskip(SKIP_1) | instid1(VALU_DEP_2)
	v_div_scale_f32 v8, null, v9, v9, v7
	v_div_scale_f32 v12, vcc_lo, v7, v9, v7
	v_rcp_f32_e32 v10, v8
	s_waitcnt_depctr 0xfff
	v_fma_f32 v11, -v8, v10, 1.0
	s_delay_alu instid0(VALU_DEP_1) | instskip(NEXT) | instid1(VALU_DEP_1)
	v_fmac_f32_e32 v10, v11, v10
	v_mul_f32_e32 v11, v12, v10
	s_delay_alu instid0(VALU_DEP_1) | instskip(NEXT) | instid1(VALU_DEP_1)
	v_fma_f32 v13, -v8, v11, v12
	v_fmac_f32_e32 v11, v13, v10
	s_delay_alu instid0(VALU_DEP_1) | instskip(NEXT) | instid1(VALU_DEP_1)
	v_fma_f32 v8, -v8, v11, v12
	v_div_fmas_f32 v8, v8, v10, v11
	s_delay_alu instid0(VALU_DEP_1) | instskip(SKIP_1) | instid1(VALU_DEP_2)
	v_div_fixup_f32 v7, v8, v9, v7
	v_mov_b32_e32 v8, 0x80
	v_minmax_f32 v10, v7, s7, 0xc3600000
	v_mov_b32_e32 v7, 0x80
	s_delay_alu instid0(VALU_DEP_2) | instskip(NEXT) | instid1(VALU_DEP_1)
	v_and_b32_e32 v11, 0x7fffffff, v10
	v_cmpx_gt_u32_e32 0x43800000, v11
	s_cbranch_execz .LBB52_138
; %bb.133:                              ;   in Loop: Header=BB52_57 Depth=1
	v_cmp_lt_u32_e32 vcc_lo, 0x3bffffff, v11
	s_mov_b32 s16, 0
                                        ; implicit-def: $vgpr11
	s_and_saveexec_b32 s17, vcc_lo
	s_delay_alu instid0(SALU_CYCLE_1)
	s_xor_b32 s17, exec_lo, s17
	s_cbranch_execnz .LBB52_178
; %bb.134:                              ;   in Loop: Header=BB52_57 Depth=1
	s_or_saveexec_b32 s17, s17
                                        ; implicit-def: $sgpr18
	s_delay_alu instid0(SALU_CYCLE_1)
	s_xor_b32 exec_lo, exec_lo, s17
	s_cbranch_execnz .LBB52_179
.LBB52_135:                             ;   in Loop: Header=BB52_57 Depth=1
	s_or_b32 exec_lo, exec_lo, s17
	v_mov_b32_e32 v7, s18
	s_and_saveexec_b32 s17, s16
.LBB52_136:                             ;   in Loop: Header=BB52_57 Depth=1
	v_lshrrev_b32_e32 v7, 24, v10
	s_delay_alu instid0(VALU_DEP_1)
	v_and_or_b32 v7, 0x80, v7, v11
.LBB52_137:                             ;   in Loop: Header=BB52_57 Depth=1
	s_or_b32 exec_lo, exec_lo, s17
.LBB52_138:                             ;   in Loop: Header=BB52_57 Depth=1
	s_delay_alu instid0(SALU_CYCLE_1) | instskip(SKIP_3) | instid1(VALU_DEP_1)
	s_or_b32 exec_lo, exec_lo, s15
	v_lshrrev_b32_e32 v5, 16, v5
	v_fma_mixlo_f16 v3, v28, v3, 0 op_sel:[0,1,0] op_sel_hi:[0,1,0]
	s_mov_b32 s15, exec_lo
	v_mul_f16_e32 v3, v5, v3
	s_delay_alu instid0(VALU_DEP_1) | instskip(NEXT) | instid1(VALU_DEP_1)
	v_cvt_f32_f16_e32 v3, v3
	v_div_scale_f32 v5, null, v9, v9, v3
	s_delay_alu instid0(VALU_DEP_1) | instskip(SKIP_2) | instid1(VALU_DEP_1)
	v_rcp_f32_e32 v10, v5
	s_waitcnt_depctr 0xfff
	v_fma_f32 v11, -v5, v10, 1.0
	v_fmac_f32_e32 v10, v11, v10
	v_div_scale_f32 v11, vcc_lo, v3, v9, v3
	s_delay_alu instid0(VALU_DEP_1) | instskip(NEXT) | instid1(VALU_DEP_1)
	v_mul_f32_e32 v12, v11, v10
	v_fma_f32 v13, -v5, v12, v11
	s_delay_alu instid0(VALU_DEP_1) | instskip(NEXT) | instid1(VALU_DEP_1)
	v_fmac_f32_e32 v12, v13, v10
	v_fma_f32 v5, -v5, v12, v11
	s_delay_alu instid0(VALU_DEP_1) | instskip(NEXT) | instid1(VALU_DEP_1)
	v_div_fmas_f32 v5, v5, v10, v12
	v_div_fixup_f32 v3, v5, v9, v3
	s_delay_alu instid0(VALU_DEP_1) | instskip(NEXT) | instid1(VALU_DEP_1)
	v_minmax_f32 v3, v3, s7, 0xc3600000
	v_and_b32_e32 v5, 0x7fffffff, v3
	s_delay_alu instid0(VALU_DEP_1)
	v_cmpx_gt_u32_e32 0x43800000, v5
	s_cbranch_execz .LBB52_144
; %bb.139:                              ;   in Loop: Header=BB52_57 Depth=1
	v_cmp_lt_u32_e32 vcc_lo, 0x3bffffff, v5
	s_mov_b32 s16, 0
                                        ; implicit-def: $vgpr5
	s_and_saveexec_b32 s17, vcc_lo
	s_delay_alu instid0(SALU_CYCLE_1)
	s_xor_b32 s17, exec_lo, s17
	s_cbranch_execnz .LBB52_180
; %bb.140:                              ;   in Loop: Header=BB52_57 Depth=1
	s_or_saveexec_b32 s17, s17
                                        ; implicit-def: $sgpr18
	s_delay_alu instid0(SALU_CYCLE_1)
	s_xor_b32 exec_lo, exec_lo, s17
	s_cbranch_execnz .LBB52_181
.LBB52_141:                             ;   in Loop: Header=BB52_57 Depth=1
	s_or_b32 exec_lo, exec_lo, s17
	v_mov_b32_e32 v8, s18
	s_and_saveexec_b32 s17, s16
.LBB52_142:                             ;   in Loop: Header=BB52_57 Depth=1
	v_lshrrev_b32_e32 v3, 24, v3
	s_delay_alu instid0(VALU_DEP_1)
	v_and_or_b32 v8, 0x80, v3, v5
.LBB52_143:                             ;   in Loop: Header=BB52_57 Depth=1
	s_or_b32 exec_lo, exec_lo, s17
.LBB52_144:                             ;   in Loop: Header=BB52_57 Depth=1
	s_delay_alu instid0(SALU_CYCLE_1) | instskip(SKIP_2) | instid1(VALU_DEP_1)
	s_or_b32 exec_lo, exec_lo, s15
	v_fma_mixlo_f16 v3, v28, v4, 0 op_sel_hi:[0,1,0]
	s_mov_b32 s15, exec_lo
	v_mul_f16_e32 v3, v6, v3
	s_delay_alu instid0(VALU_DEP_1) | instskip(NEXT) | instid1(VALU_DEP_1)
	v_cvt_f32_f16_e32 v3, v3
	v_div_scale_f32 v5, null, v9, v9, v3
	v_div_scale_f32 v12, vcc_lo, v3, v9, v3
	s_delay_alu instid0(VALU_DEP_2) | instskip(SKIP_2) | instid1(VALU_DEP_1)
	v_rcp_f32_e32 v10, v5
	s_waitcnt_depctr 0xfff
	v_fma_f32 v11, -v5, v10, 1.0
	v_fmac_f32_e32 v10, v11, v10
	s_delay_alu instid0(VALU_DEP_1) | instskip(NEXT) | instid1(VALU_DEP_1)
	v_mul_f32_e32 v11, v12, v10
	v_fma_f32 v13, -v5, v11, v12
	s_delay_alu instid0(VALU_DEP_1) | instskip(NEXT) | instid1(VALU_DEP_1)
	v_fmac_f32_e32 v11, v13, v10
	v_fma_f32 v5, -v5, v11, v12
	s_delay_alu instid0(VALU_DEP_1) | instskip(NEXT) | instid1(VALU_DEP_1)
	v_div_fmas_f32 v5, v5, v10, v11
	v_div_fixup_f32 v3, v5, v9, v3
	v_mov_b32_e32 v5, 0x80
	s_delay_alu instid0(VALU_DEP_2) | instskip(SKIP_1) | instid1(VALU_DEP_2)
	v_minmax_f32 v10, v3, s7, 0xc3600000
	v_mov_b32_e32 v3, 0x80
	v_and_b32_e32 v11, 0x7fffffff, v10
	s_delay_alu instid0(VALU_DEP_1)
	v_cmpx_gt_u32_e32 0x43800000, v11
	s_cbranch_execz .LBB52_150
; %bb.145:                              ;   in Loop: Header=BB52_57 Depth=1
	v_cmp_lt_u32_e32 vcc_lo, 0x3bffffff, v11
	s_mov_b32 s16, 0
                                        ; implicit-def: $vgpr11
	s_and_saveexec_b32 s17, vcc_lo
	s_delay_alu instid0(SALU_CYCLE_1)
	s_xor_b32 s17, exec_lo, s17
	s_cbranch_execnz .LBB52_182
; %bb.146:                              ;   in Loop: Header=BB52_57 Depth=1
	s_or_saveexec_b32 s17, s17
                                        ; implicit-def: $sgpr18
	s_delay_alu instid0(SALU_CYCLE_1)
	s_xor_b32 exec_lo, exec_lo, s17
	s_cbranch_execnz .LBB52_183
.LBB52_147:                             ;   in Loop: Header=BB52_57 Depth=1
	s_or_b32 exec_lo, exec_lo, s17
	v_mov_b32_e32 v5, s18
	s_and_saveexec_b32 s17, s16
.LBB52_148:                             ;   in Loop: Header=BB52_57 Depth=1
	v_lshrrev_b32_e32 v5, 24, v10
	s_delay_alu instid0(VALU_DEP_1)
	v_and_or_b32 v5, 0x80, v5, v11
.LBB52_149:                             ;   in Loop: Header=BB52_57 Depth=1
	s_or_b32 exec_lo, exec_lo, s17
.LBB52_150:                             ;   in Loop: Header=BB52_57 Depth=1
	s_delay_alu instid0(SALU_CYCLE_1) | instskip(SKIP_3) | instid1(VALU_DEP_1)
	s_or_b32 exec_lo, exec_lo, s15
	v_lshrrev_b32_e32 v6, 16, v6
	v_fma_mixlo_f16 v4, v28, v4, 0 op_sel:[0,1,0] op_sel_hi:[0,1,0]
	s_mov_b32 s15, exec_lo
	v_mul_f16_e32 v4, v6, v4
	s_delay_alu instid0(VALU_DEP_1) | instskip(NEXT) | instid1(VALU_DEP_1)
	v_cvt_f32_f16_e32 v4, v4
	v_div_scale_f32 v6, null, v9, v9, v4
	s_delay_alu instid0(VALU_DEP_1) | instskip(SKIP_2) | instid1(VALU_DEP_1)
	v_rcp_f32_e32 v10, v6
	s_waitcnt_depctr 0xfff
	v_fma_f32 v11, -v6, v10, 1.0
	v_fmac_f32_e32 v10, v11, v10
	v_div_scale_f32 v11, vcc_lo, v4, v9, v4
	s_delay_alu instid0(VALU_DEP_1) | instskip(NEXT) | instid1(VALU_DEP_1)
	v_mul_f32_e32 v12, v11, v10
	v_fma_f32 v13, -v6, v12, v11
	s_delay_alu instid0(VALU_DEP_1) | instskip(NEXT) | instid1(VALU_DEP_1)
	v_fmac_f32_e32 v12, v13, v10
	v_fma_f32 v6, -v6, v12, v11
	s_delay_alu instid0(VALU_DEP_1) | instskip(NEXT) | instid1(VALU_DEP_1)
	v_div_fmas_f32 v6, v6, v10, v12
	v_div_fixup_f32 v4, v6, v9, v4
	s_delay_alu instid0(VALU_DEP_1) | instskip(NEXT) | instid1(VALU_DEP_1)
	v_minmax_f32 v4, v4, s7, 0xc3600000
	v_and_b32_e32 v6, 0x7fffffff, v4
	s_delay_alu instid0(VALU_DEP_1)
	v_cmpx_gt_u32_e32 0x43800000, v6
	s_cbranch_execz .LBB52_53
; %bb.151:                              ;   in Loop: Header=BB52_57 Depth=1
	v_cmp_lt_u32_e32 vcc_lo, 0x3bffffff, v6
	s_mov_b32 s16, 0
                                        ; implicit-def: $vgpr6
	s_and_saveexec_b32 s17, vcc_lo
	s_delay_alu instid0(SALU_CYCLE_1)
	s_xor_b32 s17, exec_lo, s17
	s_cbranch_execnz .LBB52_184
; %bb.152:                              ;   in Loop: Header=BB52_57 Depth=1
	s_or_saveexec_b32 s17, s17
                                        ; implicit-def: $sgpr18
	s_delay_alu instid0(SALU_CYCLE_1)
	s_xor_b32 exec_lo, exec_lo, s17
	s_cbranch_execnz .LBB52_185
.LBB52_153:                             ;   in Loop: Header=BB52_57 Depth=1
	s_or_b32 exec_lo, exec_lo, s17
	v_mov_b32_e32 v3, s18
	s_and_saveexec_b32 s17, s16
	s_cbranch_execz .LBB52_52
	s_branch .LBB52_186
.LBB52_154:                             ;   in Loop: Header=BB52_57 Depth=1
	v_bfe_u32 v7, v9, 20, 1
	s_mov_b32 s12, exec_lo
	s_delay_alu instid0(VALU_DEP_1) | instskip(NEXT) | instid1(VALU_DEP_1)
	v_add3_u32 v7, v9, v7, 0x487ffff
	v_lshrrev_b32_e32 v10, 20, v7
	s_or_saveexec_b32 s13, s13
                                        ; implicit-def: $sgpr15
	s_delay_alu instid0(SALU_CYCLE_1)
	s_xor_b32 exec_lo, exec_lo, s13
	s_cbranch_execz .LBB52_60
.LBB52_155:                             ;   in Loop: Header=BB52_57 Depth=1
	v_add_f32_e64 v7, 0x46000000, |v9|
	s_and_not1_b32 s12, s12, exec_lo
	s_mov_b32 s15, 0
	s_delay_alu instid0(VALU_DEP_1) | instskip(NEXT) | instid1(VALU_DEP_1)
	v_and_b32_e32 v10, 0xff, v7
	v_cmp_ne_u32_e32 vcc_lo, 0, v10
	s_and_b32 s16, vcc_lo, exec_lo
	s_delay_alu instid0(SALU_CYCLE_1)
	s_or_b32 s12, s12, s16
	s_or_b32 exec_lo, exec_lo, s13
	v_mov_b32_e32 v7, s15
	s_and_saveexec_b32 s13, s12
	s_cbranch_execnz .LBB52_61
	s_branch .LBB52_62
.LBB52_156:                             ;   in Loop: Header=BB52_57 Depth=1
	v_bfe_u32 v4, v2, 20, 1
	s_mov_b32 s12, exec_lo
	s_delay_alu instid0(VALU_DEP_1) | instskip(NEXT) | instid1(VALU_DEP_1)
	v_add3_u32 v4, v2, v4, 0x487ffff
	v_lshrrev_b32_e32 v4, 20, v4
	s_or_saveexec_b32 s13, s13
                                        ; implicit-def: $sgpr15
	s_delay_alu instid0(SALU_CYCLE_1)
	s_xor_b32 exec_lo, exec_lo, s13
	s_cbranch_execz .LBB52_66
.LBB52_157:                             ;   in Loop: Header=BB52_57 Depth=1
	v_add_f32_e64 v4, 0x46000000, |v2|
	s_and_not1_b32 s12, s12, exec_lo
	s_mov_b32 s15, 0
	s_delay_alu instid0(VALU_DEP_1) | instskip(NEXT) | instid1(VALU_DEP_1)
	v_and_b32_e32 v4, 0xff, v4
	v_cmp_ne_u32_e32 vcc_lo, 0, v4
	s_and_b32 s16, vcc_lo, exec_lo
	s_delay_alu instid0(SALU_CYCLE_1)
	s_or_b32 s12, s12, s16
	s_or_b32 exec_lo, exec_lo, s13
	v_mov_b32_e32 v6, s15
	s_and_saveexec_b32 s13, s12
	s_cbranch_execnz .LBB52_67
	s_branch .LBB52_68
.LBB52_158:                             ;   in Loop: Header=BB52_57 Depth=1
	v_bfe_u32 v4, v9, 20, 1
	s_mov_b32 s12, exec_lo
	s_delay_alu instid0(VALU_DEP_1) | instskip(NEXT) | instid1(VALU_DEP_1)
	v_add3_u32 v4, v9, v4, 0x487ffff
	v_lshrrev_b32_e32 v10, 20, v4
	s_or_saveexec_b32 s13, s13
                                        ; implicit-def: $sgpr15
	s_delay_alu instid0(SALU_CYCLE_1)
	s_xor_b32 exec_lo, exec_lo, s13
	s_cbranch_execz .LBB52_72
.LBB52_159:                             ;   in Loop: Header=BB52_57 Depth=1
	v_add_f32_e64 v4, 0x46000000, |v9|
	s_and_not1_b32 s12, s12, exec_lo
	s_mov_b32 s15, 0
	s_delay_alu instid0(VALU_DEP_1) | instskip(NEXT) | instid1(VALU_DEP_1)
	v_and_b32_e32 v10, 0xff, v4
	v_cmp_ne_u32_e32 vcc_lo, 0, v10
	s_and_b32 s16, vcc_lo, exec_lo
	s_delay_alu instid0(SALU_CYCLE_1)
	s_or_b32 s12, s12, s16
	s_or_b32 exec_lo, exec_lo, s13
	v_mov_b32_e32 v4, s15
	s_and_saveexec_b32 s13, s12
	s_cbranch_execnz .LBB52_73
	s_branch .LBB52_74
.LBB52_160:                             ;   in Loop: Header=BB52_57 Depth=1
	v_bfe_u32 v2, v3, 20, 1
	s_mov_b32 s12, exec_lo
	s_delay_alu instid0(VALU_DEP_1) | instskip(NEXT) | instid1(VALU_DEP_1)
	v_add3_u32 v2, v3, v2, 0x487ffff
	v_lshrrev_b32_e32 v5, 20, v2
	s_or_saveexec_b32 s13, s13
                                        ; implicit-def: $sgpr15
	s_delay_alu instid0(SALU_CYCLE_1)
	s_xor_b32 exec_lo, exec_lo, s13
	s_cbranch_execz .LBB52_78
.LBB52_161:                             ;   in Loop: Header=BB52_57 Depth=1
	v_add_f32_e64 v2, 0x46000000, |v3|
	s_and_not1_b32 s12, s12, exec_lo
	s_mov_b32 s15, 0
	s_delay_alu instid0(VALU_DEP_1) | instskip(NEXT) | instid1(VALU_DEP_1)
	v_and_b32_e32 v5, 0xff, v2
	v_cmp_ne_u32_e32 vcc_lo, 0, v5
	s_and_b32 s16, vcc_lo, exec_lo
	s_delay_alu instid0(SALU_CYCLE_1)
	s_or_b32 s12, s12, s16
	s_or_b32 exec_lo, exec_lo, s13
	v_mov_b32_e32 v2, s15
	s_and_saveexec_b32 s13, s12
	s_cbranch_execnz .LBB52_79
	s_branch .LBB52_80
.LBB52_162:                             ;   in Loop: Header=BB52_57 Depth=1
	v_bfe_u32 v8, v11, 20, 1
	s_mov_b32 s13, exec_lo
	s_delay_alu instid0(VALU_DEP_1) | instskip(NEXT) | instid1(VALU_DEP_1)
	v_add3_u32 v8, v11, v8, 0x487ffff
	v_lshrrev_b32_e32 v12, 20, v8
	s_or_saveexec_b32 s15, s15
                                        ; implicit-def: $sgpr16
	s_delay_alu instid0(SALU_CYCLE_1)
	s_xor_b32 exec_lo, exec_lo, s15
	s_cbranch_execz .LBB52_85
.LBB52_163:                             ;   in Loop: Header=BB52_57 Depth=1
	v_add_f32_e64 v8, 0x46000000, |v11|
	s_and_not1_b32 s13, s13, exec_lo
	s_mov_b32 s16, 0
	s_delay_alu instid0(VALU_DEP_1) | instskip(NEXT) | instid1(VALU_DEP_1)
	v_and_b32_e32 v12, 0xff, v8
	v_cmp_ne_u32_e32 vcc_lo, 0, v12
	s_and_b32 s17, vcc_lo, exec_lo
	s_delay_alu instid0(SALU_CYCLE_1)
	s_or_b32 s13, s13, s17
	s_or_b32 exec_lo, exec_lo, s15
	v_mov_b32_e32 v8, s16
	s_and_saveexec_b32 s15, s13
	s_cbranch_execnz .LBB52_86
	s_branch .LBB52_87
.LBB52_164:                             ;   in Loop: Header=BB52_57 Depth=1
	v_bfe_u32 v6, v4, 20, 1
	s_mov_b32 s13, exec_lo
	s_delay_alu instid0(VALU_DEP_1) | instskip(NEXT) | instid1(VALU_DEP_1)
	v_add3_u32 v6, v4, v6, 0x487ffff
	v_lshrrev_b32_e32 v6, 20, v6
	s_or_saveexec_b32 s15, s15
                                        ; implicit-def: $sgpr16
	s_delay_alu instid0(SALU_CYCLE_1)
	s_xor_b32 exec_lo, exec_lo, s15
	s_cbranch_execz .LBB52_91
.LBB52_165:                             ;   in Loop: Header=BB52_57 Depth=1
	v_add_f32_e64 v6, 0x46000000, |v4|
	s_and_not1_b32 s13, s13, exec_lo
	s_mov_b32 s16, 0
	s_delay_alu instid0(VALU_DEP_1) | instskip(NEXT) | instid1(VALU_DEP_1)
	v_and_b32_e32 v6, 0xff, v6
	v_cmp_ne_u32_e32 vcc_lo, 0, v6
	s_and_b32 s17, vcc_lo, exec_lo
	s_delay_alu instid0(SALU_CYCLE_1)
	s_or_b32 s13, s13, s17
	s_or_b32 exec_lo, exec_lo, s15
	v_mov_b32_e32 v9, s16
	s_and_saveexec_b32 s15, s13
	s_cbranch_execnz .LBB52_92
	s_branch .LBB52_93
.LBB52_166:                             ;   in Loop: Header=BB52_57 Depth=1
	v_bfe_u32 v6, v11, 20, 1
	s_mov_b32 s13, exec_lo
	s_delay_alu instid0(VALU_DEP_1) | instskip(NEXT) | instid1(VALU_DEP_1)
	v_add3_u32 v6, v11, v6, 0x487ffff
	v_lshrrev_b32_e32 v12, 20, v6
	s_or_saveexec_b32 s15, s15
                                        ; implicit-def: $sgpr16
	s_delay_alu instid0(SALU_CYCLE_1)
	s_xor_b32 exec_lo, exec_lo, s15
	s_cbranch_execz .LBB52_97
.LBB52_167:                             ;   in Loop: Header=BB52_57 Depth=1
	v_add_f32_e64 v6, 0x46000000, |v11|
	s_and_not1_b32 s13, s13, exec_lo
	s_mov_b32 s16, 0
	s_delay_alu instid0(VALU_DEP_1) | instskip(NEXT) | instid1(VALU_DEP_1)
	v_and_b32_e32 v12, 0xff, v6
	v_cmp_ne_u32_e32 vcc_lo, 0, v12
	s_and_b32 s17, vcc_lo, exec_lo
	s_delay_alu instid0(SALU_CYCLE_1)
	s_or_b32 s13, s13, s17
	s_or_b32 exec_lo, exec_lo, s15
	v_mov_b32_e32 v6, s16
	s_and_saveexec_b32 s15, s13
	s_cbranch_execnz .LBB52_98
	s_branch .LBB52_99
.LBB52_168:                             ;   in Loop: Header=BB52_57 Depth=1
	v_bfe_u32 v4, v5, 20, 1
	s_mov_b32 s13, exec_lo
	s_delay_alu instid0(VALU_DEP_1) | instskip(NEXT) | instid1(VALU_DEP_1)
	v_add3_u32 v4, v5, v4, 0x487ffff
	v_lshrrev_b32_e32 v7, 20, v4
	s_or_saveexec_b32 s15, s15
                                        ; implicit-def: $sgpr16
	s_delay_alu instid0(SALU_CYCLE_1)
	s_xor_b32 exec_lo, exec_lo, s15
	s_cbranch_execz .LBB52_103
.LBB52_169:                             ;   in Loop: Header=BB52_57 Depth=1
	v_add_f32_e64 v4, 0x46000000, |v5|
	s_and_not1_b32 s13, s13, exec_lo
	s_mov_b32 s16, 0
	s_delay_alu instid0(VALU_DEP_1) | instskip(NEXT) | instid1(VALU_DEP_1)
	v_and_b32_e32 v7, 0xff, v4
	v_cmp_ne_u32_e32 vcc_lo, 0, v7
	s_and_b32 s17, vcc_lo, exec_lo
	s_delay_alu instid0(SALU_CYCLE_1)
	s_or_b32 s13, s13, s17
	s_or_b32 exec_lo, exec_lo, s15
	v_mov_b32_e32 v4, s16
	s_and_saveexec_b32 s15, s13
	s_cbranch_execnz .LBB52_104
	s_branch .LBB52_105
.LBB52_170:                             ;   in Loop: Header=BB52_57 Depth=1
	v_bfe_u32 v9, v12, 20, 1
	s_mov_b32 s15, exec_lo
	s_delay_alu instid0(VALU_DEP_1) | instskip(NEXT) | instid1(VALU_DEP_1)
	v_add3_u32 v9, v12, v9, 0x487ffff
	v_lshrrev_b32_e32 v13, 20, v9
	s_or_saveexec_b32 s16, s16
                                        ; implicit-def: $sgpr17
	s_delay_alu instid0(SALU_CYCLE_1)
	s_xor_b32 exec_lo, exec_lo, s16
	s_cbranch_execz .LBB52_110
.LBB52_171:                             ;   in Loop: Header=BB52_57 Depth=1
	v_add_f32_e64 v9, 0x46000000, |v12|
	s_and_not1_b32 s15, s15, exec_lo
	s_mov_b32 s17, 0
	s_delay_alu instid0(VALU_DEP_1) | instskip(NEXT) | instid1(VALU_DEP_1)
	v_and_b32_e32 v13, 0xff, v9
	v_cmp_ne_u32_e32 vcc_lo, 0, v13
	s_and_b32 s18, vcc_lo, exec_lo
	s_delay_alu instid0(SALU_CYCLE_1)
	s_or_b32 s15, s15, s18
	s_or_b32 exec_lo, exec_lo, s16
	v_mov_b32_e32 v9, s17
	s_and_saveexec_b32 s16, s15
	s_cbranch_execnz .LBB52_111
	s_branch .LBB52_112
.LBB52_172:                             ;   in Loop: Header=BB52_57 Depth=1
	v_bfe_u32 v7, v5, 20, 1
	s_mov_b32 s15, exec_lo
	s_delay_alu instid0(VALU_DEP_1) | instskip(NEXT) | instid1(VALU_DEP_1)
	v_add3_u32 v7, v5, v7, 0x487ffff
	v_lshrrev_b32_e32 v7, 20, v7
	s_or_saveexec_b32 s16, s16
                                        ; implicit-def: $sgpr17
	s_delay_alu instid0(SALU_CYCLE_1)
	s_xor_b32 exec_lo, exec_lo, s16
	s_cbranch_execz .LBB52_116
.LBB52_173:                             ;   in Loop: Header=BB52_57 Depth=1
	v_add_f32_e64 v7, 0x46000000, |v5|
	s_and_not1_b32 s15, s15, exec_lo
	s_mov_b32 s17, 0
	s_delay_alu instid0(VALU_DEP_1) | instskip(NEXT) | instid1(VALU_DEP_1)
	v_and_b32_e32 v7, 0xff, v7
	v_cmp_ne_u32_e32 vcc_lo, 0, v7
	s_and_b32 s18, vcc_lo, exec_lo
	s_delay_alu instid0(SALU_CYCLE_1)
	s_or_b32 s15, s15, s18
	s_or_b32 exec_lo, exec_lo, s16
	v_mov_b32_e32 v10, s17
	s_and_saveexec_b32 s16, s15
	s_cbranch_execnz .LBB52_117
	s_branch .LBB52_118
.LBB52_174:                             ;   in Loop: Header=BB52_57 Depth=1
	v_bfe_u32 v7, v12, 20, 1
	s_mov_b32 s15, exec_lo
	s_delay_alu instid0(VALU_DEP_1) | instskip(NEXT) | instid1(VALU_DEP_1)
	v_add3_u32 v7, v12, v7, 0x487ffff
	v_lshrrev_b32_e32 v13, 20, v7
	s_or_saveexec_b32 s16, s16
                                        ; implicit-def: $sgpr17
	s_delay_alu instid0(SALU_CYCLE_1)
	s_xor_b32 exec_lo, exec_lo, s16
	s_cbranch_execz .LBB52_122
.LBB52_175:                             ;   in Loop: Header=BB52_57 Depth=1
	v_add_f32_e64 v7, 0x46000000, |v12|
	s_and_not1_b32 s15, s15, exec_lo
	s_mov_b32 s17, 0
	s_delay_alu instid0(VALU_DEP_1) | instskip(NEXT) | instid1(VALU_DEP_1)
	v_and_b32_e32 v13, 0xff, v7
	v_cmp_ne_u32_e32 vcc_lo, 0, v13
	s_and_b32 s18, vcc_lo, exec_lo
	s_delay_alu instid0(SALU_CYCLE_1)
	s_or_b32 s15, s15, s18
	s_or_b32 exec_lo, exec_lo, s16
	v_mov_b32_e32 v7, s17
	s_and_saveexec_b32 s16, s15
	s_cbranch_execnz .LBB52_123
	s_branch .LBB52_124
.LBB52_176:                             ;   in Loop: Header=BB52_57 Depth=1
	v_bfe_u32 v5, v6, 20, 1
	s_mov_b32 s15, exec_lo
	s_delay_alu instid0(VALU_DEP_1) | instskip(NEXT) | instid1(VALU_DEP_1)
	v_add3_u32 v5, v6, v5, 0x487ffff
	v_lshrrev_b32_e32 v8, 20, v5
	s_or_saveexec_b32 s16, s16
                                        ; implicit-def: $sgpr17
	s_delay_alu instid0(SALU_CYCLE_1)
	s_xor_b32 exec_lo, exec_lo, s16
	s_cbranch_execz .LBB52_128
.LBB52_177:                             ;   in Loop: Header=BB52_57 Depth=1
	v_add_f32_e64 v5, 0x46000000, |v6|
	s_and_not1_b32 s15, s15, exec_lo
	s_mov_b32 s17, 0
	s_delay_alu instid0(VALU_DEP_1) | instskip(NEXT) | instid1(VALU_DEP_1)
	v_and_b32_e32 v8, 0xff, v5
	v_cmp_ne_u32_e32 vcc_lo, 0, v8
	s_and_b32 s18, vcc_lo, exec_lo
	s_delay_alu instid0(SALU_CYCLE_1)
	s_or_b32 s15, s15, s18
	s_or_b32 exec_lo, exec_lo, s16
	v_mov_b32_e32 v5, s17
	s_and_saveexec_b32 s16, s15
	s_cbranch_execnz .LBB52_129
	s_branch .LBB52_130
.LBB52_178:                             ;   in Loop: Header=BB52_57 Depth=1
	v_bfe_u32 v7, v10, 20, 1
	s_mov_b32 s16, exec_lo
	s_delay_alu instid0(VALU_DEP_1) | instskip(NEXT) | instid1(VALU_DEP_1)
	v_add3_u32 v7, v10, v7, 0x487ffff
	v_lshrrev_b32_e32 v11, 20, v7
	s_or_saveexec_b32 s17, s17
                                        ; implicit-def: $sgpr18
	s_delay_alu instid0(SALU_CYCLE_1)
	s_xor_b32 exec_lo, exec_lo, s17
	s_cbranch_execz .LBB52_135
.LBB52_179:                             ;   in Loop: Header=BB52_57 Depth=1
	v_add_f32_e64 v7, 0x46000000, |v10|
	s_and_not1_b32 s16, s16, exec_lo
	s_mov_b32 s18, 0
	s_delay_alu instid0(VALU_DEP_1) | instskip(NEXT) | instid1(VALU_DEP_1)
	v_and_b32_e32 v11, 0xff, v7
	v_cmp_ne_u32_e32 vcc_lo, 0, v11
	s_and_b32 s19, vcc_lo, exec_lo
	s_delay_alu instid0(SALU_CYCLE_1)
	s_or_b32 s16, s16, s19
	s_or_b32 exec_lo, exec_lo, s17
	v_mov_b32_e32 v7, s18
	s_and_saveexec_b32 s17, s16
	s_cbranch_execnz .LBB52_136
	s_branch .LBB52_137
.LBB52_180:                             ;   in Loop: Header=BB52_57 Depth=1
	v_bfe_u32 v5, v3, 20, 1
	s_mov_b32 s16, exec_lo
	s_delay_alu instid0(VALU_DEP_1) | instskip(NEXT) | instid1(VALU_DEP_1)
	v_add3_u32 v5, v3, v5, 0x487ffff
	v_lshrrev_b32_e32 v5, 20, v5
	s_or_saveexec_b32 s17, s17
                                        ; implicit-def: $sgpr18
	s_delay_alu instid0(SALU_CYCLE_1)
	s_xor_b32 exec_lo, exec_lo, s17
	s_cbranch_execz .LBB52_141
.LBB52_181:                             ;   in Loop: Header=BB52_57 Depth=1
	v_add_f32_e64 v5, 0x46000000, |v3|
	s_and_not1_b32 s16, s16, exec_lo
	s_mov_b32 s18, 0
	s_delay_alu instid0(VALU_DEP_1) | instskip(NEXT) | instid1(VALU_DEP_1)
	v_and_b32_e32 v5, 0xff, v5
	v_cmp_ne_u32_e32 vcc_lo, 0, v5
	s_and_b32 s19, vcc_lo, exec_lo
	s_delay_alu instid0(SALU_CYCLE_1)
	s_or_b32 s16, s16, s19
	s_or_b32 exec_lo, exec_lo, s17
	v_mov_b32_e32 v8, s18
	s_and_saveexec_b32 s17, s16
	s_cbranch_execnz .LBB52_142
	s_branch .LBB52_143
.LBB52_182:                             ;   in Loop: Header=BB52_57 Depth=1
	v_bfe_u32 v5, v10, 20, 1
	s_mov_b32 s16, exec_lo
	s_delay_alu instid0(VALU_DEP_1) | instskip(NEXT) | instid1(VALU_DEP_1)
	v_add3_u32 v5, v10, v5, 0x487ffff
	v_lshrrev_b32_e32 v11, 20, v5
	s_or_saveexec_b32 s17, s17
                                        ; implicit-def: $sgpr18
	s_delay_alu instid0(SALU_CYCLE_1)
	s_xor_b32 exec_lo, exec_lo, s17
	s_cbranch_execz .LBB52_147
.LBB52_183:                             ;   in Loop: Header=BB52_57 Depth=1
	v_add_f32_e64 v5, 0x46000000, |v10|
	s_and_not1_b32 s16, s16, exec_lo
	s_mov_b32 s18, 0
	s_delay_alu instid0(VALU_DEP_1) | instskip(NEXT) | instid1(VALU_DEP_1)
	v_and_b32_e32 v11, 0xff, v5
	v_cmp_ne_u32_e32 vcc_lo, 0, v11
	s_and_b32 s19, vcc_lo, exec_lo
	s_delay_alu instid0(SALU_CYCLE_1)
	s_or_b32 s16, s16, s19
	s_or_b32 exec_lo, exec_lo, s17
	v_mov_b32_e32 v5, s18
	s_and_saveexec_b32 s17, s16
	s_cbranch_execnz .LBB52_148
	s_branch .LBB52_149
.LBB52_184:                             ;   in Loop: Header=BB52_57 Depth=1
	v_bfe_u32 v3, v4, 20, 1
	s_mov_b32 s16, exec_lo
	s_delay_alu instid0(VALU_DEP_1) | instskip(NEXT) | instid1(VALU_DEP_1)
	v_add3_u32 v3, v4, v3, 0x487ffff
	v_lshrrev_b32_e32 v6, 20, v3
	s_or_saveexec_b32 s17, s17
                                        ; implicit-def: $sgpr18
	s_delay_alu instid0(SALU_CYCLE_1)
	s_xor_b32 exec_lo, exec_lo, s17
	s_cbranch_execz .LBB52_153
.LBB52_185:                             ;   in Loop: Header=BB52_57 Depth=1
	v_add_f32_e64 v3, 0x46000000, |v4|
	s_and_not1_b32 s16, s16, exec_lo
	s_mov_b32 s18, 0
	s_delay_alu instid0(VALU_DEP_1) | instskip(NEXT) | instid1(VALU_DEP_1)
	v_and_b32_e32 v6, 0xff, v3
	v_cmp_ne_u32_e32 vcc_lo, 0, v6
	s_and_b32 s19, vcc_lo, exec_lo
	s_delay_alu instid0(SALU_CYCLE_1)
	s_or_b32 s16, s16, s19
	s_or_b32 exec_lo, exec_lo, s17
	v_mov_b32_e32 v3, s18
	s_and_saveexec_b32 s17, s16
	s_cbranch_execz .LBB52_52
.LBB52_186:                             ;   in Loop: Header=BB52_57 Depth=1
	v_lshrrev_b32_e32 v3, 24, v4
	s_delay_alu instid0(VALU_DEP_1)
	v_and_or_b32 v3, 0x80, v3, v6
	s_branch .LBB52_52
.LBB52_187:
	s_nop 0
	s_sendmsg sendmsg(MSG_DEALLOC_VGPRS)
	s_endpgm
	.section	.rodata,"a",@progbits
	.p2align	6, 0x0
	.amdhsa_kernel _ZN4vllm31rms_norm_per_block_quant_kernelIN3c104HalfENS1_15Float8_e4m3fnuzELb0ELb0ELi128EEEvPT0_PfPKT_S9_PKffiiPS7_l
		.amdhsa_group_segment_fixed_size 4228
		.amdhsa_private_segment_fixed_size 0
		.amdhsa_kernarg_size 328
		.amdhsa_user_sgpr_count 15
		.amdhsa_user_sgpr_dispatch_ptr 0
		.amdhsa_user_sgpr_queue_ptr 0
		.amdhsa_user_sgpr_kernarg_segment_ptr 1
		.amdhsa_user_sgpr_dispatch_id 0
		.amdhsa_user_sgpr_private_segment_size 0
		.amdhsa_wavefront_size32 1
		.amdhsa_uses_dynamic_stack 0
		.amdhsa_enable_private_segment 0
		.amdhsa_system_sgpr_workgroup_id_x 1
		.amdhsa_system_sgpr_workgroup_id_y 0
		.amdhsa_system_sgpr_workgroup_id_z 0
		.amdhsa_system_sgpr_workgroup_info 0
		.amdhsa_system_vgpr_workitem_id 0
		.amdhsa_next_free_vgpr 35
		.amdhsa_next_free_sgpr 36
		.amdhsa_reserve_vcc 1
		.amdhsa_float_round_mode_32 0
		.amdhsa_float_round_mode_16_64 0
		.amdhsa_float_denorm_mode_32 3
		.amdhsa_float_denorm_mode_16_64 3
		.amdhsa_dx10_clamp 1
		.amdhsa_ieee_mode 1
		.amdhsa_fp16_overflow 0
		.amdhsa_workgroup_processor_mode 1
		.amdhsa_memory_ordered 1
		.amdhsa_forward_progress 0
		.amdhsa_shared_vgpr_count 0
		.amdhsa_exception_fp_ieee_invalid_op 0
		.amdhsa_exception_fp_denorm_src 0
		.amdhsa_exception_fp_ieee_div_zero 0
		.amdhsa_exception_fp_ieee_overflow 0
		.amdhsa_exception_fp_ieee_underflow 0
		.amdhsa_exception_fp_ieee_inexact 0
		.amdhsa_exception_int_div_zero 0
	.end_amdhsa_kernel
	.section	.text._ZN4vllm31rms_norm_per_block_quant_kernelIN3c104HalfENS1_15Float8_e4m3fnuzELb0ELb0ELi128EEEvPT0_PfPKT_S9_PKffiiPS7_l,"axG",@progbits,_ZN4vllm31rms_norm_per_block_quant_kernelIN3c104HalfENS1_15Float8_e4m3fnuzELb0ELb0ELi128EEEvPT0_PfPKT_S9_PKffiiPS7_l,comdat
.Lfunc_end52:
	.size	_ZN4vllm31rms_norm_per_block_quant_kernelIN3c104HalfENS1_15Float8_e4m3fnuzELb0ELb0ELi128EEEvPT0_PfPKT_S9_PKffiiPS7_l, .Lfunc_end52-_ZN4vllm31rms_norm_per_block_quant_kernelIN3c104HalfENS1_15Float8_e4m3fnuzELb0ELb0ELi128EEEvPT0_PfPKT_S9_PKffiiPS7_l
                                        ; -- End function
	.section	.AMDGPU.csdata,"",@progbits
; Kernel info:
; codeLenInByte = 11048
; NumSgprs: 38
; NumVgprs: 35
; ScratchSize: 0
; MemoryBound: 0
; FloatMode: 240
; IeeeMode: 1
; LDSByteSize: 4228 bytes/workgroup (compile time only)
; SGPRBlocks: 4
; VGPRBlocks: 4
; NumSGPRsForWavesPerEU: 38
; NumVGPRsForWavesPerEU: 35
; Occupancy: 16
; WaveLimiterHint : 0
; COMPUTE_PGM_RSRC2:SCRATCH_EN: 0
; COMPUTE_PGM_RSRC2:USER_SGPR: 15
; COMPUTE_PGM_RSRC2:TRAP_HANDLER: 0
; COMPUTE_PGM_RSRC2:TGID_X_EN: 1
; COMPUTE_PGM_RSRC2:TGID_Y_EN: 0
; COMPUTE_PGM_RSRC2:TGID_Z_EN: 0
; COMPUTE_PGM_RSRC2:TIDIG_COMP_CNT: 0
	.section	.text._ZN4vllm31rms_norm_per_block_quant_kernelIN3c104HalfEaLb0ELb0ELi128EEEvPT0_PfPKT_S8_PKffiiPS6_l,"axG",@progbits,_ZN4vllm31rms_norm_per_block_quant_kernelIN3c104HalfEaLb0ELb0ELi128EEEvPT0_PfPKT_S8_PKffiiPS6_l,comdat
	.protected	_ZN4vllm31rms_norm_per_block_quant_kernelIN3c104HalfEaLb0ELb0ELi128EEEvPT0_PfPKT_S8_PKffiiPS6_l ; -- Begin function _ZN4vllm31rms_norm_per_block_quant_kernelIN3c104HalfEaLb0ELb0ELi128EEEvPT0_PfPKT_S8_PKffiiPS6_l
	.globl	_ZN4vllm31rms_norm_per_block_quant_kernelIN3c104HalfEaLb0ELb0ELi128EEEvPT0_PfPKT_S8_PKffiiPS6_l
	.p2align	8
	.type	_ZN4vllm31rms_norm_per_block_quant_kernelIN3c104HalfEaLb0ELb0ELi128EEEvPT0_PfPKT_S8_PKffiiPS6_l,@function
_ZN4vllm31rms_norm_per_block_quant_kernelIN3c104HalfEaLb0ELb0ELi128EEEvPT0_PfPKT_S8_PKffiiPS6_l: ; @_ZN4vllm31rms_norm_per_block_quant_kernelIN3c104HalfEaLb0ELb0ELi128EEEvPT0_PfPKT_S8_PKffiiPS6_l
; %bb.0:
	s_clause 0x1
	s_load_b128 s[16:19], s[0:1], 0x28
	s_load_b256 s[4:11], s[0:1], 0x0
	v_mov_b32_e32 v6, 0
	s_waitcnt lgkmcnt(0)
	s_ashr_i32 s2, s18, 31
	s_mul_hi_u32 s3, s18, s15
	s_mul_i32 s12, s2, s15
	s_mul_i32 s2, s18, s15
	s_add_i32 s3, s3, s12
	s_mov_b32 s12, s17
	s_lshl_b64 s[2:3], s[2:3], 1
	s_delay_alu instid0(SALU_CYCLE_1)
	s_add_u32 s14, s8, s2
	s_addc_u32 s26, s9, s3
	s_ashr_i32 s8, s17, 2
	s_add_u32 s18, s0, 0x48
	v_cmp_gt_u32_e64 s2, s8, v0
	s_mov_b32 s9, 0
	s_addc_u32 s19, s1, 0
	s_delay_alu instid0(VALU_DEP_1)
	s_and_saveexec_b32 s3, s2
	s_cbranch_execz .LBB53_10
; %bb.1:
	s_load_b32 s13, s[18:19], 0x0
	v_dual_mov_b32 v2, 0 :: v_dual_mov_b32 v1, v0
	s_waitcnt lgkmcnt(0)
	s_cmp_lt_u32 s15, s13
	s_cselect_b32 s13, 12, 18
	s_delay_alu instid0(SALU_CYCLE_1)
	s_add_u32 s20, s18, s13
	s_addc_u32 s21, s19, 0
                                        ; implicit-def: $sgpr13
	global_load_u16 v7, v2, s[20:21]
	s_waitcnt vmcnt(0)
	v_lshlrev_b32_e32 v9, 1, v7
	v_mul_lo_u32 v8, v7, 3
	v_add_nc_u32_e32 v10, v7, v7
	v_mov_b32_e32 v6, v2
	s_branch .LBB53_5
.LBB53_2:                               ;   in Loop: Header=BB53_5 Depth=1
	s_or_b32 exec_lo, exec_lo, s22
	s_delay_alu instid0(SALU_CYCLE_1)
	s_or_not1_b32 s22, s23, exec_lo
.LBB53_3:                               ;   in Loop: Header=BB53_5 Depth=1
	s_or_b32 exec_lo, exec_lo, s21
	s_delay_alu instid0(SALU_CYCLE_1) | instskip(SKIP_1) | instid1(SALU_CYCLE_1)
	s_and_not1_b32 s13, s13, exec_lo
	s_and_b32 s21, s22, exec_lo
	s_or_b32 s13, s13, s21
.LBB53_4:                               ;   in Loop: Header=BB53_5 Depth=1
	s_or_b32 exec_lo, exec_lo, s20
	s_delay_alu instid0(SALU_CYCLE_1) | instskip(NEXT) | instid1(SALU_CYCLE_1)
	s_and_b32 s20, exec_lo, s13
	s_or_b32 s9, s20, s9
	s_delay_alu instid0(SALU_CYCLE_1)
	s_and_not1_b32 exec_lo, exec_lo, s9
	s_cbranch_execz .LBB53_9
.LBB53_5:                               ; =>This Inner Loop Header: Depth=1
	v_lshlrev_b64 v[3:4], 3, v[1:2]
	s_or_b32 s13, s13, exec_lo
	s_mov_b32 s20, exec_lo
	s_delay_alu instid0(VALU_DEP_1) | instskip(NEXT) | instid1(VALU_DEP_2)
	v_add_co_u32 v3, vcc_lo, s14, v3
	v_add_co_ci_u32_e32 v4, vcc_lo, s26, v4, vcc_lo
	global_load_b64 v[3:4], v[3:4], off
	s_waitcnt vmcnt(0)
	v_fma_mix_f32 v5, v3, v3, v6 op_sel_hi:[1,1,0]
	s_delay_alu instid0(VALU_DEP_1) | instskip(NEXT) | instid1(VALU_DEP_1)
	v_fma_mix_f32 v3, v3, v3, v5 op_sel:[1,1,0] op_sel_hi:[1,1,0]
	v_fma_mix_f32 v5, v4, v4, v3 op_sel_hi:[1,1,0]
	v_add_nc_u32_e32 v3, v1, v7
	s_delay_alu instid0(VALU_DEP_2) | instskip(NEXT) | instid1(VALU_DEP_2)
	v_fma_mix_f32 v6, v4, v4, v5 op_sel:[1,1,0] op_sel_hi:[1,1,0]
	v_cmpx_gt_u32_e64 s8, v3
	s_cbranch_execz .LBB53_4
; %bb.6:                                ;   in Loop: Header=BB53_5 Depth=1
	v_mov_b32_e32 v4, v2
	s_mov_b32 s22, -1
	s_mov_b32 s21, exec_lo
	s_delay_alu instid0(VALU_DEP_1) | instskip(NEXT) | instid1(VALU_DEP_1)
	v_lshlrev_b64 v[4:5], 3, v[3:4]
	v_add_co_u32 v4, vcc_lo, s14, v4
	s_delay_alu instid0(VALU_DEP_2) | instskip(SKIP_3) | instid1(VALU_DEP_1)
	v_add_co_ci_u32_e32 v5, vcc_lo, s26, v5, vcc_lo
	global_load_b64 v[4:5], v[4:5], off
	s_waitcnt vmcnt(0)
	v_fma_mix_f32 v6, v4, v4, v6 op_sel_hi:[1,1,0]
	v_fma_mix_f32 v4, v4, v4, v6 op_sel:[1,1,0] op_sel_hi:[1,1,0]
	s_delay_alu instid0(VALU_DEP_1) | instskip(SKIP_1) | instid1(VALU_DEP_2)
	v_fma_mix_f32 v6, v5, v5, v4 op_sel_hi:[1,1,0]
	v_add_nc_u32_e32 v4, v9, v1
	v_fma_mix_f32 v6, v5, v5, v6 op_sel:[1,1,0] op_sel_hi:[1,1,0]
	s_delay_alu instid0(VALU_DEP_2)
	v_cmpx_gt_u32_e64 s8, v4
	s_cbranch_execz .LBB53_3
; %bb.7:                                ;   in Loop: Header=BB53_5 Depth=1
	v_mov_b32_e32 v5, v2
	v_add_nc_u32_e32 v1, v8, v1
	s_mov_b32 s23, -1
	s_mov_b32 s22, exec_lo
	s_delay_alu instid0(VALU_DEP_2) | instskip(NEXT) | instid1(VALU_DEP_1)
	v_lshlrev_b64 v[4:5], 3, v[4:5]
	v_add_co_u32 v4, vcc_lo, s14, v4
	s_delay_alu instid0(VALU_DEP_2) | instskip(SKIP_3) | instid1(VALU_DEP_1)
	v_add_co_ci_u32_e32 v5, vcc_lo, s26, v5, vcc_lo
	global_load_b64 v[4:5], v[4:5], off
	s_waitcnt vmcnt(0)
	v_fma_mix_f32 v6, v4, v4, v6 op_sel_hi:[1,1,0]
	v_fma_mix_f32 v4, v4, v4, v6 op_sel:[1,1,0] op_sel_hi:[1,1,0]
	s_delay_alu instid0(VALU_DEP_1) | instskip(NEXT) | instid1(VALU_DEP_1)
	v_fma_mix_f32 v4, v5, v5, v4 op_sel_hi:[1,1,0]
	v_fma_mix_f32 v6, v5, v5, v4 op_sel:[1,1,0] op_sel_hi:[1,1,0]
	v_cmpx_gt_u32_e64 s8, v1
	s_xor_b32 s22, exec_lo, s22
	s_cbranch_execz .LBB53_2
; %bb.8:                                ;   in Loop: Header=BB53_5 Depth=1
	v_lshlrev_b64 v[4:5], 3, v[1:2]
	s_delay_alu instid0(VALU_DEP_1) | instskip(NEXT) | instid1(VALU_DEP_2)
	v_add_co_u32 v4, vcc_lo, s14, v4
	v_add_co_ci_u32_e32 v5, vcc_lo, s26, v5, vcc_lo
	global_load_b64 v[4:5], v[4:5], off
	s_waitcnt vmcnt(0)
	v_fma_mix_f32 v1, v4, v4, v6 op_sel_hi:[1,1,0]
	s_delay_alu instid0(VALU_DEP_1) | instskip(SKIP_1) | instid1(VALU_DEP_2)
	v_fma_mix_f32 v4, v4, v4, v1 op_sel:[1,1,0] op_sel_hi:[1,1,0]
	v_add3_u32 v1, v10, v7, v3
	v_fma_mix_f32 v3, v5, v5, v4 op_sel_hi:[1,1,0]
	s_delay_alu instid0(VALU_DEP_2) | instskip(NEXT) | instid1(VALU_DEP_2)
	v_cmp_le_u32_e32 vcc_lo, s8, v1
	v_fma_mix_f32 v6, v5, v5, v3 op_sel:[1,1,0] op_sel_hi:[1,1,0]
	s_or_not1_b32 s23, vcc_lo, exec_lo
	s_branch .LBB53_2
.LBB53_9:
	s_or_b32 exec_lo, exec_lo, s9
.LBB53_10:
	s_delay_alu instid0(SALU_CYCLE_1) | instskip(SKIP_3) | instid1(VALU_DEP_2)
	s_or_b32 exec_lo, exec_lo, s3
	v_mbcnt_lo_u32_b32 v1, -1, 0
	s_load_b32 s3, s[18:19], 0xc
	v_and_b32_e32 v7, 0x3e0, v0
	v_cmp_ne_u32_e32 vcc_lo, 31, v1
	v_add_nc_u32_e32 v3, 1, v1
	v_add_co_ci_u32_e32 v2, vcc_lo, 0, v1, vcc_lo
	v_cmp_gt_u32_e32 vcc_lo, 30, v1
	s_delay_alu instid0(VALU_DEP_2)
	v_lshlrev_b32_e32 v2, 2, v2
	v_cndmask_b32_e64 v5, 0, 1, vcc_lo
	ds_bpermute_b32 v4, v2, v6
	s_waitcnt lgkmcnt(0)
	s_and_b32 s27, s3, 0xffff
	v_lshlrev_b32_e32 v5, 1, v5
	v_sub_nc_u32_e64 v12, s27, v7 clamp
	s_mov_b32 s3, exec_lo
	s_delay_alu instid0(VALU_DEP_1) | instskip(SKIP_2) | instid1(VALU_DEP_2)
	v_cmp_lt_u32_e32 vcc_lo, v3, v12
	v_add_f32_e32 v7, v6, v4
	v_add_lshl_u32 v4, v5, v1, 2
	v_cndmask_b32_e32 v7, v6, v7, vcc_lo
	v_cmp_gt_u32_e32 vcc_lo, 28, v1
	v_cndmask_b32_e64 v5, 0, 1, vcc_lo
	s_delay_alu instid0(VALU_DEP_1) | instskip(SKIP_2) | instid1(VALU_DEP_1)
	v_lshlrev_b32_e32 v8, 2, v5
	ds_bpermute_b32 v6, v4, v7
	v_add_nc_u32_e32 v5, 2, v1
	v_cmp_lt_u32_e32 vcc_lo, v5, v12
	s_waitcnt lgkmcnt(0)
	v_add_f32_e32 v9, v7, v6
	v_add_lshl_u32 v6, v8, v1, 2
	s_delay_alu instid0(VALU_DEP_2) | instskip(SKIP_3) | instid1(VALU_DEP_1)
	v_cndmask_b32_e32 v9, v7, v9, vcc_lo
	v_cmp_gt_u32_e32 vcc_lo, 24, v1
	ds_bpermute_b32 v8, v6, v9
	v_cndmask_b32_e64 v7, 0, 1, vcc_lo
	v_lshlrev_b32_e32 v10, 3, v7
	v_add_nc_u32_e32 v7, 4, v1
	s_delay_alu instid0(VALU_DEP_1) | instskip(SKIP_3) | instid1(VALU_DEP_2)
	v_cmp_lt_u32_e32 vcc_lo, v7, v12
	s_waitcnt lgkmcnt(0)
	v_add_f32_e32 v11, v9, v8
	v_add_lshl_u32 v8, v10, v1, 2
	v_cndmask_b32_e32 v11, v9, v11, vcc_lo
	v_cmp_gt_u32_e32 vcc_lo, 16, v1
	ds_bpermute_b32 v10, v8, v11
	v_cndmask_b32_e64 v9, 0, 1, vcc_lo
	s_delay_alu instid0(VALU_DEP_1) | instskip(SKIP_1) | instid1(VALU_DEP_1)
	v_lshlrev_b32_e32 v13, 4, v9
	v_add_nc_u32_e32 v9, 8, v1
	v_cmp_lt_u32_e32 vcc_lo, v9, v12
	s_waitcnt lgkmcnt(0)
	v_add_f32_e32 v14, v11, v10
	v_add_lshl_u32 v10, v13, v1, 2
	s_delay_alu instid0(VALU_DEP_2)
	v_cndmask_b32_e32 v13, v11, v14, vcc_lo
	v_add_nc_u32_e32 v11, 16, v1
	ds_bpermute_b32 v14, v10, v13
	v_cmp_lt_u32_e32 vcc_lo, v11, v12
	s_waitcnt lgkmcnt(0)
	v_add_f32_e32 v14, v13, v14
	s_delay_alu instid0(VALU_DEP_1)
	v_cndmask_b32_e32 v12, v13, v14, vcc_lo
	v_cmpx_eq_u32_e32 0, v1
	s_cbranch_execz .LBB53_12
; %bb.11:
	v_lshrrev_b32_e32 v13, 3, v0
	s_delay_alu instid0(VALU_DEP_1)
	v_and_b32_e32 v13, 0x7c, v13
	ds_store_b32 v13, v12 offset:4096
.LBB53_12:
	s_or_b32 exec_lo, exec_lo, s3
	s_delay_alu instid0(SALU_CYCLE_1)
	s_mov_b32 s3, exec_lo
	s_waitcnt lgkmcnt(0)
	s_barrier
	buffer_gl0_inv
	v_cmpx_gt_u32_e32 32, v0
	s_cbranch_execz .LBB53_14
; %bb.13:
	v_lshlrev_b32_e32 v1, 2, v1
	s_add_i32 s9, s27, 31
	s_delay_alu instid0(SALU_CYCLE_1) | instskip(NEXT) | instid1(SALU_CYCLE_1)
	s_lshr_b32 s9, s9, 5
	v_cmp_gt_u32_e32 vcc_lo, s9, v3
	ds_load_b32 v1, v1 offset:4096
	s_waitcnt lgkmcnt(0)
	ds_bpermute_b32 v2, v2, v1
	s_waitcnt lgkmcnt(0)
	v_add_f32_e32 v2, v1, v2
	s_delay_alu instid0(VALU_DEP_1) | instskip(SKIP_4) | instid1(VALU_DEP_1)
	v_cndmask_b32_e32 v1, v1, v2, vcc_lo
	v_cmp_gt_u32_e32 vcc_lo, s9, v5
	ds_bpermute_b32 v2, v4, v1
	s_waitcnt lgkmcnt(0)
	v_add_f32_e32 v2, v1, v2
	v_cndmask_b32_e32 v1, v1, v2, vcc_lo
	v_cmp_gt_u32_e32 vcc_lo, s9, v7
	ds_bpermute_b32 v2, v6, v1
	s_waitcnt lgkmcnt(0)
	v_add_f32_e32 v2, v1, v2
	s_delay_alu instid0(VALU_DEP_1) | instskip(SKIP_4) | instid1(VALU_DEP_1)
	v_cndmask_b32_e32 v1, v1, v2, vcc_lo
	v_cmp_gt_u32_e32 vcc_lo, s9, v9
	ds_bpermute_b32 v2, v8, v1
	s_waitcnt lgkmcnt(0)
	v_add_f32_e32 v2, v1, v2
	v_cndmask_b32_e32 v1, v1, v2, vcc_lo
	v_cmp_gt_u32_e32 vcc_lo, s9, v11
	ds_bpermute_b32 v2, v10, v1
	s_waitcnt lgkmcnt(0)
	v_add_f32_e32 v2, v1, v2
	s_delay_alu instid0(VALU_DEP_1)
	v_cndmask_b32_e32 v12, v1, v2, vcc_lo
.LBB53_14:
	s_or_b32 exec_lo, exec_lo, s3
	s_delay_alu instid0(SALU_CYCLE_1)
	s_mov_b32 s3, exec_lo
	v_cmpx_eq_u32_e32 0, v0
	s_cbranch_execz .LBB53_16
; %bb.15:
	v_cvt_f32_i32_e32 v1, s17
	s_delay_alu instid0(VALU_DEP_1) | instskip(SKIP_1) | instid1(VALU_DEP_2)
	v_div_scale_f32 v2, null, v1, v1, v12
	v_div_scale_f32 v5, vcc_lo, v12, v1, v12
	v_rcp_f32_e32 v3, v2
	s_waitcnt_depctr 0xfff
	v_fma_f32 v4, -v2, v3, 1.0
	s_delay_alu instid0(VALU_DEP_1) | instskip(NEXT) | instid1(VALU_DEP_1)
	v_fmac_f32_e32 v3, v4, v3
	v_mul_f32_e32 v4, v5, v3
	s_delay_alu instid0(VALU_DEP_1) | instskip(NEXT) | instid1(VALU_DEP_1)
	v_fma_f32 v6, -v2, v4, v5
	v_fmac_f32_e32 v4, v6, v3
	s_delay_alu instid0(VALU_DEP_1) | instskip(NEXT) | instid1(VALU_DEP_1)
	v_fma_f32 v2, -v2, v4, v5
	v_div_fmas_f32 v2, v2, v3, v4
	s_delay_alu instid0(VALU_DEP_1) | instskip(NEXT) | instid1(VALU_DEP_1)
	v_div_fixup_f32 v1, v2, v1, v12
	v_add_f32_e32 v1, s16, v1
	s_delay_alu instid0(VALU_DEP_1) | instskip(SKIP_1) | instid1(VALU_DEP_2)
	v_mul_f32_e32 v2, 0x4b800000, v1
	v_cmp_gt_f32_e32 vcc_lo, 0x800000, v1
	v_cndmask_b32_e32 v1, v1, v2, vcc_lo
	s_delay_alu instid0(VALU_DEP_1) | instskip(SKIP_2) | instid1(VALU_DEP_1)
	v_rsq_f32_e32 v1, v1
	s_waitcnt_depctr 0xfff
	v_mul_f32_e32 v2, 0x45800000, v1
	v_dual_cndmask_b32 v1, v1, v2 :: v_dual_mov_b32 v2, 0
	ds_store_b32 v2, v1 offset:4224
.LBB53_16:
	s_or_b32 exec_lo, exec_lo, s3
	s_ashr_i32 s13, s17, 31
	s_waitcnt lgkmcnt(0)
	s_lshr_b32 s3, s13, 25
	s_barrier
	s_add_i32 s3, s17, s3
	buffer_gl0_inv
	s_ashr_i32 s16, s3, 7
	s_ashr_i32 s3, s3, 31
	s_abs_i32 s9, s16
	s_delay_alu instid0(SALU_CYCLE_1) | instskip(SKIP_1) | instid1(VALU_DEP_1)
	v_cvt_f32_u32_e32 v1, s9
	s_sub_i32 s18, 0, s9
	v_rcp_iflag_f32_e32 v1, v1
	s_waitcnt_depctr 0xfff
	v_mul_f32_e32 v1, 0x4f7ffffe, v1
	s_delay_alu instid0(VALU_DEP_1) | instskip(NEXT) | instid1(VALU_DEP_1)
	v_cvt_u32_f32_e32 v1, v1
	v_readfirstlane_b32 s17, v1
	s_delay_alu instid0(VALU_DEP_1) | instskip(NEXT) | instid1(SALU_CYCLE_1)
	s_mul_i32 s18, s18, s17
	s_mul_hi_u32 s18, s17, s18
	s_delay_alu instid0(SALU_CYCLE_1) | instskip(NEXT) | instid1(SALU_CYCLE_1)
	s_add_i32 s17, s17, s18
	s_mul_hi_u32 s17, s27, s17
	s_delay_alu instid0(SALU_CYCLE_1) | instskip(SKIP_2) | instid1(SALU_CYCLE_1)
	s_mul_i32 s18, s17, s9
	s_add_i32 s19, s17, 1
	s_sub_i32 s18, s27, s18
	s_sub_i32 s20, s18, s9
	s_cmp_ge_u32 s18, s9
	s_cselect_b32 s17, s19, s17
	s_cselect_b32 s18, s20, s18
	s_add_i32 s19, s17, 1
	s_cmp_ge_u32 s18, s9
	s_cselect_b32 s9, s19, s17
	s_delay_alu instid0(SALU_CYCLE_1) | instskip(NEXT) | instid1(SALU_CYCLE_1)
	s_xor_b32 s9, s9, s3
	s_sub_i32 s18, s9, s3
	s_delay_alu instid0(SALU_CYCLE_1) | instskip(SKIP_3) | instid1(VALU_DEP_1)
	s_abs_i32 s3, s18
	s_ashr_i32 s19, s18, 31
	v_cvt_f32_u32_e32 v1, s3
	s_sub_i32 s9, 0, s3
	v_rcp_iflag_f32_e32 v1, v1
	s_waitcnt_depctr 0xfff
	v_mul_f32_e32 v1, 0x4f7ffffe, v1
	s_delay_alu instid0(VALU_DEP_1) | instskip(NEXT) | instid1(VALU_DEP_1)
	v_cvt_u32_f32_e32 v1, v1
	v_mul_lo_u32 v2, s9, v1
	s_ashr_i32 s9, s8, 31
	s_delay_alu instid0(VALU_DEP_1) | instskip(NEXT) | instid1(VALU_DEP_1)
	v_mul_hi_u32 v2, v1, v2
	v_add_nc_u32_e32 v1, v1, v2
	s_delay_alu instid0(VALU_DEP_1) | instskip(NEXT) | instid1(VALU_DEP_1)
	v_mul_hi_u32 v1, v0, v1
	v_mul_lo_u32 v2, v1, s3
	v_add_nc_u32_e32 v3, 1, v1
	s_delay_alu instid0(VALU_DEP_2) | instskip(NEXT) | instid1(VALU_DEP_1)
	v_sub_nc_u32_e32 v2, v0, v2
	v_subrev_nc_u32_e32 v4, s3, v2
	v_cmp_le_u32_e32 vcc_lo, s3, v2
	s_delay_alu instid0(VALU_DEP_2) | instskip(NEXT) | instid1(VALU_DEP_1)
	v_dual_cndmask_b32 v1, v1, v3 :: v_dual_cndmask_b32 v2, v2, v4
	v_dual_mov_b32 v4, 0 :: v_dual_add_nc_u32 v3, 1, v1
	s_delay_alu instid0(VALU_DEP_2) | instskip(SKIP_2) | instid1(VALU_DEP_1)
	v_cmp_le_u32_e32 vcc_lo, s3, v2
	ds_load_b32 v28, v4 offset:4224
	v_cndmask_b32_e32 v1, v1, v3, vcc_lo
	v_xor_b32_e32 v1, s19, v1
	s_delay_alu instid0(VALU_DEP_1) | instskip(NEXT) | instid1(VALU_DEP_1)
	v_subrev_nc_u32_e32 v1, s19, v1
	v_ashrrev_i32_e32 v2, 31, v1
	v_mul_lo_u32 v3, v1, s18
	s_delay_alu instid0(VALU_DEP_2) | instskip(NEXT) | instid1(VALU_DEP_2)
	v_lshlrev_b64 v[7:8], 5, v[1:2]
	v_sub_nc_u32_e32 v3, v0, v3
	s_delay_alu instid0(VALU_DEP_2) | instskip(NEXT) | instid1(VALU_DEP_3)
	v_add_co_u32 v5, vcc_lo, v7, 32
	v_add_co_ci_u32_e32 v6, vcc_lo, 0, v8, vcc_lo
	s_delay_alu instid0(VALU_DEP_1) | instskip(SKIP_4) | instid1(VALU_DEP_3)
	v_cmp_gt_i64_e32 vcc_lo, s[8:9], v[5:6]
	v_cndmask_b32_e32 v6, s9, v6, vcc_lo
	v_cndmask_b32_e32 v5, s8, v5, vcc_lo
	v_add_co_u32 v7, vcc_lo, v7, v3
	v_add_co_ci_u32_e32 v8, vcc_lo, 0, v8, vcc_lo
	v_ashrrev_i32_e32 v10, 31, v5
	v_mov_b32_e32 v9, v5
	s_mov_b32 s9, exec_lo
	s_delay_alu instid0(VALU_DEP_1)
	v_cmpx_lt_i64_e64 v[7:8], v[9:10]
	s_cbranch_execz .LBB53_26
; %bb.17:
	v_lshlrev_b64 v[11:12], 8, v[1:2]
	v_lshlrev_b64 v[13:14], 3, v[3:4]
	v_mov_b32_e32 v4, 0
	s_lshl_b64 s[20:21], s[18:19], 5
	s_mul_hi_i32 s17, s18, 3
	s_mul_i32 s28, s18, 3
	s_lshl_b64 s[22:23], s[18:19], 1
	v_add_co_u32 v19, vcc_lo, v11, v13
	v_add_co_ci_u32_e32 v20, vcc_lo, v12, v14, vcc_lo
	v_dual_mov_b32 v12, v8 :: v_dual_mov_b32 v11, v7
	s_lshl_b64 s[24:25], s[18:19], 3
	s_mov_b32 s29, 0
                                        ; implicit-def: $sgpr30
	s_branch .LBB53_21
.LBB53_18:                              ;   in Loop: Header=BB53_21 Depth=1
	s_or_b32 exec_lo, exec_lo, s34
	s_delay_alu instid0(SALU_CYCLE_1)
	s_or_not1_b32 s3, s3, exec_lo
.LBB53_19:                              ;   in Loop: Header=BB53_21 Depth=1
	s_or_b32 exec_lo, exec_lo, s33
	s_delay_alu instid0(SALU_CYCLE_1) | instskip(SKIP_1) | instid1(SALU_CYCLE_1)
	s_and_not1_b32 s30, s30, exec_lo
	s_and_b32 s3, s3, exec_lo
	s_or_b32 s30, s30, s3
.LBB53_20:                              ;   in Loop: Header=BB53_21 Depth=1
	s_or_b32 exec_lo, exec_lo, s31
	s_delay_alu instid0(SALU_CYCLE_1) | instskip(NEXT) | instid1(SALU_CYCLE_1)
	s_and_b32 s3, exec_lo, s30
	s_or_b32 s29, s3, s29
	s_delay_alu instid0(SALU_CYCLE_1)
	s_and_not1_b32 exec_lo, exec_lo, s29
	s_cbranch_execz .LBB53_25
.LBB53_21:                              ; =>This Inner Loop Header: Depth=1
	v_add_co_u32 v17, vcc_lo, s10, v19
	v_add_co_ci_u32_e32 v18, vcc_lo, s11, v20, vcc_lo
	v_add_co_u32 v15, vcc_lo, s14, v19
	v_add_co_ci_u32_e32 v16, vcc_lo, s26, v20, vcc_lo
	s_or_b32 s30, s30, exec_lo
	global_load_b64 v[13:14], v[17:18], off
	global_load_b64 v[21:22], v[15:16], off
	s_mov_b32 s31, exec_lo
	s_waitcnt vmcnt(1)
	v_lshrrev_b32_e32 v23, 16, v13
	s_waitcnt vmcnt(0) lgkmcnt(0)
	v_fma_mixlo_f16 v24, v28, v21, 0 op_sel_hi:[0,1,0]
	v_fma_mixlo_f16 v21, v28, v21, 0 op_sel:[0,1,0] op_sel_hi:[0,1,0]
	v_lshrrev_b32_e32 v25, 16, v14
	v_fma_mixlo_f16 v26, v28, v22, 0 op_sel_hi:[0,1,0]
	v_fma_mixlo_f16 v22, v28, v22, 0 op_sel:[0,1,0] op_sel_hi:[0,1,0]
	v_mul_f16_e32 v13, v13, v24
	v_mul_f16_e32 v21, v23, v21
	s_delay_alu instid0(VALU_DEP_4) | instskip(NEXT) | instid1(VALU_DEP_4)
	v_mul_f16_e32 v23, v14, v26
	v_mul_f16_e32 v22, v25, v22
	s_delay_alu instid0(VALU_DEP_4) | instskip(NEXT) | instid1(VALU_DEP_4)
	v_cvt_f32_f16_e64 v24, |v13|
	v_cvt_f32_f16_e64 v21, |v21|
	v_add_co_u32 v13, vcc_lo, v11, s18
	v_cvt_f32_f16_e64 v23, |v23|
	v_add_co_ci_u32_e32 v14, vcc_lo, s19, v12, vcc_lo
	s_delay_alu instid0(VALU_DEP_4) | instskip(SKIP_1) | instid1(VALU_DEP_1)
	v_max3_f32 v4, v4, v24, v21
	v_cvt_f32_f16_e64 v21, |v22|
	v_max3_f32 v4, v4, v23, v21
	s_delay_alu instid0(VALU_DEP_4)
	v_cmpx_lt_i64_e64 v[13:14], v[9:10]
	s_cbranch_execz .LBB53_20
; %bb.22:                               ;   in Loop: Header=BB53_21 Depth=1
	v_add_co_u32 v17, vcc_lo, v17, s24
	v_add_co_ci_u32_e32 v18, vcc_lo, s25, v18, vcc_lo
	v_add_co_u32 v15, vcc_lo, v15, s24
	v_add_co_ci_u32_e32 v16, vcc_lo, s25, v16, vcc_lo
	s_mov_b32 s3, -1
	global_load_b64 v[21:22], v[17:18], off
	global_load_b64 v[23:24], v[15:16], off
	s_mov_b32 s33, exec_lo
	s_waitcnt vmcnt(1)
	v_lshrrev_b32_e32 v25, 16, v21
	s_waitcnt vmcnt(0)
	v_fma_mixlo_f16 v26, v28, v23, 0 op_sel_hi:[0,1,0]
	v_fma_mixlo_f16 v23, v28, v23, 0 op_sel:[0,1,0] op_sel_hi:[0,1,0]
	v_lshrrev_b32_e32 v27, 16, v22
	v_fma_mixlo_f16 v29, v28, v24, 0 op_sel_hi:[0,1,0]
	v_fma_mixlo_f16 v24, v28, v24, 0 op_sel:[0,1,0] op_sel_hi:[0,1,0]
	v_mul_f16_e32 v21, v21, v26
	v_mul_f16_e32 v23, v25, v23
	s_delay_alu instid0(VALU_DEP_4) | instskip(NEXT) | instid1(VALU_DEP_4)
	v_mul_f16_e32 v25, v22, v29
	v_mul_f16_e32 v24, v27, v24
	s_delay_alu instid0(VALU_DEP_4) | instskip(NEXT) | instid1(VALU_DEP_4)
	v_cvt_f32_f16_e64 v26, |v21|
	v_cvt_f32_f16_e64 v23, |v23|
	v_add_co_u32 v21, vcc_lo, s22, v11
	v_cvt_f32_f16_e64 v25, |v25|
	v_add_co_ci_u32_e32 v22, vcc_lo, s23, v12, vcc_lo
	s_delay_alu instid0(VALU_DEP_4) | instskip(SKIP_1) | instid1(VALU_DEP_1)
	v_max3_f32 v4, v4, v26, v23
	v_cvt_f32_f16_e64 v23, |v24|
	v_max3_f32 v4, v4, v25, v23
	s_delay_alu instid0(VALU_DEP_4)
	v_cmpx_lt_i64_e64 v[21:22], v[9:10]
	s_cbranch_execz .LBB53_19
; %bb.23:                               ;   in Loop: Header=BB53_21 Depth=1
	v_add_co_u32 v17, vcc_lo, v17, s24
	v_add_co_ci_u32_e32 v18, vcc_lo, s25, v18, vcc_lo
	v_add_co_u32 v15, vcc_lo, v15, s24
	v_add_co_ci_u32_e32 v16, vcc_lo, s25, v16, vcc_lo
	v_add_co_u32 v11, vcc_lo, s28, v11
	global_load_b64 v[21:22], v[17:18], off
	global_load_b64 v[23:24], v[15:16], off
	v_add_co_ci_u32_e32 v12, vcc_lo, s17, v12, vcc_lo
	s_delay_alu instid0(VALU_DEP_1)
	v_cmp_lt_i64_e32 vcc_lo, v[11:12], v[9:10]
                                        ; implicit-def: $vgpr11_vgpr12
	s_waitcnt vmcnt(1)
	v_lshrrev_b32_e32 v25, 16, v21
	s_waitcnt vmcnt(0)
	v_fma_mixlo_f16 v26, v28, v23, 0 op_sel_hi:[0,1,0]
	v_fma_mixlo_f16 v23, v28, v23, 0 op_sel:[0,1,0] op_sel_hi:[0,1,0]
	v_lshrrev_b32_e32 v27, 16, v22
	v_fma_mixlo_f16 v29, v28, v24, 0 op_sel_hi:[0,1,0]
	v_fma_mixlo_f16 v24, v28, v24, 0 op_sel:[0,1,0] op_sel_hi:[0,1,0]
	v_mul_f16_e32 v21, v21, v26
	v_mul_f16_e32 v23, v25, v23
	s_delay_alu instid0(VALU_DEP_4) | instskip(NEXT) | instid1(VALU_DEP_4)
	v_mul_f16_e32 v22, v22, v29
	v_mul_f16_e32 v24, v27, v24
	s_delay_alu instid0(VALU_DEP_4) | instskip(NEXT) | instid1(VALU_DEP_4)
	v_cvt_f32_f16_e64 v21, |v21|
	v_cvt_f32_f16_e64 v23, |v23|
	s_delay_alu instid0(VALU_DEP_4) | instskip(NEXT) | instid1(VALU_DEP_2)
	v_cvt_f32_f16_e64 v22, |v22|
	v_max3_f32 v4, v4, v21, v23
	v_cvt_f32_f16_e64 v21, |v24|
	s_delay_alu instid0(VALU_DEP_1) | instskip(SKIP_1) | instid1(SALU_CYCLE_1)
	v_max3_f32 v4, v4, v22, v21
	s_and_saveexec_b32 s34, vcc_lo
	s_xor_b32 s34, exec_lo, s34
	s_cbranch_execz .LBB53_18
; %bb.24:                               ;   in Loop: Header=BB53_21 Depth=1
	v_add_co_u32 v11, vcc_lo, v17, s24
	v_add_co_ci_u32_e32 v12, vcc_lo, s25, v18, vcc_lo
	v_add_co_u32 v15, vcc_lo, v15, s24
	v_add_co_ci_u32_e32 v16, vcc_lo, s25, v16, vcc_lo
	s_add_u32 s3, s18, s18
	global_load_b64 v[11:12], v[11:12], off
	global_load_b64 v[15:16], v[15:16], off
	s_addc_u32 s35, s19, s19
	s_add_u32 s3, s3, s18
	s_addc_u32 s35, s35, s19
	s_waitcnt vmcnt(1)
	v_lshrrev_b32_e32 v17, 16, v11
	s_waitcnt vmcnt(0)
	v_fma_mixlo_f16 v18, v28, v15, 0 op_sel_hi:[0,1,0]
	v_fma_mixlo_f16 v15, v28, v15, 0 op_sel:[0,1,0] op_sel_hi:[0,1,0]
	v_lshrrev_b32_e32 v21, 16, v12
	v_fma_mixlo_f16 v22, v28, v16, 0 op_sel_hi:[0,1,0]
	v_fma_mixlo_f16 v16, v28, v16, 0 op_sel:[0,1,0] op_sel_hi:[0,1,0]
	v_mul_f16_e32 v11, v11, v18
	v_mul_f16_e32 v15, v17, v15
	s_delay_alu instid0(VALU_DEP_4) | instskip(NEXT) | instid1(VALU_DEP_4)
	v_mul_f16_e32 v17, v12, v22
	v_mul_f16_e32 v16, v21, v16
	s_delay_alu instid0(VALU_DEP_4) | instskip(NEXT) | instid1(VALU_DEP_4)
	v_cvt_f32_f16_e64 v18, |v11|
	v_cvt_f32_f16_e64 v15, |v15|
	v_add_co_u32 v11, vcc_lo, s3, v13
	v_add_co_ci_u32_e32 v12, vcc_lo, s35, v14, vcc_lo
	v_cvt_f32_f16_e64 v13, |v17|
	v_cvt_f32_f16_e64 v14, |v16|
	v_max3_f32 v4, v4, v18, v15
	s_delay_alu instid0(VALU_DEP_4) | instskip(SKIP_1) | instid1(VALU_DEP_1)
	v_cmp_ge_i64_e32 vcc_lo, v[11:12], v[9:10]
	v_add_co_u32 v19, s3, v19, s20
	v_add_co_ci_u32_e64 v20, s3, s21, v20, s3
	s_delay_alu instid0(VALU_DEP_4)
	v_max3_f32 v4, v4, v13, v14
	s_or_not1_b32 s3, vcc_lo, exec_lo
	s_branch .LBB53_18
.LBB53_25:
	s_or_b32 exec_lo, exec_lo, s29
.LBB53_26:
	s_delay_alu instid0(SALU_CYCLE_1)
	s_or_b32 exec_lo, exec_lo, s9
	s_lshr_b32 s9, s27, 5
	v_lshlrev_b32_e32 v29, 2, v0
	v_cvt_f32_u32_e32 v9, s9
	s_sub_i32 s17, 0, s9
	s_add_i32 s20, s16, s9
	s_delay_alu instid0(SALU_CYCLE_1) | instskip(NEXT) | instid1(VALU_DEP_1)
	s_add_i32 s20, s20, -1
	v_rcp_iflag_f32_e32 v9, v9
	s_abs_i32 s21, s20
	s_ashr_i32 s20, s20, 31
	ds_store_b32 v29, v4
	s_waitcnt lgkmcnt(0)
	s_barrier
	buffer_gl0_inv
	v_mul_f32_e32 v9, 0x4f7ffffe, v9
	s_delay_alu instid0(VALU_DEP_1) | instskip(NEXT) | instid1(VALU_DEP_1)
	v_cvt_u32_f32_e32 v9, v9
	v_readfirstlane_b32 s3, v9
	s_delay_alu instid0(VALU_DEP_1) | instskip(NEXT) | instid1(SALU_CYCLE_1)
	s_mul_i32 s17, s17, s3
	s_mul_hi_u32 s17, s3, s17
	s_delay_alu instid0(SALU_CYCLE_1) | instskip(SKIP_2) | instid1(SALU_CYCLE_1)
	s_add_i32 s3, s3, s17
	s_ashr_i32 s17, s16, 31
	s_mul_hi_u32 s3, s21, s3
	s_mul_i32 s22, s3, s9
	s_delay_alu instid0(SALU_CYCLE_1)
	s_sub_i32 s21, s21, s22
	s_add_i32 s22, s3, 1
	s_sub_i32 s23, s21, s9
	s_cmp_ge_u32 s21, s9
	s_cselect_b32 s3, s22, s3
	s_cselect_b32 s21, s23, s21
	s_add_i32 s22, s3, 1
	s_cmp_ge_u32 s21, s9
	s_cselect_b32 s3, s22, s3
	s_delay_alu instid0(SALU_CYCLE_1) | instskip(NEXT) | instid1(SALU_CYCLE_1)
	s_xor_b32 s3, s3, s20
	s_sub_i32 s20, s3, s20
	s_delay_alu instid0(SALU_CYCLE_1) | instskip(NEXT) | instid1(SALU_CYCLE_1)
	s_ashr_i32 s21, s20, 31
	v_cmp_lt_i64_e64 s3, s[20:21], 1
	s_delay_alu instid0(VALU_DEP_1)
	s_and_b32 vcc_lo, exec_lo, s3
	s_cbranch_vccnz .LBB53_46
; %bb.27:
	v_lshrrev_b32_e32 v9, 5, v0
	v_and_b32_e32 v4, 31, v0
	s_mov_b64 s[22:23], 0
	s_mov_b64 s[24:25], src_shared_base
	s_delay_alu instid0(VALU_DEP_2) | instskip(NEXT) | instid1(VALU_DEP_2)
	v_mul_lo_u32 v19, s18, v9
	v_add_co_u32 v11, s3, v4, 16
	s_delay_alu instid0(VALU_DEP_1) | instskip(SKIP_1) | instid1(VALU_DEP_1)
	v_add_co_ci_u32_e64 v12, null, 0, 0, s3
	v_add_co_u32 v13, s3, v4, 8
	v_add_co_ci_u32_e64 v14, null, 0, 0, s3
	v_add_co_u32 v15, s3, v4, 4
	v_dual_mov_b32 v10, 0 :: v_dual_lshlrev_b32 v21, 2, v19
	v_lshlrev_b32_e32 v22, 2, v4
	v_add_co_ci_u32_e64 v16, null, 0, 0, s3
	v_add_co_u32 v17, s3, v4, 2
	s_delay_alu instid0(VALU_DEP_1) | instskip(SKIP_1) | instid1(VALU_DEP_1)
	v_add_co_ci_u32_e64 v18, null, 0, 0, s3
	v_add_co_u32 v19, s3, v4, 1
	v_add_co_ci_u32_e64 v20, null, 0, 0, s3
	v_add3_u32 v30, v21, v22, 0x80
	s_mul_i32 s3, s18, s9
	s_delay_alu instid0(SALU_CYCLE_1)
	s_lshl_b32 s28, s3, 2
	s_branch .LBB53_30
.LBB53_28:                              ;   in Loop: Header=BB53_30 Depth=1
	s_or_b32 exec_lo, exec_lo, s3
	v_mov_b32_e32 v22, s25
	flat_load_b32 v21, v[21:22] glc dlc
	s_waitcnt vmcnt(0)
.LBB53_29:                              ;   in Loop: Header=BB53_30 Depth=1
	s_or_b32 exec_lo, exec_lo, s24
	s_add_u32 s22, s22, 1
	v_add_nc_u32_e32 v30, s28, v30
	s_addc_u32 s23, s23, 0
	s_delay_alu instid0(SALU_CYCLE_1)
	s_cmp_eq_u64 s[22:23], s[20:21]
	s_cbranch_scc1 .LBB53_46
.LBB53_30:                              ; =>This Loop Header: Depth=1
                                        ;     Child Loop BB53_33 Depth 2
	s_waitcnt lgkmcnt(0)
	v_mad_u64_u32 v[21:22], null, s22, s9, v[9:10]
	s_mov_b32 s24, exec_lo
	s_delay_alu instid0(VALU_DEP_1) | instskip(NEXT) | instid1(VALU_DEP_1)
	v_mad_u64_u32 v[23:24], null, s23, s9, v[22:23]
	v_mov_b32_e32 v22, v23
	s_delay_alu instid0(VALU_DEP_1)
	v_cmpx_gt_i64_e64 s[16:17], v[21:22]
	s_cbranch_execz .LBB53_29
; %bb.31:                               ;   in Loop: Header=BB53_30 Depth=1
	v_mul_lo_u32 v24, v22, s18
	v_mul_lo_u32 v25, v21, s19
	v_mad_u64_u32 v[22:23], null, v21, s18, 0
	s_delay_alu instid0(VALU_DEP_1) | instskip(NEXT) | instid1(VALU_DEP_2)
	v_add3_u32 v23, v23, v25, v24
	v_add_co_u32 v24, vcc_lo, v22, s18
	v_add_co_u32 v31, s3, v22, v4
	s_delay_alu instid0(VALU_DEP_3) | instskip(SKIP_2) | instid1(VALU_DEP_2)
	v_add_co_ci_u32_e32 v25, vcc_lo, s19, v23, vcc_lo
	v_add_co_ci_u32_e64 v21, s3, 0, v23, s3
	s_mov_b32 s3, exec_lo
	v_cmp_gt_i64_e32 vcc_lo, s[12:13], v[24:25]
	v_cndmask_b32_e32 v25, s13, v25, vcc_lo
	v_cndmask_b32_e32 v24, s12, v24, vcc_lo
	v_add_co_u32 v26, vcc_lo, v31, 32
	v_add_co_ci_u32_e32 v27, vcc_lo, 0, v21, vcc_lo
	v_lshlrev_b32_e32 v21, 2, v31
	s_delay_alu instid0(VALU_DEP_2)
	v_cmpx_lt_i64_e64 v[26:27], v[24:25]
	s_cbranch_execz .LBB53_34
; %bb.32:                               ;   in Loop: Header=BB53_30 Depth=1
	ds_load_b32 v33, v21
	v_mov_b32_e32 v32, v30
	s_mov_b32 s29, 0
.LBB53_33:                              ;   Parent Loop BB53_30 Depth=1
                                        ; =>  This Inner Loop Header: Depth=2
	ds_load_b32 v34, v32
	v_add_co_u32 v26, vcc_lo, v26, 32
	v_add_co_ci_u32_e32 v27, vcc_lo, 0, v27, vcc_lo
	s_waitcnt lgkmcnt(1)
	v_dual_max_f32 v33, v33, v33 :: v_dual_add_nc_u32 v32, 0x80, v32
	s_delay_alu instid0(VALU_DEP_2) | instskip(SKIP_3) | instid1(VALU_DEP_1)
	v_cmp_ge_i64_e32 vcc_lo, v[26:27], v[24:25]
	s_or_b32 s29, vcc_lo, s29
	s_waitcnt lgkmcnt(0)
	v_max_f32_e32 v34, v34, v34
	v_max_f32_e32 v33, v33, v34
	ds_store_b32 v21, v33
	s_and_not1_b32 exec_lo, exec_lo, s29
	s_cbranch_execnz .LBB53_33
.LBB53_34:                              ;   in Loop: Header=BB53_30 Depth=1
	s_or_b32 exec_lo, exec_lo, s3
	v_sub_co_u32 v22, vcc_lo, v24, v22
	v_sub_co_ci_u32_e32 v23, vcc_lo, v25, v23, vcc_lo
	s_mov_b32 s3, exec_lo
	s_delay_alu instid0(VALU_DEP_1) | instskip(SKIP_1) | instid1(VALU_DEP_1)
	v_cmp_gt_i64_e32 vcc_lo, 32, v[22:23]
	v_dual_cndmask_b32 v24, 0, v23 :: v_dual_cndmask_b32 v23, 32, v22
	v_cmpx_lt_i64_e64 v[11:12], v[23:24]
	s_cbranch_execz .LBB53_36
; %bb.35:                               ;   in Loop: Header=BB53_30 Depth=1
	v_dual_mov_b32 v22, s25 :: v_dual_add_nc_u32 v25, 64, v21
	v_mov_b32_e32 v26, s25
	flat_load_b32 v27, v[21:22] glc dlc
	s_waitcnt vmcnt(0)
	flat_load_b32 v25, v[25:26] glc dlc
	s_waitcnt vmcnt(0) lgkmcnt(0)
	v_dual_max_f32 v26, v27, v27 :: v_dual_max_f32 v25, v25, v25
	s_delay_alu instid0(VALU_DEP_1)
	v_max_f32_e32 v25, v26, v25
	flat_store_b32 v[21:22], v25 dlc
	s_waitcnt_vscnt null, 0x0
.LBB53_36:                              ;   in Loop: Header=BB53_30 Depth=1
	s_or_b32 exec_lo, exec_lo, s3
	s_delay_alu instid0(SALU_CYCLE_1)
	s_mov_b32 s3, exec_lo
	v_cmpx_lt_i64_e64 v[13:14], v[23:24]
	s_cbranch_execz .LBB53_38
; %bb.37:                               ;   in Loop: Header=BB53_30 Depth=1
	v_dual_mov_b32 v22, s25 :: v_dual_add_nc_u32 v25, 32, v21
	v_mov_b32_e32 v26, s25
	flat_load_b32 v27, v[21:22] glc dlc
	s_waitcnt vmcnt(0)
	flat_load_b32 v25, v[25:26] glc dlc
	s_waitcnt vmcnt(0) lgkmcnt(0)
	v_dual_max_f32 v26, v27, v27 :: v_dual_max_f32 v25, v25, v25
	s_delay_alu instid0(VALU_DEP_1)
	v_max_f32_e32 v25, v26, v25
	flat_store_b32 v[21:22], v25 dlc
	s_waitcnt_vscnt null, 0x0
.LBB53_38:                              ;   in Loop: Header=BB53_30 Depth=1
	s_or_b32 exec_lo, exec_lo, s3
	s_delay_alu instid0(SALU_CYCLE_1)
	s_mov_b32 s3, exec_lo
	v_cmpx_ge_i64_e64 v[15:16], v[23:24]
	s_xor_b32 s3, exec_lo, s3
; %bb.39:                               ;   in Loop: Header=BB53_30 Depth=1
                                        ; implicit-def: $vgpr21
; %bb.40:                               ;   in Loop: Header=BB53_30 Depth=1
	s_delay_alu instid0(SALU_CYCLE_1)
	s_and_not1_saveexec_b32 s3, s3
	s_cbranch_execz .LBB53_42
; %bb.41:                               ;   in Loop: Header=BB53_30 Depth=1
	v_dual_mov_b32 v22, s25 :: v_dual_add_nc_u32 v25, 16, v21
	v_mov_b32_e32 v26, s25
	flat_load_b32 v27, v[21:22] glc dlc
	s_waitcnt vmcnt(0)
	flat_load_b32 v25, v[25:26] glc dlc
	s_waitcnt vmcnt(0) lgkmcnt(0)
	v_dual_max_f32 v26, v27, v27 :: v_dual_max_f32 v25, v25, v25
	s_delay_alu instid0(VALU_DEP_1)
	v_max_f32_e32 v25, v26, v25
	flat_store_b32 v[21:22], v25 dlc
	s_waitcnt_vscnt null, 0x0
.LBB53_42:                              ;   in Loop: Header=BB53_30 Depth=1
	s_or_b32 exec_lo, exec_lo, s3
	v_lshlrev_b32_e32 v21, 2, v31
	s_mov_b32 s3, exec_lo
	v_cmpx_lt_i64_e64 v[17:18], v[23:24]
	s_cbranch_execz .LBB53_44
; %bb.43:                               ;   in Loop: Header=BB53_30 Depth=1
	s_delay_alu instid0(VALU_DEP_2)
	v_dual_mov_b32 v22, s25 :: v_dual_add_nc_u32 v25, 8, v21
	v_mov_b32_e32 v26, s25
	flat_load_b32 v27, v[21:22] glc dlc
	s_waitcnt vmcnt(0)
	flat_load_b32 v25, v[25:26] glc dlc
	s_waitcnt vmcnt(0) lgkmcnt(0)
	v_dual_max_f32 v26, v27, v27 :: v_dual_max_f32 v25, v25, v25
	s_delay_alu instid0(VALU_DEP_1)
	v_max_f32_e32 v25, v26, v25
	flat_store_b32 v[21:22], v25 dlc
	s_waitcnt_vscnt null, 0x0
.LBB53_44:                              ;   in Loop: Header=BB53_30 Depth=1
	s_or_b32 exec_lo, exec_lo, s3
	s_delay_alu instid0(SALU_CYCLE_1)
	s_mov_b32 s3, exec_lo
	v_cmpx_lt_i64_e64 v[19:20], v[23:24]
	s_cbranch_execz .LBB53_28
; %bb.45:                               ;   in Loop: Header=BB53_30 Depth=1
	v_dual_mov_b32 v22, s25 :: v_dual_add_nc_u32 v23, 4, v21
	v_mov_b32_e32 v24, s25
	flat_load_b32 v25, v[21:22] glc dlc
	s_waitcnt vmcnt(0)
	flat_load_b32 v23, v[23:24] glc dlc
	s_waitcnt vmcnt(0) lgkmcnt(0)
	v_dual_max_f32 v24, v25, v25 :: v_dual_max_f32 v23, v23, v23
	s_delay_alu instid0(VALU_DEP_1)
	v_max_f32_e32 v23, v24, v23
	flat_store_b32 v[21:22], v23 dlc
	s_waitcnt_vscnt null, 0x0
	s_branch .LBB53_28
.LBB53_46:
	v_cmp_lt_i64_e32 vcc_lo, v[7:8], v[5:6]
	v_cmp_eq_u32_e64 s3, 0, v3
	s_mul_i32 s9, s17, s15
	s_mul_hi_u32 s18, s16, s15
	s_mul_i32 s16, s16, s15
	s_waitcnt lgkmcnt(0)
	s_and_b32 s17, s3, vcc_lo
	s_barrier
	buffer_gl0_inv
	s_and_saveexec_b32 s3, s17
	s_cbranch_execz .LBB53_50
; %bb.47:
	s_load_b64 s[0:1], s[0:1], 0x20
	ds_load_b32 v3, v29
	s_waitcnt lgkmcnt(0)
	s_cmp_eq_u64 s[0:1], 0
	s_cbranch_scc1 .LBB53_49
; %bb.48:
	s_load_b32 s0, s[0:1], 0x0
	v_max_f32_e32 v3, v3, v3
	s_waitcnt lgkmcnt(0)
	v_max_f32_e64 v4, s0, s0
	s_delay_alu instid0(VALU_DEP_1)
	v_min_f32_e32 v3, v3, v4
.LBB53_49:
	s_delay_alu instid0(VALU_DEP_1) | instskip(SKIP_2) | instid1(VALU_DEP_2)
	v_div_scale_f32 v4, null, 0x42fe0000, 0x42fe0000, v3
	v_div_scale_f32 v7, vcc_lo, v3, 0x42fe0000, v3
	s_add_i32 s17, s18, s9
	v_rcp_f32_e32 v5, v4
	v_lshlrev_b64 v[1:2], 2, v[1:2]
	s_lshl_b64 s[0:1], s[16:17], 2
	s_delay_alu instid0(SALU_CYCLE_1) | instskip(SKIP_3) | instid1(VALU_DEP_1)
	s_add_u32 s0, s6, s0
	s_addc_u32 s1, s7, s1
	s_waitcnt_depctr 0xfff
	v_fma_f32 v6, -v4, v5, 1.0
	v_fmac_f32_e32 v5, v6, v5
	s_delay_alu instid0(VALU_DEP_1) | instskip(NEXT) | instid1(VALU_DEP_1)
	v_mul_f32_e32 v6, v7, v5
	v_fma_f32 v8, -v4, v6, v7
	s_delay_alu instid0(VALU_DEP_1) | instskip(NEXT) | instid1(VALU_DEP_1)
	v_fmac_f32_e32 v6, v8, v5
	v_fma_f32 v4, -v4, v6, v7
	s_delay_alu instid0(VALU_DEP_1) | instskip(SKIP_2) | instid1(VALU_DEP_3)
	v_div_fmas_f32 v4, v4, v5, v6
	v_add_co_u32 v1, vcc_lo, s0, v1
	v_add_co_ci_u32_e32 v2, vcc_lo, s1, v2, vcc_lo
	v_div_fixup_f32 v3, v4, 0x42fe0000, v3
	s_delay_alu instid0(VALU_DEP_1)
	v_max_f32_e32 v3, 0x34000000, v3
	global_store_b32 v[1:2], v3, off
.LBB53_50:
	s_or_b32 exec_lo, exec_lo, s3
	s_waitcnt_vscnt null, 0x0
	s_barrier
	buffer_gl0_inv
	s_and_saveexec_b32 s0, s2
	s_cbranch_execz .LBB53_59
; %bb.51:
	s_mul_i32 s0, s13, s15
	s_mul_hi_u32 s1, s12, s15
	s_mul_i32 s2, s12, s15
	s_add_i32 s1, s1, s0
	s_add_u32 s2, s4, s2
	s_addc_u32 s3, s5, s1
	s_add_i32 s17, s18, s9
	v_mov_b32_e32 v1, 0
	s_lshl_b64 s[0:1], s[16:17], 2
	s_mul_i32 s4, s27, 3
	s_add_u32 s0, s6, s0
	s_addc_u32 s1, s7, s1
	s_lshl_b32 s5, s27, 1
	s_mov_b32 s6, 0
	s_add_i32 s7, s27, s27
                                        ; implicit-def: $sgpr9
	s_branch .LBB53_55
.LBB53_52:                              ;   in Loop: Header=BB53_55 Depth=1
	s_or_b32 exec_lo, exec_lo, s15
	s_delay_alu instid0(SALU_CYCLE_1)
	s_or_not1_b32 s15, s16, exec_lo
.LBB53_53:                              ;   in Loop: Header=BB53_55 Depth=1
	s_or_b32 exec_lo, exec_lo, s13
	s_delay_alu instid0(SALU_CYCLE_1) | instskip(SKIP_1) | instid1(SALU_CYCLE_1)
	s_and_not1_b32 s9, s9, exec_lo
	s_and_b32 s13, s15, exec_lo
	s_or_b32 s9, s9, s13
.LBB53_54:                              ;   in Loop: Header=BB53_55 Depth=1
	s_or_b32 exec_lo, exec_lo, s12
	s_delay_alu instid0(SALU_CYCLE_1) | instskip(NEXT) | instid1(SALU_CYCLE_1)
	s_and_b32 s12, exec_lo, s9
	s_or_b32 s6, s12, s6
	s_delay_alu instid0(SALU_CYCLE_1)
	s_and_not1_b32 exec_lo, exec_lo, s6
	s_cbranch_execz .LBB53_59
.LBB53_55:                              ; =>This Inner Loop Header: Depth=1
	v_lshrrev_b32_e32 v2, 3, v0
	s_or_b32 s9, s9, exec_lo
	s_mov_b32 s12, exec_lo
	s_delay_alu instid0(VALU_DEP_1) | instskip(SKIP_2) | instid1(VALU_DEP_1)
	v_and_b32_e32 v2, 0x7fffffc, v2
	global_load_b32 v6, v2, s[0:1]
	v_lshlrev_b64 v[2:3], 3, v[0:1]
	v_add_co_u32 v4, vcc_lo, s10, v2
	s_delay_alu instid0(VALU_DEP_2)
	v_add_co_ci_u32_e32 v5, vcc_lo, s11, v3, vcc_lo
	v_add_co_u32 v2, vcc_lo, s14, v2
	v_add_co_ci_u32_e32 v3, vcc_lo, s26, v3, vcc_lo
	global_load_b64 v[4:5], v[4:5], off
	global_load_b64 v[2:3], v[2:3], off
	s_waitcnt vmcnt(2)
	v_div_scale_f32 v7, null, v6, v6, 1.0
	v_div_scale_f32 v10, vcc_lo, 1.0, v6, 1.0
	s_delay_alu instid0(VALU_DEP_2)
	v_rcp_f32_e32 v8, v7
	s_waitcnt_depctr 0xfff
	v_fma_f32 v9, -v7, v8, 1.0
	s_waitcnt vmcnt(1)
	v_lshrrev_b32_e32 v12, 16, v4
	s_waitcnt vmcnt(0)
	v_fma_mixlo_f16 v14, v28, v2, 0 op_sel_hi:[0,1,0]
	v_fma_mixlo_f16 v2, v28, v2, 0 op_sel:[0,1,0] op_sel_hi:[0,1,0]
	v_fma_mixlo_f16 v13, v28, v3, 0 op_sel_hi:[0,1,0]
	v_fmac_f32_e32 v8, v9, v8
	v_fma_mixlo_f16 v3, v28, v3, 0 op_sel:[0,1,0] op_sel_hi:[0,1,0]
	v_mul_f16_e32 v4, v4, v14
	v_mul_f16_e32 v2, v12, v2
	s_delay_alu instid0(VALU_DEP_4) | instskip(NEXT) | instid1(VALU_DEP_3)
	v_mul_f32_e32 v9, v10, v8
	v_cvt_f32_f16_e32 v4, v4
	s_delay_alu instid0(VALU_DEP_3) | instskip(NEXT) | instid1(VALU_DEP_3)
	v_cvt_f32_f16_e32 v2, v2
	v_fma_f32 v11, -v7, v9, v10
	s_delay_alu instid0(VALU_DEP_1) | instskip(SKIP_2) | instid1(VALU_DEP_3)
	v_fmac_f32_e32 v9, v11, v8
	v_lshrrev_b32_e32 v11, 16, v5
	v_mul_f16_e32 v5, v5, v13
	v_fma_f32 v7, -v7, v9, v10
	s_delay_alu instid0(VALU_DEP_3) | instskip(NEXT) | instid1(VALU_DEP_3)
	v_mul_f16_e32 v3, v11, v3
	v_cvt_f32_f16_e32 v5, v5
	s_delay_alu instid0(VALU_DEP_3) | instskip(NEXT) | instid1(VALU_DEP_3)
	v_div_fmas_f32 v7, v7, v8, v9
	v_cvt_f32_f16_e32 v3, v3
	s_delay_alu instid0(VALU_DEP_2) | instskip(NEXT) | instid1(VALU_DEP_1)
	v_div_fixup_f32 v6, v7, v6, 1.0
	v_mul_f32_e32 v2, v6, v2
	v_mul_f32_e32 v5, v6, v5
	;; [unrolled: 1-line block ×3, first 2 shown]
	s_delay_alu instid0(VALU_DEP_3) | instskip(NEXT) | instid1(VALU_DEP_3)
	v_rndne_f32_e32 v2, v2
	v_rndne_f32_e32 v5, v5
	s_delay_alu instid0(VALU_DEP_3) | instskip(NEXT) | instid1(VALU_DEP_2)
	v_rndne_f32_e32 v4, v4
	v_cmp_nlt_f32_e32 vcc_lo, 0x42fe0000, v5
	v_dual_mul_f32 v3, v6, v3 :: v_dual_cndmask_b32 v6, 0x42fe0000, v5
	s_delay_alu instid0(VALU_DEP_3) | instskip(NEXT) | instid1(VALU_DEP_2)
	v_cmp_nlt_f32_e32 vcc_lo, 0x42fe0000, v4
	v_rndne_f32_e32 v3, v3
	v_cndmask_b32_e32 v7, 0x42fe0000, v4, vcc_lo
	v_cmp_nlt_f32_e32 vcc_lo, 0x42fe0000, v2
	v_cndmask_b32_e32 v8, 0x42fe0000, v2, vcc_lo
	v_cmp_ngt_f32_e32 vcc_lo, 0xc3000000, v5
	v_cndmask_b32_e32 v5, 0xc3000000, v6, vcc_lo
	v_cmp_nlt_f32_e32 vcc_lo, 0x42fe0000, v3
	s_delay_alu instid0(VALU_DEP_2) | instskip(SKIP_2) | instid1(VALU_DEP_3)
	v_cvt_i32_f32_e32 v5, v5
	v_cndmask_b32_e32 v6, 0x42fe0000, v3, vcc_lo
	v_cmp_ngt_f32_e32 vcc_lo, 0xc3000000, v2
	v_and_b32_e32 v5, 0xff, v5
	s_delay_alu instid0(VALU_DEP_1) | instskip(SKIP_1) | instid1(VALU_DEP_2)
	v_dual_cndmask_b32 v2, 0xc3000000, v8 :: v_dual_lshlrev_b32 v5, 16, v5
	v_cmp_ngt_f32_e32 vcc_lo, 0xc3000000, v4
	v_cvt_i32_f32_e32 v2, v2
	s_delay_alu instid0(VALU_DEP_1) | instskip(NEXT) | instid1(VALU_DEP_1)
	v_and_b32_e32 v2, 0xff, v2
	v_lshlrev_b32_e32 v8, 8, v2
	v_cndmask_b32_e32 v4, 0xc3000000, v7, vcc_lo
	v_cmp_ngt_f32_e32 vcc_lo, 0xc3000000, v3
	v_add_nc_u32_e32 v2, s27, v0
	v_cndmask_b32_e32 v3, 0xc3000000, v6, vcc_lo
	s_delay_alu instid0(VALU_DEP_4) | instskip(NEXT) | instid1(VALU_DEP_2)
	v_cvt_i32_f32_e32 v6, v4
	v_cvt_i32_f32_e32 v7, v3
	v_lshlrev_b64 v[3:4], 2, v[0:1]
	s_delay_alu instid0(VALU_DEP_3) | instskip(NEXT) | instid1(VALU_DEP_3)
	v_and_b32_e32 v6, 0xff, v6
	v_lshl_or_b32 v5, v7, 24, v5
	s_delay_alu instid0(VALU_DEP_3) | instskip(NEXT) | instid1(VALU_DEP_4)
	v_add_co_u32 v3, vcc_lo, s2, v3
	v_add_co_ci_u32_e32 v4, vcc_lo, s3, v4, vcc_lo
	s_delay_alu instid0(VALU_DEP_3)
	v_or3_b32 v5, v5, v8, v6
	global_store_b32 v[3:4], v5, off
	v_cmpx_gt_u32_e64 s8, v2
	s_cbranch_execz .LBB53_54
; %bb.56:                               ;   in Loop: Header=BB53_55 Depth=1
	v_lshrrev_b32_e32 v3, 3, v2
	s_mov_b32 s15, -1
	s_mov_b32 s13, exec_lo
	s_delay_alu instid0(VALU_DEP_1) | instskip(SKIP_2) | instid1(VALU_DEP_1)
	v_and_b32_e32 v3, 0x7fffffc, v3
	global_load_b32 v8, v3, s[0:1]
	v_mov_b32_e32 v3, v1
	v_lshlrev_b64 v[4:5], 3, v[2:3]
	s_delay_alu instid0(VALU_DEP_1) | instskip(NEXT) | instid1(VALU_DEP_2)
	v_add_co_u32 v6, vcc_lo, s10, v4
	v_add_co_ci_u32_e32 v7, vcc_lo, s11, v5, vcc_lo
	v_add_co_u32 v4, vcc_lo, s14, v4
	v_add_co_ci_u32_e32 v5, vcc_lo, s26, v5, vcc_lo
	global_load_b64 v[6:7], v[6:7], off
	global_load_b64 v[4:5], v[4:5], off
	s_waitcnt vmcnt(2)
	v_div_scale_f32 v9, null, v8, v8, 1.0
	v_div_scale_f32 v12, vcc_lo, 1.0, v8, 1.0
	s_delay_alu instid0(VALU_DEP_2) | instskip(SKIP_2) | instid1(VALU_DEP_1)
	v_rcp_f32_e32 v10, v9
	s_waitcnt_depctr 0xfff
	v_fma_f32 v11, -v9, v10, 1.0
	v_fmac_f32_e32 v10, v11, v10
	s_waitcnt vmcnt(1)
	v_lshrrev_b32_e32 v14, 16, v6
	s_waitcnt vmcnt(0)
	v_fma_mixlo_f16 v16, v28, v4, 0 op_sel_hi:[0,1,0]
	v_fma_mixlo_f16 v4, v28, v4, 0 op_sel:[0,1,0] op_sel_hi:[0,1,0]
	v_fma_mixlo_f16 v15, v28, v5, 0 op_sel_hi:[0,1,0]
	v_mul_f32_e32 v11, v12, v10
	v_fma_mixlo_f16 v5, v28, v5, 0 op_sel:[0,1,0] op_sel_hi:[0,1,0]
	v_mul_f16_e32 v6, v6, v16
	v_mul_f16_e32 v4, v14, v4
	s_delay_alu instid0(VALU_DEP_4) | instskip(NEXT) | instid1(VALU_DEP_3)
	v_fma_f32 v13, -v9, v11, v12
	v_cvt_f32_f16_e32 v6, v6
	s_delay_alu instid0(VALU_DEP_3) | instskip(NEXT) | instid1(VALU_DEP_3)
	v_cvt_f32_f16_e32 v4, v4
	v_fmac_f32_e32 v11, v13, v10
	v_lshrrev_b32_e32 v13, 16, v7
	v_mul_f16_e32 v7, v7, v15
	s_delay_alu instid0(VALU_DEP_3) | instskip(NEXT) | instid1(VALU_DEP_3)
	v_fma_f32 v9, -v9, v11, v12
	v_mul_f16_e32 v5, v13, v5
	s_delay_alu instid0(VALU_DEP_3) | instskip(NEXT) | instid1(VALU_DEP_3)
	v_cvt_f32_f16_e32 v7, v7
	v_div_fmas_f32 v9, v9, v10, v11
	s_delay_alu instid0(VALU_DEP_3) | instskip(NEXT) | instid1(VALU_DEP_2)
	v_cvt_f32_f16_e32 v5, v5
	v_div_fixup_f32 v8, v9, v8, 1.0
	s_delay_alu instid0(VALU_DEP_1) | instskip(SKIP_1) | instid1(VALU_DEP_4)
	v_mul_f32_e32 v4, v8, v4
	v_mul_f32_e32 v6, v8, v6
	;; [unrolled: 1-line block ×3, first 2 shown]
	s_delay_alu instid0(VALU_DEP_3) | instskip(SKIP_1) | instid1(VALU_DEP_4)
	v_rndne_f32_e32 v4, v4
	v_mul_f32_e32 v7, v8, v7
	v_rndne_f32_e32 v6, v6
	s_delay_alu instid0(VALU_DEP_4) | instskip(NEXT) | instid1(VALU_DEP_3)
	v_rndne_f32_e32 v5, v5
	v_rndne_f32_e32 v7, v7
	s_delay_alu instid0(VALU_DEP_1)
	v_cmp_nlt_f32_e32 vcc_lo, 0x42fe0000, v7
	v_cndmask_b32_e32 v8, 0x42fe0000, v7, vcc_lo
	v_cmp_nlt_f32_e32 vcc_lo, 0x42fe0000, v6
	v_cndmask_b32_e32 v9, 0x42fe0000, v6, vcc_lo
	;; [unrolled: 2-line block ×3, first 2 shown]
	v_cmp_ngt_f32_e32 vcc_lo, 0xc3000000, v7
	v_cndmask_b32_e32 v7, 0xc3000000, v8, vcc_lo
	v_cmp_nlt_f32_e32 vcc_lo, 0x42fe0000, v5
	s_delay_alu instid0(VALU_DEP_2) | instskip(NEXT) | instid1(VALU_DEP_1)
	v_cvt_i32_f32_e32 v7, v7
	v_and_b32_e32 v7, 0xff, v7
	v_cndmask_b32_e32 v8, 0x42fe0000, v5, vcc_lo
	v_cmp_ngt_f32_e32 vcc_lo, 0xc3000000, v4
	s_delay_alu instid0(VALU_DEP_3) | instskip(SKIP_1) | instid1(VALU_DEP_2)
	v_dual_cndmask_b32 v4, 0xc3000000, v10 :: v_dual_lshlrev_b32 v7, 16, v7
	v_cmp_ngt_f32_e32 vcc_lo, 0xc3000000, v6
	v_cvt_i32_f32_e32 v4, v4
	v_cndmask_b32_e32 v6, 0xc3000000, v9, vcc_lo
	v_cmp_ngt_f32_e32 vcc_lo, 0xc3000000, v5
	s_delay_alu instid0(VALU_DEP_3) | instskip(NEXT) | instid1(VALU_DEP_3)
	v_and_b32_e32 v9, 0xff, v4
	v_cvt_i32_f32_e32 v6, v6
	v_cndmask_b32_e32 v5, 0xc3000000, v8, vcc_lo
	s_delay_alu instid0(VALU_DEP_3) | instskip(NEXT) | instid1(VALU_DEP_3)
	v_lshlrev_b32_e32 v9, 8, v9
	v_and_b32_e32 v6, 0xff, v6
	s_delay_alu instid0(VALU_DEP_3) | instskip(SKIP_2) | instid1(VALU_DEP_3)
	v_cvt_i32_f32_e32 v8, v5
	v_lshlrev_b64 v[4:5], 2, v[2:3]
	v_add_nc_u32_e32 v3, s5, v0
	v_lshl_or_b32 v7, v8, 24, v7
	s_delay_alu instid0(VALU_DEP_3) | instskip(NEXT) | instid1(VALU_DEP_4)
	v_add_co_u32 v4, vcc_lo, s2, v4
	v_add_co_ci_u32_e32 v5, vcc_lo, s3, v5, vcc_lo
	s_delay_alu instid0(VALU_DEP_3)
	v_or3_b32 v6, v7, v9, v6
	global_store_b32 v[4:5], v6, off
	v_cmpx_gt_u32_e64 s8, v3
	s_cbranch_execz .LBB53_53
; %bb.57:                               ;   in Loop: Header=BB53_55 Depth=1
	v_lshrrev_b32_e32 v4, 3, v3
	v_add_nc_u32_e32 v0, s4, v0
	s_mov_b32 s16, -1
	s_mov_b32 s15, exec_lo
	s_delay_alu instid0(VALU_DEP_2) | instskip(SKIP_2) | instid1(VALU_DEP_1)
	v_and_b32_e32 v4, 0x7fffffc, v4
	global_load_b32 v9, v4, s[0:1]
	v_mov_b32_e32 v4, v1
	v_lshlrev_b64 v[5:6], 3, v[3:4]
	s_delay_alu instid0(VALU_DEP_1) | instskip(NEXT) | instid1(VALU_DEP_2)
	v_add_co_u32 v7, vcc_lo, s10, v5
	v_add_co_ci_u32_e32 v8, vcc_lo, s11, v6, vcc_lo
	v_add_co_u32 v5, vcc_lo, s14, v5
	v_add_co_ci_u32_e32 v6, vcc_lo, s26, v6, vcc_lo
	global_load_b64 v[7:8], v[7:8], off
	global_load_b64 v[5:6], v[5:6], off
	s_waitcnt vmcnt(2)
	v_div_scale_f32 v10, null, v9, v9, 1.0
	v_div_scale_f32 v13, vcc_lo, 1.0, v9, 1.0
	s_delay_alu instid0(VALU_DEP_2) | instskip(SKIP_2) | instid1(VALU_DEP_1)
	v_rcp_f32_e32 v11, v10
	s_waitcnt_depctr 0xfff
	v_fma_f32 v12, -v10, v11, 1.0
	v_fmac_f32_e32 v11, v12, v11
	s_waitcnt vmcnt(1)
	v_lshrrev_b32_e32 v15, 16, v7
	s_waitcnt vmcnt(0)
	v_fma_mixlo_f16 v17, v28, v5, 0 op_sel_hi:[0,1,0]
	v_fma_mixlo_f16 v5, v28, v5, 0 op_sel:[0,1,0] op_sel_hi:[0,1,0]
	v_fma_mixlo_f16 v16, v28, v6, 0 op_sel_hi:[0,1,0]
	v_mul_f32_e32 v12, v13, v11
	v_fma_mixlo_f16 v6, v28, v6, 0 op_sel:[0,1,0] op_sel_hi:[0,1,0]
	v_mul_f16_e32 v7, v7, v17
	v_mul_f16_e32 v5, v15, v5
	s_delay_alu instid0(VALU_DEP_4) | instskip(NEXT) | instid1(VALU_DEP_3)
	v_fma_f32 v14, -v10, v12, v13
	v_cvt_f32_f16_e32 v7, v7
	s_delay_alu instid0(VALU_DEP_3) | instskip(NEXT) | instid1(VALU_DEP_3)
	v_cvt_f32_f16_e32 v5, v5
	v_fmac_f32_e32 v12, v14, v11
	v_lshrrev_b32_e32 v14, 16, v8
	v_mul_f16_e32 v8, v8, v16
	s_delay_alu instid0(VALU_DEP_3) | instskip(NEXT) | instid1(VALU_DEP_3)
	v_fma_f32 v10, -v10, v12, v13
	v_mul_f16_e32 v6, v14, v6
	s_delay_alu instid0(VALU_DEP_3) | instskip(NEXT) | instid1(VALU_DEP_3)
	v_cvt_f32_f16_e32 v8, v8
	v_div_fmas_f32 v10, v10, v11, v12
	s_delay_alu instid0(VALU_DEP_3) | instskip(NEXT) | instid1(VALU_DEP_2)
	v_cvt_f32_f16_e32 v6, v6
	v_div_fixup_f32 v9, v10, v9, 1.0
	s_delay_alu instid0(VALU_DEP_1) | instskip(NEXT) | instid1(VALU_DEP_3)
	v_mul_f32_e32 v5, v9, v5
	v_mul_f32_e32 v6, v9, v6
	;; [unrolled: 1-line block ×3, first 2 shown]
	s_delay_alu instid0(VALU_DEP_3) | instskip(NEXT) | instid1(VALU_DEP_3)
	v_rndne_f32_e32 v5, v5
	v_rndne_f32_e32 v6, v6
	v_mul_f32_e32 v8, v9, v8
	s_delay_alu instid0(VALU_DEP_4) | instskip(NEXT) | instid1(VALU_DEP_2)
	v_rndne_f32_e32 v7, v7
	v_rndne_f32_e32 v8, v8
	s_delay_alu instid0(VALU_DEP_1) | instskip(SKIP_1) | instid1(VALU_DEP_4)
	v_cmp_nlt_f32_e32 vcc_lo, 0x42fe0000, v8
	v_cndmask_b32_e32 v9, 0x42fe0000, v8, vcc_lo
	v_cmp_nlt_f32_e32 vcc_lo, 0x42fe0000, v7
	v_lshlrev_b64 v[3:4], 2, v[3:4]
	v_cndmask_b32_e32 v10, 0x42fe0000, v7, vcc_lo
	v_cmp_nlt_f32_e32 vcc_lo, 0x42fe0000, v5
	v_cndmask_b32_e32 v11, 0x42fe0000, v5, vcc_lo
	v_cmp_ngt_f32_e32 vcc_lo, 0xc3000000, v8
	v_cndmask_b32_e32 v8, 0xc3000000, v9, vcc_lo
	v_cmp_nlt_f32_e32 vcc_lo, 0x42fe0000, v6
	s_delay_alu instid0(VALU_DEP_2) | instskip(SKIP_2) | instid1(VALU_DEP_3)
	v_cvt_i32_f32_e32 v8, v8
	v_cndmask_b32_e32 v9, 0x42fe0000, v6, vcc_lo
	v_cmp_ngt_f32_e32 vcc_lo, 0xc3000000, v5
	v_and_b32_e32 v8, 0xff, v8
	v_cndmask_b32_e32 v5, 0xc3000000, v11, vcc_lo
	v_cmp_ngt_f32_e32 vcc_lo, 0xc3000000, v7
	s_delay_alu instid0(VALU_DEP_3) | instskip(NEXT) | instid1(VALU_DEP_3)
	v_lshlrev_b32_e32 v8, 16, v8
	v_cvt_i32_f32_e32 v5, v5
	s_delay_alu instid0(VALU_DEP_1) | instskip(NEXT) | instid1(VALU_DEP_1)
	v_and_b32_e32 v5, 0xff, v5
	v_lshlrev_b32_e32 v5, 8, v5
	v_cndmask_b32_e32 v7, 0xc3000000, v10, vcc_lo
	v_cmp_ngt_f32_e32 vcc_lo, 0xc3000000, v6
	s_delay_alu instid0(VALU_DEP_2) | instskip(SKIP_3) | instid1(VALU_DEP_3)
	v_cvt_i32_f32_e32 v7, v7
	v_cndmask_b32_e32 v6, 0xc3000000, v9, vcc_lo
	v_add_co_u32 v3, vcc_lo, s2, v3
	v_add_co_ci_u32_e32 v4, vcc_lo, s3, v4, vcc_lo
	v_cvt_i32_f32_e32 v6, v6
	v_and_b32_e32 v7, 0xff, v7
	s_delay_alu instid0(VALU_DEP_2) | instskip(NEXT) | instid1(VALU_DEP_1)
	v_lshl_or_b32 v6, v6, 24, v8
	v_or3_b32 v5, v6, v5, v7
	global_store_b32 v[3:4], v5, off
	v_cmpx_gt_u32_e64 s8, v0
	s_cbranch_execz .LBB53_52
; %bb.58:                               ;   in Loop: Header=BB53_55 Depth=1
	v_lshrrev_b32_e32 v3, 3, v0
	s_delay_alu instid0(VALU_DEP_1) | instskip(SKIP_2) | instid1(VALU_DEP_1)
	v_and_b32_e32 v3, 0x7fffffc, v3
	global_load_b32 v7, v3, s[0:1]
	v_lshlrev_b64 v[3:4], 3, v[0:1]
	v_add_co_u32 v5, vcc_lo, s10, v3
	s_delay_alu instid0(VALU_DEP_2)
	v_add_co_ci_u32_e32 v6, vcc_lo, s11, v4, vcc_lo
	v_add_co_u32 v3, vcc_lo, s14, v3
	v_add_co_ci_u32_e32 v4, vcc_lo, s26, v4, vcc_lo
	global_load_b64 v[5:6], v[5:6], off
	global_load_b64 v[3:4], v[3:4], off
	s_waitcnt vmcnt(2)
	v_div_scale_f32 v8, null, v7, v7, 1.0
	v_div_scale_f32 v11, vcc_lo, 1.0, v7, 1.0
	s_delay_alu instid0(VALU_DEP_2)
	v_rcp_f32_e32 v9, v8
	s_waitcnt_depctr 0xfff
	v_fma_f32 v10, -v8, v9, 1.0
	s_waitcnt vmcnt(1)
	v_lshrrev_b32_e32 v13, 16, v5
	s_waitcnt vmcnt(0)
	v_fma_mixlo_f16 v15, v28, v3, 0 op_sel_hi:[0,1,0]
	v_fma_mixlo_f16 v3, v28, v3, 0 op_sel:[0,1,0] op_sel_hi:[0,1,0]
	v_fma_mixlo_f16 v14, v28, v4, 0 op_sel_hi:[0,1,0]
	v_fmac_f32_e32 v9, v10, v9
	v_fma_mixlo_f16 v4, v28, v4, 0 op_sel:[0,1,0] op_sel_hi:[0,1,0]
	v_mul_f16_e32 v5, v5, v15
	v_mul_f16_e32 v3, v13, v3
	s_delay_alu instid0(VALU_DEP_4) | instskip(NEXT) | instid1(VALU_DEP_3)
	v_mul_f32_e32 v10, v11, v9
	v_cvt_f32_f16_e32 v5, v5
	s_delay_alu instid0(VALU_DEP_3) | instskip(NEXT) | instid1(VALU_DEP_3)
	v_cvt_f32_f16_e32 v3, v3
	v_fma_f32 v12, -v8, v10, v11
	s_delay_alu instid0(VALU_DEP_1) | instskip(SKIP_2) | instid1(VALU_DEP_3)
	v_fmac_f32_e32 v10, v12, v9
	v_lshrrev_b32_e32 v12, 16, v6
	v_mul_f16_e32 v6, v6, v14
	v_fma_f32 v8, -v8, v10, v11
	s_delay_alu instid0(VALU_DEP_3) | instskip(NEXT) | instid1(VALU_DEP_3)
	v_mul_f16_e32 v4, v12, v4
	v_cvt_f32_f16_e32 v6, v6
	s_delay_alu instid0(VALU_DEP_3) | instskip(NEXT) | instid1(VALU_DEP_3)
	v_div_fmas_f32 v8, v8, v9, v10
	v_cvt_f32_f16_e32 v4, v4
	s_delay_alu instid0(VALU_DEP_2) | instskip(NEXT) | instid1(VALU_DEP_1)
	v_div_fixup_f32 v7, v8, v7, 1.0
	v_mul_f32_e32 v3, v7, v3
	v_mul_f32_e32 v6, v7, v6
	v_mul_f32_e32 v5, v7, v5
	s_delay_alu instid0(VALU_DEP_3) | instskip(NEXT) | instid1(VALU_DEP_3)
	v_rndne_f32_e32 v3, v3
	v_rndne_f32_e32 v6, v6
	s_delay_alu instid0(VALU_DEP_3) | instskip(NEXT) | instid1(VALU_DEP_2)
	v_rndne_f32_e32 v5, v5
	v_cmp_nlt_f32_e32 vcc_lo, 0x42fe0000, v6
	v_dual_mul_f32 v4, v7, v4 :: v_dual_cndmask_b32 v7, 0x42fe0000, v6
	s_delay_alu instid0(VALU_DEP_3) | instskip(NEXT) | instid1(VALU_DEP_2)
	v_cmp_nlt_f32_e32 vcc_lo, 0x42fe0000, v5
	v_rndne_f32_e32 v4, v4
	v_cndmask_b32_e32 v8, 0x42fe0000, v5, vcc_lo
	v_cmp_nlt_f32_e32 vcc_lo, 0x42fe0000, v3
	v_cndmask_b32_e32 v9, 0x42fe0000, v3, vcc_lo
	v_cmp_ngt_f32_e32 vcc_lo, 0xc3000000, v6
	v_cndmask_b32_e32 v6, 0xc3000000, v7, vcc_lo
	v_cmp_nlt_f32_e32 vcc_lo, 0x42fe0000, v4
	s_delay_alu instid0(VALU_DEP_2) | instskip(SKIP_2) | instid1(VALU_DEP_3)
	v_cvt_i32_f32_e32 v6, v6
	v_cndmask_b32_e32 v7, 0x42fe0000, v4, vcc_lo
	v_cmp_ngt_f32_e32 vcc_lo, 0xc3000000, v3
	v_and_b32_e32 v6, 0xff, v6
	s_delay_alu instid0(VALU_DEP_1) | instskip(SKIP_1) | instid1(VALU_DEP_2)
	v_dual_cndmask_b32 v3, 0xc3000000, v9 :: v_dual_lshlrev_b32 v6, 16, v6
	v_cmp_ngt_f32_e32 vcc_lo, 0xc3000000, v5
	v_cvt_i32_f32_e32 v3, v3
	v_cndmask_b32_e32 v5, 0xc3000000, v8, vcc_lo
	v_cmp_ngt_f32_e32 vcc_lo, 0xc3000000, v4
	s_delay_alu instid0(VALU_DEP_3) | instskip(NEXT) | instid1(VALU_DEP_3)
	v_and_b32_e32 v8, 0xff, v3
	v_cvt_i32_f32_e32 v5, v5
	v_cndmask_b32_e32 v4, 0xc3000000, v7, vcc_lo
	s_delay_alu instid0(VALU_DEP_3) | instskip(NEXT) | instid1(VALU_DEP_3)
	v_lshlrev_b32_e32 v8, 8, v8
	v_and_b32_e32 v5, 0xff, v5
	s_delay_alu instid0(VALU_DEP_3) | instskip(SKIP_2) | instid1(VALU_DEP_3)
	v_cvt_i32_f32_e32 v7, v4
	v_lshlrev_b64 v[3:4], 2, v[0:1]
	v_add3_u32 v0, s7, s27, v2
	v_lshl_or_b32 v6, v7, 24, v6
	s_delay_alu instid0(VALU_DEP_3) | instskip(NEXT) | instid1(VALU_DEP_4)
	v_add_co_u32 v2, vcc_lo, s2, v3
	v_add_co_ci_u32_e32 v3, vcc_lo, s3, v4, vcc_lo
	s_delay_alu instid0(VALU_DEP_4) | instskip(NEXT) | instid1(VALU_DEP_4)
	v_cmp_le_u32_e32 vcc_lo, s8, v0
	v_or3_b32 v4, v6, v8, v5
	s_or_not1_b32 s16, vcc_lo, exec_lo
	global_store_b32 v[2:3], v4, off
	s_branch .LBB53_52
.LBB53_59:
	s_nop 0
	s_sendmsg sendmsg(MSG_DEALLOC_VGPRS)
	s_endpgm
	.section	.rodata,"a",@progbits
	.p2align	6, 0x0
	.amdhsa_kernel _ZN4vllm31rms_norm_per_block_quant_kernelIN3c104HalfEaLb0ELb0ELi128EEEvPT0_PfPKT_S8_PKffiiPS6_l
		.amdhsa_group_segment_fixed_size 4228
		.amdhsa_private_segment_fixed_size 0
		.amdhsa_kernarg_size 328
		.amdhsa_user_sgpr_count 15
		.amdhsa_user_sgpr_dispatch_ptr 0
		.amdhsa_user_sgpr_queue_ptr 0
		.amdhsa_user_sgpr_kernarg_segment_ptr 1
		.amdhsa_user_sgpr_dispatch_id 0
		.amdhsa_user_sgpr_private_segment_size 0
		.amdhsa_wavefront_size32 1
		.amdhsa_uses_dynamic_stack 0
		.amdhsa_enable_private_segment 0
		.amdhsa_system_sgpr_workgroup_id_x 1
		.amdhsa_system_sgpr_workgroup_id_y 0
		.amdhsa_system_sgpr_workgroup_id_z 0
		.amdhsa_system_sgpr_workgroup_info 0
		.amdhsa_system_vgpr_workitem_id 0
		.amdhsa_next_free_vgpr 35
		.amdhsa_next_free_sgpr 36
		.amdhsa_reserve_vcc 1
		.amdhsa_float_round_mode_32 0
		.amdhsa_float_round_mode_16_64 0
		.amdhsa_float_denorm_mode_32 3
		.amdhsa_float_denorm_mode_16_64 3
		.amdhsa_dx10_clamp 1
		.amdhsa_ieee_mode 1
		.amdhsa_fp16_overflow 0
		.amdhsa_workgroup_processor_mode 1
		.amdhsa_memory_ordered 1
		.amdhsa_forward_progress 0
		.amdhsa_shared_vgpr_count 0
		.amdhsa_exception_fp_ieee_invalid_op 0
		.amdhsa_exception_fp_denorm_src 0
		.amdhsa_exception_fp_ieee_div_zero 0
		.amdhsa_exception_fp_ieee_overflow 0
		.amdhsa_exception_fp_ieee_underflow 0
		.amdhsa_exception_fp_ieee_inexact 0
		.amdhsa_exception_int_div_zero 0
	.end_amdhsa_kernel
	.section	.text._ZN4vllm31rms_norm_per_block_quant_kernelIN3c104HalfEaLb0ELb0ELi128EEEvPT0_PfPKT_S8_PKffiiPS6_l,"axG",@progbits,_ZN4vllm31rms_norm_per_block_quant_kernelIN3c104HalfEaLb0ELb0ELi128EEEvPT0_PfPKT_S8_PKffiiPS6_l,comdat
.Lfunc_end53:
	.size	_ZN4vllm31rms_norm_per_block_quant_kernelIN3c104HalfEaLb0ELb0ELi128EEEvPT0_PfPKT_S8_PKffiiPS6_l, .Lfunc_end53-_ZN4vllm31rms_norm_per_block_quant_kernelIN3c104HalfEaLb0ELb0ELi128EEEvPT0_PfPKT_S8_PKffiiPS6_l
                                        ; -- End function
	.section	.AMDGPU.csdata,"",@progbits
; Kernel info:
; codeLenInByte = 6692
; NumSgprs: 38
; NumVgprs: 35
; ScratchSize: 0
; MemoryBound: 0
; FloatMode: 240
; IeeeMode: 1
; LDSByteSize: 4228 bytes/workgroup (compile time only)
; SGPRBlocks: 4
; VGPRBlocks: 4
; NumSGPRsForWavesPerEU: 38
; NumVGPRsForWavesPerEU: 35
; Occupancy: 16
; WaveLimiterHint : 0
; COMPUTE_PGM_RSRC2:SCRATCH_EN: 0
; COMPUTE_PGM_RSRC2:USER_SGPR: 15
; COMPUTE_PGM_RSRC2:TRAP_HANDLER: 0
; COMPUTE_PGM_RSRC2:TGID_X_EN: 1
; COMPUTE_PGM_RSRC2:TGID_Y_EN: 0
; COMPUTE_PGM_RSRC2:TGID_Z_EN: 0
; COMPUTE_PGM_RSRC2:TIDIG_COMP_CNT: 0
	.section	.text._ZN4vllm31rms_norm_per_block_quant_kernelIN3c104HalfENS1_13Float8_e4m3fnELb1ELb1ELi64EEEvPT0_PfPKT_S9_PKffiiPS7_l,"axG",@progbits,_ZN4vllm31rms_norm_per_block_quant_kernelIN3c104HalfENS1_13Float8_e4m3fnELb1ELb1ELi64EEEvPT0_PfPKT_S9_PKffiiPS7_l,comdat
	.protected	_ZN4vllm31rms_norm_per_block_quant_kernelIN3c104HalfENS1_13Float8_e4m3fnELb1ELb1ELi64EEEvPT0_PfPKT_S9_PKffiiPS7_l ; -- Begin function _ZN4vllm31rms_norm_per_block_quant_kernelIN3c104HalfENS1_13Float8_e4m3fnELb1ELb1ELi64EEEvPT0_PfPKT_S9_PKffiiPS7_l
	.globl	_ZN4vllm31rms_norm_per_block_quant_kernelIN3c104HalfENS1_13Float8_e4m3fnELb1ELb1ELi64EEEvPT0_PfPKT_S9_PKffiiPS7_l
	.p2align	8
	.type	_ZN4vllm31rms_norm_per_block_quant_kernelIN3c104HalfENS1_13Float8_e4m3fnELb1ELb1ELi64EEEvPT0_PfPKT_S9_PKffiiPS7_l,@function
_ZN4vllm31rms_norm_per_block_quant_kernelIN3c104HalfENS1_13Float8_e4m3fnELb1ELb1ELi64EEEvPT0_PfPKT_S9_PKffiiPS7_l: ; @_ZN4vllm31rms_norm_per_block_quant_kernelIN3c104HalfENS1_13Float8_e4m3fnELb1ELb1ELi64EEEvPT0_PfPKT_S9_PKffiiPS7_l
; %bb.0:
	s_mov_b32 s16, s15
	s_clause 0x3
	s_load_b128 s[12:15], s[0:1], 0x28
	s_load_b256 s[4:11], s[0:1], 0x0
	s_load_b64 s[2:3], s[0:1], 0x38
	s_load_b32 s34, s[0:1], 0x48
	v_mov_b32_e32 v6, 0
	s_waitcnt lgkmcnt(0)
	s_ashr_i32 s15, s14, 31
	s_mul_hi_u32 s17, s14, s16
	s_mul_i32 s15, s15, s16
	s_ashr_i32 s19, s13, 31
	s_mul_i32 s20, s14, s16
	s_add_i32 s21, s17, s15
	s_mul_hi_u32 s18, s13, s16
	s_mul_i32 s15, s19, s16
	s_lshl_b64 s[20:21], s[20:21], 1
	s_mul_i32 s14, s13, s16
	s_add_i32 s15, s18, s15
	s_add_u32 s28, s8, s20
	s_addc_u32 s29, s9, s21
	s_lshl_b64 s[8:9], s[14:15], 1
	s_mov_b32 s17, 0
	s_add_u32 s30, s2, s8
	s_addc_u32 s31, s3, s9
	s_ashr_i32 s8, s13, 2
	s_add_u32 s20, s0, 0x48
	v_cmp_gt_u32_e64 s2, s8, v0
	s_mov_b32 s18, s13
	s_addc_u32 s21, s1, 0
	s_delay_alu instid0(VALU_DEP_1)
	s_and_saveexec_b32 s3, s2
	s_cbranch_execz .LBB54_10
; %bb.1:
	s_cmp_lt_u32 s16, s34
	v_mov_b32_e32 v2, 0
	s_cselect_b32 s9, 12, 18
                                        ; implicit-def: $sgpr13
	v_mov_b32_e32 v1, v0
	s_add_u32 s22, s20, s9
	s_addc_u32 s23, s21, 0
	s_mov_b32 s9, s17
	global_load_u16 v7, v2, s[22:23]
	s_waitcnt vmcnt(0)
	v_lshlrev_b32_e32 v9, 1, v7
	v_mul_lo_u32 v8, v7, 3
	v_add_nc_u32_e32 v10, v7, v7
	v_mov_b32_e32 v6, v2
	s_branch .LBB54_5
.LBB54_2:                               ;   in Loop: Header=BB54_5 Depth=1
	s_or_b32 exec_lo, exec_lo, s24
	s_delay_alu instid0(SALU_CYCLE_1)
	s_or_not1_b32 s24, s25, exec_lo
.LBB54_3:                               ;   in Loop: Header=BB54_5 Depth=1
	s_or_b32 exec_lo, exec_lo, s23
	s_delay_alu instid0(SALU_CYCLE_1) | instskip(SKIP_1) | instid1(SALU_CYCLE_1)
	s_and_not1_b32 s13, s13, exec_lo
	s_and_b32 s23, s24, exec_lo
	s_or_b32 s13, s13, s23
.LBB54_4:                               ;   in Loop: Header=BB54_5 Depth=1
	s_or_b32 exec_lo, exec_lo, s22
	s_delay_alu instid0(SALU_CYCLE_1) | instskip(NEXT) | instid1(SALU_CYCLE_1)
	s_and_b32 s22, exec_lo, s13
	s_or_b32 s9, s22, s9
	s_delay_alu instid0(SALU_CYCLE_1)
	s_and_not1_b32 exec_lo, exec_lo, s9
	s_cbranch_execz .LBB54_9
.LBB54_5:                               ; =>This Inner Loop Header: Depth=1
	v_lshlrev_b64 v[3:4], 3, v[1:2]
	s_or_b32 s13, s13, exec_lo
	s_mov_b32 s22, exec_lo
	s_delay_alu instid0(VALU_DEP_1) | instskip(NEXT) | instid1(VALU_DEP_2)
	v_add_co_u32 v11, vcc_lo, s28, v3
	v_add_co_ci_u32_e32 v12, vcc_lo, s29, v4, vcc_lo
	v_add_co_u32 v3, vcc_lo, s30, v3
	v_add_co_ci_u32_e32 v4, vcc_lo, s31, v4, vcc_lo
	global_load_b64 v[11:12], v[11:12], off
	global_load_b64 v[3:4], v[3:4], off
	s_waitcnt vmcnt(1)
	v_lshrrev_b32_e32 v5, 16, v11
	s_waitcnt vmcnt(0)
	v_lshrrev_b32_e32 v13, 16, v3
	v_cvt_f32_f16_e32 v11, v11
	v_cvt_f32_f16_e32 v3, v3
	v_lshrrev_b32_e32 v14, 16, v12
	v_cvt_f32_f16_e32 v5, v5
	v_cvt_f32_f16_e32 v13, v13
	s_delay_alu instid0(VALU_DEP_1) | instskip(SKIP_4) | instid1(VALU_DEP_4)
	v_add_f32_e32 v5, v5, v13
	v_add_f32_e32 v3, v11, v3
	v_cvt_f32_f16_e32 v11, v12
	v_lshrrev_b32_e32 v12, 16, v4
	v_cvt_f32_f16_e32 v4, v4
	v_fmac_f32_e32 v6, v3, v3
	v_cvt_f32_f16_e32 v3, v14
	s_delay_alu instid0(VALU_DEP_3) | instskip(SKIP_1) | instid1(VALU_DEP_1)
	v_add_f32_e32 v4, v11, v4
	v_cvt_f32_f16_e32 v11, v12
	v_dual_fmac_f32 v6, v5, v5 :: v_dual_add_f32 v5, v3, v11
	s_delay_alu instid0(VALU_DEP_1) | instskip(NEXT) | instid1(VALU_DEP_1)
	v_dual_fmac_f32 v6, v4, v4 :: v_dual_add_nc_u32 v3, v1, v7
	v_fmac_f32_e32 v6, v5, v5
	s_delay_alu instid0(VALU_DEP_2)
	v_cmpx_gt_u32_e64 s8, v3
	s_cbranch_execz .LBB54_4
; %bb.6:                                ;   in Loop: Header=BB54_5 Depth=1
	v_mov_b32_e32 v4, v2
	s_mov_b32 s24, -1
	s_mov_b32 s23, exec_lo
	s_delay_alu instid0(VALU_DEP_1) | instskip(NEXT) | instid1(VALU_DEP_1)
	v_lshlrev_b64 v[4:5], 3, v[3:4]
	v_add_co_u32 v11, vcc_lo, s28, v4
	s_delay_alu instid0(VALU_DEP_2)
	v_add_co_ci_u32_e32 v12, vcc_lo, s29, v5, vcc_lo
	v_add_co_u32 v4, vcc_lo, s30, v4
	v_add_co_ci_u32_e32 v5, vcc_lo, s31, v5, vcc_lo
	global_load_b64 v[11:12], v[11:12], off
	global_load_b64 v[4:5], v[4:5], off
	s_waitcnt vmcnt(1)
	v_lshrrev_b32_e32 v13, 16, v11
	v_cvt_f32_f16_e32 v11, v11
	s_waitcnt vmcnt(0)
	v_lshrrev_b32_e32 v14, 16, v4
	v_cvt_f32_f16_e32 v4, v4
	v_lshrrev_b32_e32 v15, 16, v12
	v_cvt_f32_f16_e32 v13, v13
	s_delay_alu instid0(VALU_DEP_4) | instskip(NEXT) | instid1(VALU_DEP_4)
	v_cvt_f32_f16_e32 v14, v14
	v_add_f32_e32 v4, v11, v4
	v_cvt_f32_f16_e32 v11, v12
	v_lshrrev_b32_e32 v12, 16, v5
	v_cvt_f32_f16_e32 v5, v5
	s_delay_alu instid0(VALU_DEP_4) | instskip(SKIP_1) | instid1(VALU_DEP_3)
	v_dual_add_f32 v13, v13, v14 :: v_dual_fmac_f32 v6, v4, v4
	v_cvt_f32_f16_e32 v4, v15
	v_add_f32_e32 v5, v11, v5
	v_cvt_f32_f16_e32 v11, v12
	s_delay_alu instid0(VALU_DEP_1) | instskip(NEXT) | instid1(VALU_DEP_1)
	v_dual_fmac_f32 v6, v13, v13 :: v_dual_add_f32 v11, v4, v11
	v_fmac_f32_e32 v6, v5, v5
	v_add_nc_u32_e32 v4, v9, v1
	s_delay_alu instid0(VALU_DEP_2) | instskip(NEXT) | instid1(VALU_DEP_2)
	v_fmac_f32_e32 v6, v11, v11
	v_cmpx_gt_u32_e64 s8, v4
	s_cbranch_execz .LBB54_3
; %bb.7:                                ;   in Loop: Header=BB54_5 Depth=1
	v_mov_b32_e32 v5, v2
	v_add_nc_u32_e32 v1, v8, v1
	s_mov_b32 s25, -1
	s_mov_b32 s24, exec_lo
	s_delay_alu instid0(VALU_DEP_2) | instskip(NEXT) | instid1(VALU_DEP_1)
	v_lshlrev_b64 v[4:5], 3, v[4:5]
	v_add_co_u32 v11, vcc_lo, s28, v4
	s_delay_alu instid0(VALU_DEP_2)
	v_add_co_ci_u32_e32 v12, vcc_lo, s29, v5, vcc_lo
	v_add_co_u32 v4, vcc_lo, s30, v4
	v_add_co_ci_u32_e32 v5, vcc_lo, s31, v5, vcc_lo
	global_load_b64 v[11:12], v[11:12], off
	global_load_b64 v[4:5], v[4:5], off
	s_waitcnt vmcnt(1)
	v_lshrrev_b32_e32 v13, 16, v11
	v_cvt_f32_f16_e32 v11, v11
	s_waitcnt vmcnt(0)
	v_lshrrev_b32_e32 v14, 16, v4
	v_cvt_f32_f16_e32 v4, v4
	v_lshrrev_b32_e32 v15, 16, v12
	v_cvt_f32_f16_e32 v13, v13
	s_delay_alu instid0(VALU_DEP_4) | instskip(NEXT) | instid1(VALU_DEP_4)
	v_cvt_f32_f16_e32 v14, v14
	v_add_f32_e32 v4, v11, v4
	v_cvt_f32_f16_e32 v11, v12
	v_lshrrev_b32_e32 v12, 16, v5
	v_cvt_f32_f16_e32 v5, v5
	s_delay_alu instid0(VALU_DEP_4) | instskip(SKIP_1) | instid1(VALU_DEP_3)
	v_dual_add_f32 v13, v13, v14 :: v_dual_fmac_f32 v6, v4, v4
	v_cvt_f32_f16_e32 v4, v15
	v_add_f32_e32 v5, v11, v5
	v_cvt_f32_f16_e32 v11, v12
	s_delay_alu instid0(VALU_DEP_4) | instskip(NEXT) | instid1(VALU_DEP_2)
	v_fmac_f32_e32 v6, v13, v13
	v_add_f32_e32 v4, v4, v11
	s_delay_alu instid0(VALU_DEP_2) | instskip(NEXT) | instid1(VALU_DEP_1)
	v_fmac_f32_e32 v6, v5, v5
	v_fmac_f32_e32 v6, v4, v4
	v_cmpx_gt_u32_e64 s8, v1
	s_xor_b32 s24, exec_lo, s24
	s_cbranch_execz .LBB54_2
; %bb.8:                                ;   in Loop: Header=BB54_5 Depth=1
	v_lshlrev_b64 v[4:5], 3, v[1:2]
	s_delay_alu instid0(VALU_DEP_1) | instskip(NEXT) | instid1(VALU_DEP_2)
	v_add_co_u32 v11, vcc_lo, s28, v4
	v_add_co_ci_u32_e32 v12, vcc_lo, s29, v5, vcc_lo
	v_add_co_u32 v4, vcc_lo, s30, v4
	v_add_co_ci_u32_e32 v5, vcc_lo, s31, v5, vcc_lo
	global_load_b64 v[11:12], v[11:12], off
	global_load_b64 v[4:5], v[4:5], off
	s_waitcnt vmcnt(1)
	v_lshrrev_b32_e32 v1, 16, v11
	v_cvt_f32_f16_e32 v11, v11
	s_waitcnt vmcnt(0)
	v_lshrrev_b32_e32 v13, 16, v4
	v_cvt_f32_f16_e32 v4, v4
	v_lshrrev_b32_e32 v14, 16, v12
	v_cvt_f32_f16_e32 v1, v1
	s_delay_alu instid0(VALU_DEP_4) | instskip(NEXT) | instid1(VALU_DEP_4)
	v_cvt_f32_f16_e32 v13, v13
	v_add_f32_e32 v4, v11, v4
	v_cvt_f32_f16_e32 v11, v12
	v_lshrrev_b32_e32 v12, 16, v5
	v_cvt_f32_f16_e32 v5, v5
	s_delay_alu instid0(VALU_DEP_4) | instskip(SKIP_1) | instid1(VALU_DEP_3)
	v_dual_add_f32 v1, v1, v13 :: v_dual_fmac_f32 v6, v4, v4
	v_cvt_f32_f16_e32 v4, v14
	v_add_f32_e32 v5, v11, v5
	v_cvt_f32_f16_e32 v11, v12
	s_delay_alu instid0(VALU_DEP_4) | instskip(SKIP_1) | instid1(VALU_DEP_2)
	v_fmac_f32_e32 v6, v1, v1
	v_add3_u32 v1, v10, v7, v3
	v_dual_add_f32 v3, v4, v11 :: v_dual_fmac_f32 v6, v5, v5
	s_delay_alu instid0(VALU_DEP_2) | instskip(NEXT) | instid1(VALU_DEP_2)
	v_cmp_le_u32_e32 vcc_lo, s8, v1
	v_fmac_f32_e32 v6, v3, v3
	s_or_not1_b32 s25, vcc_lo, exec_lo
	s_branch .LBB54_2
.LBB54_9:
	s_or_b32 exec_lo, exec_lo, s9
.LBB54_10:
	s_delay_alu instid0(SALU_CYCLE_1) | instskip(SKIP_4) | instid1(VALU_DEP_2)
	s_or_b32 exec_lo, exec_lo, s3
	v_mbcnt_lo_u32_b32 v1, -1, 0
	s_load_b32 s3, s[20:21], 0xc
	v_and_b32_e32 v7, 0x3e0, v0
	s_mov_b32 s9, exec_lo
	v_cmp_ne_u32_e32 vcc_lo, 31, v1
	v_add_nc_u32_e32 v3, 1, v1
	v_add_co_ci_u32_e32 v2, vcc_lo, 0, v1, vcc_lo
	v_cmp_gt_u32_e32 vcc_lo, 30, v1
	s_delay_alu instid0(VALU_DEP_2)
	v_lshlrev_b32_e32 v2, 2, v2
	v_cndmask_b32_e64 v5, 0, 1, vcc_lo
	ds_bpermute_b32 v4, v2, v6
	s_waitcnt lgkmcnt(0)
	s_and_b32 s3, s3, 0xffff
	v_lshlrev_b32_e32 v5, 1, v5
	v_sub_nc_u32_e64 v12, s3, v7 clamp
	s_delay_alu instid0(VALU_DEP_1) | instskip(SKIP_1) | instid1(VALU_DEP_4)
	v_cmp_lt_u32_e32 vcc_lo, v3, v12
	v_add_f32_e32 v7, v6, v4
	v_add_lshl_u32 v4, v5, v1, 2
	s_delay_alu instid0(VALU_DEP_2) | instskip(SKIP_2) | instid1(VALU_DEP_1)
	v_cndmask_b32_e32 v7, v6, v7, vcc_lo
	v_cmp_gt_u32_e32 vcc_lo, 28, v1
	v_cndmask_b32_e64 v5, 0, 1, vcc_lo
	v_lshlrev_b32_e32 v8, 2, v5
	ds_bpermute_b32 v6, v4, v7
	v_add_nc_u32_e32 v5, 2, v1
	s_delay_alu instid0(VALU_DEP_1) | instskip(SKIP_3) | instid1(VALU_DEP_2)
	v_cmp_lt_u32_e32 vcc_lo, v5, v12
	s_waitcnt lgkmcnt(0)
	v_add_f32_e32 v9, v7, v6
	v_add_lshl_u32 v6, v8, v1, 2
	v_cndmask_b32_e32 v9, v7, v9, vcc_lo
	v_cmp_gt_u32_e32 vcc_lo, 24, v1
	ds_bpermute_b32 v8, v6, v9
	v_cndmask_b32_e64 v7, 0, 1, vcc_lo
	s_delay_alu instid0(VALU_DEP_1) | instskip(SKIP_1) | instid1(VALU_DEP_1)
	v_lshlrev_b32_e32 v10, 3, v7
	v_add_nc_u32_e32 v7, 4, v1
	v_cmp_lt_u32_e32 vcc_lo, v7, v12
	s_waitcnt lgkmcnt(0)
	v_add_f32_e32 v11, v9, v8
	v_add_lshl_u32 v8, v10, v1, 2
	s_delay_alu instid0(VALU_DEP_2) | instskip(SKIP_3) | instid1(VALU_DEP_1)
	v_cndmask_b32_e32 v11, v9, v11, vcc_lo
	v_cmp_gt_u32_e32 vcc_lo, 16, v1
	ds_bpermute_b32 v10, v8, v11
	v_cndmask_b32_e64 v9, 0, 1, vcc_lo
	v_lshlrev_b32_e32 v13, 4, v9
	v_add_nc_u32_e32 v9, 8, v1
	s_delay_alu instid0(VALU_DEP_1) | instskip(SKIP_3) | instid1(VALU_DEP_2)
	v_cmp_lt_u32_e32 vcc_lo, v9, v12
	s_waitcnt lgkmcnt(0)
	v_add_f32_e32 v14, v11, v10
	v_add_lshl_u32 v10, v13, v1, 2
	v_cndmask_b32_e32 v13, v11, v14, vcc_lo
	v_add_nc_u32_e32 v11, 16, v1
	ds_bpermute_b32 v14, v10, v13
	v_cmp_lt_u32_e32 vcc_lo, v11, v12
	s_waitcnt lgkmcnt(0)
	v_add_f32_e32 v14, v13, v14
	s_delay_alu instid0(VALU_DEP_1)
	v_cndmask_b32_e32 v12, v13, v14, vcc_lo
	v_cmpx_eq_u32_e32 0, v1
	s_cbranch_execz .LBB54_12
; %bb.11:
	v_lshrrev_b32_e32 v13, 3, v0
	s_delay_alu instid0(VALU_DEP_1)
	v_and_b32_e32 v13, 0x7c, v13
	ds_store_b32 v13, v12 offset:4096
.LBB54_12:
	s_or_b32 exec_lo, exec_lo, s9
	s_delay_alu instid0(SALU_CYCLE_1)
	s_mov_b32 s9, exec_lo
	s_waitcnt lgkmcnt(0)
	s_barrier
	buffer_gl0_inv
	v_cmpx_gt_u32_e32 32, v0
	s_cbranch_execz .LBB54_14
; %bb.13:
	v_lshlrev_b32_e32 v1, 2, v1
	s_add_i32 s3, s3, 31
	s_delay_alu instid0(SALU_CYCLE_1) | instskip(NEXT) | instid1(SALU_CYCLE_1)
	s_lshr_b32 s3, s3, 5
	v_cmp_gt_u32_e32 vcc_lo, s3, v3
	ds_load_b32 v1, v1 offset:4096
	s_waitcnt lgkmcnt(0)
	ds_bpermute_b32 v2, v2, v1
	s_waitcnt lgkmcnt(0)
	v_add_f32_e32 v2, v1, v2
	s_delay_alu instid0(VALU_DEP_1) | instskip(SKIP_4) | instid1(VALU_DEP_1)
	v_cndmask_b32_e32 v1, v1, v2, vcc_lo
	v_cmp_gt_u32_e32 vcc_lo, s3, v5
	ds_bpermute_b32 v2, v4, v1
	s_waitcnt lgkmcnt(0)
	v_add_f32_e32 v2, v1, v2
	v_cndmask_b32_e32 v1, v1, v2, vcc_lo
	v_cmp_gt_u32_e32 vcc_lo, s3, v7
	ds_bpermute_b32 v2, v6, v1
	s_waitcnt lgkmcnt(0)
	v_add_f32_e32 v2, v1, v2
	s_delay_alu instid0(VALU_DEP_1) | instskip(SKIP_4) | instid1(VALU_DEP_1)
	v_cndmask_b32_e32 v1, v1, v2, vcc_lo
	v_cmp_gt_u32_e32 vcc_lo, s3, v9
	ds_bpermute_b32 v2, v8, v1
	s_waitcnt lgkmcnt(0)
	v_add_f32_e32 v2, v1, v2
	v_cndmask_b32_e32 v1, v1, v2, vcc_lo
	v_cmp_gt_u32_e32 vcc_lo, s3, v11
	ds_bpermute_b32 v2, v10, v1
	s_waitcnt lgkmcnt(0)
	v_add_f32_e32 v2, v1, v2
	s_delay_alu instid0(VALU_DEP_1)
	v_cndmask_b32_e32 v12, v1, v2, vcc_lo
.LBB54_14:
	s_or_b32 exec_lo, exec_lo, s9
	s_delay_alu instid0(SALU_CYCLE_1)
	s_mov_b32 s3, exec_lo
	v_cmpx_eq_u32_e32 0, v0
	s_cbranch_execz .LBB54_16
; %bb.15:
	v_cvt_f32_i32_e32 v1, s18
	s_delay_alu instid0(VALU_DEP_1) | instskip(SKIP_1) | instid1(VALU_DEP_2)
	v_div_scale_f32 v2, null, v1, v1, v12
	v_div_scale_f32 v5, vcc_lo, v12, v1, v12
	v_rcp_f32_e32 v3, v2
	s_waitcnt_depctr 0xfff
	v_fma_f32 v4, -v2, v3, 1.0
	s_delay_alu instid0(VALU_DEP_1) | instskip(NEXT) | instid1(VALU_DEP_1)
	v_fmac_f32_e32 v3, v4, v3
	v_mul_f32_e32 v4, v5, v3
	s_delay_alu instid0(VALU_DEP_1) | instskip(NEXT) | instid1(VALU_DEP_1)
	v_fma_f32 v6, -v2, v4, v5
	v_fmac_f32_e32 v4, v6, v3
	s_delay_alu instid0(VALU_DEP_1) | instskip(NEXT) | instid1(VALU_DEP_1)
	v_fma_f32 v2, -v2, v4, v5
	v_div_fmas_f32 v2, v2, v3, v4
	s_delay_alu instid0(VALU_DEP_1) | instskip(NEXT) | instid1(VALU_DEP_1)
	v_div_fixup_f32 v1, v2, v1, v12
	v_add_f32_e32 v1, s12, v1
	s_delay_alu instid0(VALU_DEP_1) | instskip(SKIP_1) | instid1(VALU_DEP_2)
	v_mul_f32_e32 v2, 0x4b800000, v1
	v_cmp_gt_f32_e32 vcc_lo, 0x800000, v1
	v_cndmask_b32_e32 v1, v1, v2, vcc_lo
	s_delay_alu instid0(VALU_DEP_1) | instskip(SKIP_2) | instid1(VALU_DEP_1)
	v_rsq_f32_e32 v1, v1
	s_waitcnt_depctr 0xfff
	v_mul_f32_e32 v2, 0x45800000, v1
	v_dual_cndmask_b32 v1, v1, v2 :: v_dual_mov_b32 v2, 0
	ds_store_b32 v2, v1 offset:4224
.LBB54_16:
	s_or_b32 exec_lo, exec_lo, s3
	s_ashr_i32 s3, s18, 31
	v_mov_b32_e32 v4, 0
	s_lshr_b32 s3, s3, 26
	s_waitcnt lgkmcnt(0)
	s_add_i32 s3, s18, s3
	s_barrier
	s_ashr_i32 s12, s3, 6
	s_cmp_lt_u32 s16, s34
	buffer_gl0_inv
	s_cselect_b32 s9, 12, 18
	ds_load_b32 v28, v4 offset:4224
	s_add_u32 s20, s20, s9
	s_addc_u32 s21, s21, 0
	s_abs_i32 s9, s12
	global_load_u16 v1, v4, s[20:21]
	v_cvt_f32_u32_e32 v2, s9
	s_sub_i32 s20, 0, s9
	s_ashr_i32 s3, s3, 31
	s_delay_alu instid0(VALU_DEP_1) | instskip(SKIP_2) | instid1(VALU_DEP_1)
	v_rcp_iflag_f32_e32 v2, v2
	s_waitcnt_depctr 0xfff
	v_mul_f32_e32 v2, 0x4f7ffffe, v2
	v_cvt_u32_f32_e32 v2, v2
	s_delay_alu instid0(VALU_DEP_1) | instskip(NEXT) | instid1(VALU_DEP_1)
	v_readfirstlane_b32 s13, v2
	s_mul_i32 s20, s20, s13
	s_delay_alu instid0(SALU_CYCLE_1) | instskip(NEXT) | instid1(SALU_CYCLE_1)
	s_mul_hi_u32 s20, s13, s20
	s_add_i32 s13, s13, s20
	s_waitcnt vmcnt(0)
	v_readfirstlane_b32 s33, v1
	s_delay_alu instid0(VALU_DEP_1) | instskip(NEXT) | instid1(SALU_CYCLE_1)
	s_mul_hi_u32 s13, s33, s13
	s_mul_i32 s20, s13, s9
	s_add_i32 s21, s13, 1
	s_sub_i32 s20, s33, s20
	s_delay_alu instid0(SALU_CYCLE_1)
	s_sub_i32 s22, s20, s9
	s_cmp_ge_u32 s20, s9
	s_cselect_b32 s13, s21, s13
	s_cselect_b32 s20, s22, s20
	s_add_i32 s21, s13, 1
	s_cmp_ge_u32 s20, s9
	s_cselect_b32 s9, s21, s13
	s_delay_alu instid0(SALU_CYCLE_1) | instskip(NEXT) | instid1(SALU_CYCLE_1)
	s_xor_b32 s9, s9, s3
	s_sub_i32 s20, s9, s3
	s_delay_alu instid0(SALU_CYCLE_1) | instskip(SKIP_3) | instid1(VALU_DEP_1)
	s_abs_i32 s3, s20
	s_ashr_i32 s21, s20, 31
	v_cvt_f32_u32_e32 v1, s3
	s_sub_i32 s9, 0, s3
	v_rcp_iflag_f32_e32 v1, v1
	s_waitcnt_depctr 0xfff
	v_mul_f32_e32 v1, 0x4f7ffffe, v1
	s_delay_alu instid0(VALU_DEP_1) | instskip(NEXT) | instid1(VALU_DEP_1)
	v_cvt_u32_f32_e32 v1, v1
	v_mul_lo_u32 v2, s9, v1
	s_ashr_i32 s9, s8, 31
	s_delay_alu instid0(VALU_DEP_1) | instskip(NEXT) | instid1(VALU_DEP_1)
	v_mul_hi_u32 v2, v1, v2
	v_add_nc_u32_e32 v1, v1, v2
	s_delay_alu instid0(VALU_DEP_1) | instskip(NEXT) | instid1(VALU_DEP_1)
	v_mul_hi_u32 v1, v0, v1
	v_mul_lo_u32 v2, v1, s3
	v_add_nc_u32_e32 v3, 1, v1
	s_delay_alu instid0(VALU_DEP_2) | instskip(NEXT) | instid1(VALU_DEP_1)
	v_sub_nc_u32_e32 v2, v0, v2
	v_subrev_nc_u32_e32 v5, s3, v2
	v_cmp_le_u32_e32 vcc_lo, s3, v2
	s_delay_alu instid0(VALU_DEP_2) | instskip(NEXT) | instid1(VALU_DEP_1)
	v_dual_cndmask_b32 v2, v2, v5 :: v_dual_cndmask_b32 v1, v1, v3
	v_cmp_le_u32_e32 vcc_lo, s3, v2
	s_delay_alu instid0(VALU_DEP_2) | instskip(NEXT) | instid1(VALU_DEP_1)
	v_add_nc_u32_e32 v3, 1, v1
	v_cndmask_b32_e32 v1, v1, v3, vcc_lo
	s_delay_alu instid0(VALU_DEP_1) | instskip(NEXT) | instid1(VALU_DEP_1)
	v_xor_b32_e32 v1, s21, v1
	v_subrev_nc_u32_e32 v1, s21, v1
	s_delay_alu instid0(VALU_DEP_1) | instskip(SKIP_1) | instid1(VALU_DEP_2)
	v_ashrrev_i32_e32 v2, 31, v1
	v_mul_lo_u32 v3, v1, s20
	v_lshlrev_b64 v[7:8], 4, v[1:2]
	s_delay_alu instid0(VALU_DEP_2) | instskip(NEXT) | instid1(VALU_DEP_2)
	v_sub_nc_u32_e32 v3, v0, v3
	v_add_co_u32 v5, vcc_lo, v7, 16
	s_delay_alu instid0(VALU_DEP_3) | instskip(NEXT) | instid1(VALU_DEP_1)
	v_add_co_ci_u32_e32 v6, vcc_lo, 0, v8, vcc_lo
	v_cmp_gt_i64_e32 vcc_lo, s[8:9], v[5:6]
	v_cndmask_b32_e32 v6, s9, v6, vcc_lo
	v_cndmask_b32_e32 v5, s8, v5, vcc_lo
	v_add_co_u32 v7, vcc_lo, v7, v3
	v_add_co_ci_u32_e32 v8, vcc_lo, 0, v8, vcc_lo
	s_delay_alu instid0(VALU_DEP_3) | instskip(SKIP_2) | instid1(VALU_DEP_1)
	v_ashrrev_i32_e32 v10, 31, v5
	v_mov_b32_e32 v9, v5
	s_mov_b32 s9, exec_lo
	v_cmpx_lt_i64_e64 v[7:8], v[9:10]
	s_cbranch_execz .LBB54_26
; %bb.17:
	v_lshlrev_b64 v[11:12], 7, v[1:2]
	v_lshlrev_b64 v[13:14], 3, v[3:4]
	v_mov_b32_e32 v4, 0
	s_lshl_b64 s[22:23], s[20:21], 5
	s_mul_hi_i32 s13, s20, 3
	s_mul_i32 s35, s20, 3
	s_lshl_b64 s[24:25], s[20:21], 1
	v_add_co_u32 v21, vcc_lo, v11, v13
	v_add_co_ci_u32_e32 v22, vcc_lo, v12, v14, vcc_lo
	v_dual_mov_b32 v12, v8 :: v_dual_mov_b32 v11, v7
	s_lshl_b64 s[26:27], s[20:21], 3
	s_mov_b32 s36, 0
                                        ; implicit-def: $sgpr37
	s_branch .LBB54_21
.LBB54_18:                              ;   in Loop: Header=BB54_21 Depth=1
	s_or_b32 exec_lo, exec_lo, s40
	s_delay_alu instid0(SALU_CYCLE_1)
	s_or_not1_b32 s3, s3, exec_lo
.LBB54_19:                              ;   in Loop: Header=BB54_21 Depth=1
	s_or_b32 exec_lo, exec_lo, s39
	s_delay_alu instid0(SALU_CYCLE_1) | instskip(SKIP_1) | instid1(SALU_CYCLE_1)
	s_and_not1_b32 s37, s37, exec_lo
	s_and_b32 s3, s3, exec_lo
	s_or_b32 s37, s37, s3
.LBB54_20:                              ;   in Loop: Header=BB54_21 Depth=1
	s_or_b32 exec_lo, exec_lo, s38
	s_delay_alu instid0(SALU_CYCLE_1) | instskip(NEXT) | instid1(SALU_CYCLE_1)
	s_and_b32 s3, exec_lo, s37
	s_or_b32 s36, s3, s36
	s_delay_alu instid0(SALU_CYCLE_1)
	s_and_not1_b32 exec_lo, exec_lo, s36
	s_cbranch_execz .LBB54_25
.LBB54_21:                              ; =>This Inner Loop Header: Depth=1
	v_add_co_u32 v15, vcc_lo, s28, v21
	v_add_co_ci_u32_e32 v16, vcc_lo, s29, v22, vcc_lo
	v_add_co_u32 v19, vcc_lo, s30, v21
	v_add_co_ci_u32_e32 v20, vcc_lo, s31, v22, vcc_lo
	v_add_co_u32 v17, vcc_lo, s10, v21
	global_load_b64 v[13:14], v[15:16], off
	global_load_b64 v[23:24], v[19:20], off
	v_add_co_ci_u32_e32 v18, vcc_lo, s11, v22, vcc_lo
	s_or_b32 s37, s37, exec_lo
	s_mov_b32 s38, exec_lo
	global_load_b64 v[25:26], v[17:18], off
	s_waitcnt vmcnt(2)
	v_lshrrev_b32_e32 v27, 16, v13
	s_waitcnt vmcnt(1)
	v_lshrrev_b32_e32 v30, 16, v23
	v_lshrrev_b32_e32 v29, 16, v14
	v_cvt_f32_f16_e32 v13, v13
	v_lshrrev_b32_e32 v31, 16, v24
	v_cvt_f32_f16_e32 v23, v23
	v_cvt_f32_f16_e32 v27, v27
	;; [unrolled: 1-line block ×6, first 2 shown]
	v_add_f32_e32 v13, v13, v23
	v_cvt_f32_f16_e32 v23, v31
	s_delay_alu instid0(VALU_DEP_4)
	v_dual_add_f32 v27, v27, v30 :: v_dual_add_f32 v14, v14, v24
	s_waitcnt vmcnt(0)
	v_lshrrev_b32_e32 v30, 16, v25
	s_waitcnt lgkmcnt(0)
	v_fma_mixlo_f16 v13, v28, v13, 0
	v_add_f32_e32 v23, v29, v23
	v_fma_mixlo_f16 v24, v28, v27, 0
	v_lshrrev_b32_e32 v27, 16, v26
	v_fma_mixlo_f16 v14, v28, v14, 0
	v_mul_f16_e32 v13, v25, v13
	v_fma_mixlo_f16 v23, v28, v23, 0
	v_mul_f16_e32 v24, v30, v24
	s_delay_alu instid0(VALU_DEP_4) | instskip(NEXT) | instid1(VALU_DEP_4)
	v_mul_f16_e32 v25, v26, v14
	v_cvt_f32_f16_e64 v26, |v13|
	s_delay_alu instid0(VALU_DEP_4) | instskip(NEXT) | instid1(VALU_DEP_4)
	v_mul_f16_e32 v23, v27, v23
	v_cvt_f32_f16_e64 v24, |v24|
	v_add_co_u32 v13, vcc_lo, v11, s20
	v_cvt_f32_f16_e64 v25, |v25|
	s_delay_alu instid0(VALU_DEP_4) | instskip(NEXT) | instid1(VALU_DEP_4)
	v_cvt_f32_f16_e64 v23, |v23|
	v_max3_f32 v4, v4, v26, v24
	v_add_co_ci_u32_e32 v14, vcc_lo, s21, v12, vcc_lo
	s_delay_alu instid0(VALU_DEP_2) | instskip(NEXT) | instid1(VALU_DEP_2)
	v_max3_f32 v4, v4, v25, v23
	v_cmpx_lt_i64_e64 v[13:14], v[9:10]
	s_cbranch_execz .LBB54_20
; %bb.22:                               ;   in Loop: Header=BB54_21 Depth=1
	v_add_co_u32 v15, vcc_lo, v15, s26
	v_add_co_ci_u32_e32 v16, vcc_lo, s27, v16, vcc_lo
	v_add_co_u32 v19, vcc_lo, v19, s26
	v_add_co_ci_u32_e32 v20, vcc_lo, s27, v20, vcc_lo
	v_add_co_u32 v17, vcc_lo, v17, s26
	global_load_b64 v[23:24], v[15:16], off
	global_load_b64 v[25:26], v[19:20], off
	v_add_co_ci_u32_e32 v18, vcc_lo, s27, v18, vcc_lo
	s_mov_b32 s3, -1
	s_mov_b32 s39, exec_lo
	global_load_b64 v[29:30], v[17:18], off
	s_waitcnt vmcnt(2)
	v_lshrrev_b32_e32 v27, 16, v23
	s_waitcnt vmcnt(1)
	v_lshrrev_b32_e32 v32, 16, v25
	v_lshrrev_b32_e32 v31, 16, v24
	v_cvt_f32_f16_e32 v23, v23
	v_lshrrev_b32_e32 v33, 16, v26
	v_cvt_f32_f16_e32 v25, v25
	v_cvt_f32_f16_e32 v27, v27
	;; [unrolled: 1-line block ×6, first 2 shown]
	v_add_f32_e32 v23, v23, v25
	v_cvt_f32_f16_e32 v25, v33
	s_delay_alu instid0(VALU_DEP_4)
	v_dual_add_f32 v27, v27, v32 :: v_dual_add_f32 v24, v24, v26
	s_waitcnt vmcnt(0)
	v_lshrrev_b32_e32 v32, 16, v29
	v_fma_mixlo_f16 v23, v28, v23, 0
	v_add_f32_e32 v25, v31, v25
	v_fma_mixlo_f16 v26, v28, v27, 0
	v_lshrrev_b32_e32 v27, 16, v30
	v_fma_mixlo_f16 v24, v28, v24, 0
	v_mul_f16_e32 v23, v29, v23
	v_fma_mixlo_f16 v25, v28, v25, 0
	v_mul_f16_e32 v26, v32, v26
	s_delay_alu instid0(VALU_DEP_4) | instskip(NEXT) | instid1(VALU_DEP_4)
	v_mul_f16_e32 v29, v30, v24
	v_cvt_f32_f16_e64 v30, |v23|
	s_delay_alu instid0(VALU_DEP_4) | instskip(NEXT) | instid1(VALU_DEP_4)
	v_mul_f16_e32 v25, v27, v25
	v_cvt_f32_f16_e64 v26, |v26|
	v_add_co_u32 v23, vcc_lo, s24, v11
	v_cvt_f32_f16_e64 v27, |v29|
	s_delay_alu instid0(VALU_DEP_4) | instskip(NEXT) | instid1(VALU_DEP_4)
	v_cvt_f32_f16_e64 v25, |v25|
	v_max3_f32 v4, v4, v30, v26
	v_add_co_ci_u32_e32 v24, vcc_lo, s25, v12, vcc_lo
	s_delay_alu instid0(VALU_DEP_2) | instskip(NEXT) | instid1(VALU_DEP_2)
	v_max3_f32 v4, v4, v27, v25
	v_cmpx_lt_i64_e64 v[23:24], v[9:10]
	s_cbranch_execz .LBB54_19
; %bb.23:                               ;   in Loop: Header=BB54_21 Depth=1
	v_add_co_u32 v15, vcc_lo, v15, s26
	v_add_co_ci_u32_e32 v16, vcc_lo, s27, v16, vcc_lo
	v_add_co_u32 v19, vcc_lo, v19, s26
	v_add_co_ci_u32_e32 v20, vcc_lo, s27, v20, vcc_lo
	v_add_co_u32 v17, vcc_lo, v17, s26
	global_load_b64 v[23:24], v[15:16], off
	global_load_b64 v[25:26], v[19:20], off
	v_add_co_ci_u32_e32 v18, vcc_lo, s27, v18, vcc_lo
	v_add_co_u32 v11, vcc_lo, s35, v11
	v_add_co_ci_u32_e32 v12, vcc_lo, s13, v12, vcc_lo
	global_load_b64 v[29:30], v[17:18], off
	v_cmp_lt_i64_e32 vcc_lo, v[11:12], v[9:10]
                                        ; implicit-def: $vgpr11_vgpr12
	s_waitcnt vmcnt(2)
	v_lshrrev_b32_e32 v27, 16, v23
	s_waitcnt vmcnt(1)
	v_lshrrev_b32_e32 v32, 16, v25
	v_lshrrev_b32_e32 v31, 16, v24
	v_cvt_f32_f16_e32 v23, v23
	v_lshrrev_b32_e32 v33, 16, v26
	v_cvt_f32_f16_e32 v25, v25
	v_cvt_f32_f16_e32 v27, v27
	;; [unrolled: 1-line block ×6, first 2 shown]
	v_add_f32_e32 v23, v23, v25
	v_cvt_f32_f16_e32 v25, v33
	s_delay_alu instid0(VALU_DEP_4)
	v_dual_add_f32 v27, v27, v32 :: v_dual_add_f32 v24, v24, v26
	s_waitcnt vmcnt(0)
	v_lshrrev_b32_e32 v32, 16, v29
	v_fma_mixlo_f16 v23, v28, v23, 0
	v_add_f32_e32 v25, v31, v25
	v_fma_mixlo_f16 v26, v28, v27, 0
	v_lshrrev_b32_e32 v27, 16, v30
	v_fma_mixlo_f16 v24, v28, v24, 0
	v_mul_f16_e32 v23, v29, v23
	v_fma_mixlo_f16 v25, v28, v25, 0
	v_mul_f16_e32 v26, v32, v26
	s_delay_alu instid0(VALU_DEP_4) | instskip(NEXT) | instid1(VALU_DEP_4)
	v_mul_f16_e32 v24, v30, v24
	v_cvt_f32_f16_e64 v23, |v23|
	s_delay_alu instid0(VALU_DEP_4) | instskip(NEXT) | instid1(VALU_DEP_4)
	v_mul_f16_e32 v25, v27, v25
	v_cvt_f32_f16_e64 v26, |v26|
	s_delay_alu instid0(VALU_DEP_4) | instskip(NEXT) | instid1(VALU_DEP_2)
	v_cvt_f32_f16_e64 v24, |v24|
	v_max3_f32 v4, v4, v23, v26
	s_delay_alu instid0(VALU_DEP_4) | instskip(NEXT) | instid1(VALU_DEP_1)
	v_cvt_f32_f16_e64 v23, |v25|
	v_max3_f32 v4, v4, v24, v23
	s_and_saveexec_b32 s40, vcc_lo
	s_delay_alu instid0(SALU_CYCLE_1)
	s_xor_b32 s40, exec_lo, s40
	s_cbranch_execz .LBB54_18
; %bb.24:                               ;   in Loop: Header=BB54_21 Depth=1
	v_add_co_u32 v11, vcc_lo, v15, s26
	v_add_co_ci_u32_e32 v12, vcc_lo, s27, v16, vcc_lo
	v_add_co_u32 v15, vcc_lo, v19, s26
	v_add_co_ci_u32_e32 v16, vcc_lo, s27, v20, vcc_lo
	v_add_co_u32 v17, vcc_lo, v17, s26
	global_load_b64 v[11:12], v[11:12], off
	global_load_b64 v[15:16], v[15:16], off
	v_add_co_ci_u32_e32 v18, vcc_lo, s27, v18, vcc_lo
	s_add_u32 s3, s20, s20
	s_addc_u32 s41, s21, s21
	s_add_u32 s3, s3, s20
	global_load_b64 v[17:18], v[17:18], off
	s_addc_u32 s41, s41, s21
	s_waitcnt vmcnt(2)
	v_lshrrev_b32_e32 v19, 16, v11
	s_waitcnt vmcnt(1)
	v_lshrrev_b32_e32 v23, 16, v15
	v_lshrrev_b32_e32 v20, 16, v12
	v_cvt_f32_f16_e32 v11, v11
	v_lshrrev_b32_e32 v24, 16, v16
	v_cvt_f32_f16_e32 v15, v15
	v_cvt_f32_f16_e32 v19, v19
	;; [unrolled: 1-line block ×6, first 2 shown]
	v_add_f32_e32 v11, v11, v15
	v_cvt_f32_f16_e32 v15, v24
	s_delay_alu instid0(VALU_DEP_4)
	v_dual_add_f32 v19, v19, v23 :: v_dual_add_f32 v12, v12, v16
	s_waitcnt vmcnt(0)
	v_lshrrev_b32_e32 v23, 16, v17
	v_fma_mixlo_f16 v11, v28, v11, 0
	v_add_f32_e32 v15, v20, v15
	v_fma_mixlo_f16 v16, v28, v19, 0
	v_lshrrev_b32_e32 v19, 16, v18
	v_fma_mixlo_f16 v12, v28, v12, 0
	v_mul_f16_e32 v11, v17, v11
	v_fma_mixlo_f16 v15, v28, v15, 0
	v_mul_f16_e32 v16, v23, v16
	s_delay_alu instid0(VALU_DEP_4) | instskip(NEXT) | instid1(VALU_DEP_4)
	v_mul_f16_e32 v17, v18, v12
	v_cvt_f32_f16_e64 v18, |v11|
	s_delay_alu instid0(VALU_DEP_4) | instskip(NEXT) | instid1(VALU_DEP_4)
	v_mul_f16_e32 v15, v19, v15
	v_cvt_f32_f16_e64 v16, |v16|
	v_add_co_u32 v11, vcc_lo, s3, v13
	v_add_co_ci_u32_e32 v12, vcc_lo, s41, v14, vcc_lo
	v_cvt_f32_f16_e64 v13, |v17|
	v_cvt_f32_f16_e64 v14, |v15|
	v_max3_f32 v4, v4, v18, v16
	s_delay_alu instid0(VALU_DEP_4) | instskip(SKIP_1) | instid1(VALU_DEP_1)
	v_cmp_ge_i64_e32 vcc_lo, v[11:12], v[9:10]
	v_add_co_u32 v21, s3, v21, s22
	v_add_co_ci_u32_e64 v22, s3, s23, v22, s3
	s_delay_alu instid0(VALU_DEP_4)
	v_max3_f32 v4, v4, v13, v14
	s_or_not1_b32 s3, vcc_lo, exec_lo
	s_branch .LBB54_18
.LBB54_25:
	s_or_b32 exec_lo, exec_lo, s36
.LBB54_26:
	s_delay_alu instid0(SALU_CYCLE_1)
	s_or_b32 exec_lo, exec_lo, s9
	s_lshr_b32 s9, s33, 5
	v_lshlrev_b32_e32 v29, 2, v0
	v_cvt_f32_u32_e32 v9, s9
	s_sub_i32 s13, 0, s9
	s_add_i32 s22, s12, s9
	s_delay_alu instid0(SALU_CYCLE_1) | instskip(NEXT) | instid1(VALU_DEP_1)
	s_add_i32 s22, s22, -1
	v_rcp_iflag_f32_e32 v9, v9
	s_abs_i32 s23, s22
	s_ashr_i32 s22, s22, 31
	ds_store_b32 v29, v4
	s_waitcnt lgkmcnt(0)
	s_barrier
	buffer_gl0_inv
	v_mul_f32_e32 v9, 0x4f7ffffe, v9
	s_delay_alu instid0(VALU_DEP_1) | instskip(NEXT) | instid1(VALU_DEP_1)
	v_cvt_u32_f32_e32 v9, v9
	v_readfirstlane_b32 s3, v9
	s_delay_alu instid0(VALU_DEP_1) | instskip(NEXT) | instid1(SALU_CYCLE_1)
	s_mul_i32 s13, s13, s3
	s_mul_hi_u32 s13, s3, s13
	s_delay_alu instid0(SALU_CYCLE_1) | instskip(NEXT) | instid1(SALU_CYCLE_1)
	s_add_i32 s3, s3, s13
	s_mul_hi_u32 s3, s23, s3
	s_delay_alu instid0(SALU_CYCLE_1) | instskip(NEXT) | instid1(SALU_CYCLE_1)
	s_mul_i32 s13, s3, s9
	s_sub_i32 s13, s23, s13
	s_add_i32 s23, s3, 1
	s_sub_i32 s24, s13, s9
	s_cmp_ge_u32 s13, s9
	s_cselect_b32 s3, s23, s3
	s_cselect_b32 s13, s24, s13
	s_add_i32 s23, s3, 1
	s_cmp_ge_u32 s13, s9
	s_cselect_b32 s3, s23, s3
	s_delay_alu instid0(SALU_CYCLE_1) | instskip(NEXT) | instid1(SALU_CYCLE_1)
	s_xor_b32 s3, s3, s22
	s_sub_i32 s22, s3, s22
	s_delay_alu instid0(SALU_CYCLE_1) | instskip(NEXT) | instid1(SALU_CYCLE_1)
	s_ashr_i32 s23, s22, 31
	v_cmp_lt_i64_e64 s3, s[22:23], 1
	s_delay_alu instid0(VALU_DEP_1)
	s_and_b32 vcc_lo, exec_lo, s3
	s_cbranch_vccnz .LBB54_46
; %bb.27:
	v_lshrrev_b32_e32 v9, 5, v0
	v_and_b32_e32 v4, 31, v0
	s_ashr_i32 s13, s12, 31
	s_mov_b64 s[24:25], 0
	s_mov_b64 s[26:27], src_shared_base
	v_mul_lo_u32 v19, s20, v9
	v_add_co_u32 v11, s3, v4, 16
	s_delay_alu instid0(VALU_DEP_1) | instskip(SKIP_1) | instid1(VALU_DEP_1)
	v_add_co_ci_u32_e64 v12, null, 0, 0, s3
	v_add_co_u32 v13, s3, v4, 8
	v_add_co_ci_u32_e64 v14, null, 0, 0, s3
	v_add_co_u32 v15, s3, v4, 4
	v_dual_mov_b32 v10, 0 :: v_dual_lshlrev_b32 v21, 2, v19
	v_lshlrev_b32_e32 v22, 2, v4
	v_add_co_ci_u32_e64 v16, null, 0, 0, s3
	v_add_co_u32 v17, s3, v4, 2
	s_delay_alu instid0(VALU_DEP_1) | instskip(SKIP_1) | instid1(VALU_DEP_1)
	v_add_co_ci_u32_e64 v18, null, 0, 0, s3
	v_add_co_u32 v19, s3, v4, 1
	v_add_co_ci_u32_e64 v20, null, 0, 0, s3
	v_add3_u32 v30, v21, v22, 0x80
	s_mul_i32 s3, s20, s9
	s_delay_alu instid0(SALU_CYCLE_1)
	s_lshl_b32 s35, s3, 2
	s_branch .LBB54_30
.LBB54_28:                              ;   in Loop: Header=BB54_30 Depth=1
	s_or_b32 exec_lo, exec_lo, s3
	v_mov_b32_e32 v22, s27
	flat_load_b32 v21, v[21:22] glc dlc
	s_waitcnt vmcnt(0)
.LBB54_29:                              ;   in Loop: Header=BB54_30 Depth=1
	s_or_b32 exec_lo, exec_lo, s26
	s_add_u32 s24, s24, 1
	v_add_nc_u32_e32 v30, s35, v30
	s_addc_u32 s25, s25, 0
	s_delay_alu instid0(SALU_CYCLE_1)
	s_cmp_eq_u64 s[24:25], s[22:23]
	s_cbranch_scc1 .LBB54_46
.LBB54_30:                              ; =>This Loop Header: Depth=1
                                        ;     Child Loop BB54_33 Depth 2
	s_waitcnt lgkmcnt(0)
	v_mad_u64_u32 v[21:22], null, s24, s9, v[9:10]
	s_mov_b32 s26, exec_lo
	s_delay_alu instid0(VALU_DEP_1) | instskip(NEXT) | instid1(VALU_DEP_1)
	v_mad_u64_u32 v[23:24], null, s25, s9, v[22:23]
	v_mov_b32_e32 v22, v23
	s_delay_alu instid0(VALU_DEP_1)
	v_cmpx_gt_i64_e64 s[12:13], v[21:22]
	s_cbranch_execz .LBB54_29
; %bb.31:                               ;   in Loop: Header=BB54_30 Depth=1
	v_mul_lo_u32 v24, v22, s20
	v_mul_lo_u32 v25, v21, s21
	v_mad_u64_u32 v[22:23], null, v21, s20, 0
	s_delay_alu instid0(VALU_DEP_1) | instskip(NEXT) | instid1(VALU_DEP_2)
	v_add3_u32 v23, v23, v25, v24
	v_add_co_u32 v24, vcc_lo, v22, s20
	v_add_co_u32 v31, s3, v22, v4
	s_delay_alu instid0(VALU_DEP_3) | instskip(SKIP_2) | instid1(VALU_DEP_2)
	v_add_co_ci_u32_e32 v25, vcc_lo, s21, v23, vcc_lo
	v_add_co_ci_u32_e64 v21, s3, 0, v23, s3
	s_mov_b32 s3, exec_lo
	v_cmp_gt_i64_e32 vcc_lo, s[18:19], v[24:25]
	v_cndmask_b32_e32 v25, s19, v25, vcc_lo
	v_cndmask_b32_e32 v24, s18, v24, vcc_lo
	v_add_co_u32 v26, vcc_lo, v31, 32
	v_add_co_ci_u32_e32 v27, vcc_lo, 0, v21, vcc_lo
	v_lshlrev_b32_e32 v21, 2, v31
	s_delay_alu instid0(VALU_DEP_2)
	v_cmpx_lt_i64_e64 v[26:27], v[24:25]
	s_cbranch_execz .LBB54_34
; %bb.32:                               ;   in Loop: Header=BB54_30 Depth=1
	ds_load_b32 v33, v21
	v_mov_b32_e32 v32, v30
	s_mov_b32 s36, 0
.LBB54_33:                              ;   Parent Loop BB54_30 Depth=1
                                        ; =>  This Inner Loop Header: Depth=2
	ds_load_b32 v34, v32
	v_add_co_u32 v26, vcc_lo, v26, 32
	v_add_co_ci_u32_e32 v27, vcc_lo, 0, v27, vcc_lo
	s_waitcnt lgkmcnt(1)
	v_dual_max_f32 v33, v33, v33 :: v_dual_add_nc_u32 v32, 0x80, v32
	s_delay_alu instid0(VALU_DEP_2) | instskip(SKIP_3) | instid1(VALU_DEP_1)
	v_cmp_ge_i64_e32 vcc_lo, v[26:27], v[24:25]
	s_or_b32 s36, vcc_lo, s36
	s_waitcnt lgkmcnt(0)
	v_max_f32_e32 v34, v34, v34
	v_max_f32_e32 v33, v33, v34
	ds_store_b32 v21, v33
	s_and_not1_b32 exec_lo, exec_lo, s36
	s_cbranch_execnz .LBB54_33
.LBB54_34:                              ;   in Loop: Header=BB54_30 Depth=1
	s_or_b32 exec_lo, exec_lo, s3
	v_sub_co_u32 v22, vcc_lo, v24, v22
	v_sub_co_ci_u32_e32 v23, vcc_lo, v25, v23, vcc_lo
	s_mov_b32 s3, exec_lo
	s_delay_alu instid0(VALU_DEP_1) | instskip(SKIP_1) | instid1(VALU_DEP_1)
	v_cmp_gt_i64_e32 vcc_lo, 32, v[22:23]
	v_dual_cndmask_b32 v24, 0, v23 :: v_dual_cndmask_b32 v23, 32, v22
	v_cmpx_lt_i64_e64 v[11:12], v[23:24]
	s_cbranch_execz .LBB54_36
; %bb.35:                               ;   in Loop: Header=BB54_30 Depth=1
	v_dual_mov_b32 v22, s27 :: v_dual_add_nc_u32 v25, 64, v21
	v_mov_b32_e32 v26, s27
	flat_load_b32 v27, v[21:22] glc dlc
	s_waitcnt vmcnt(0)
	flat_load_b32 v25, v[25:26] glc dlc
	s_waitcnt vmcnt(0) lgkmcnt(0)
	v_dual_max_f32 v26, v27, v27 :: v_dual_max_f32 v25, v25, v25
	s_delay_alu instid0(VALU_DEP_1)
	v_max_f32_e32 v25, v26, v25
	flat_store_b32 v[21:22], v25 dlc
	s_waitcnt_vscnt null, 0x0
.LBB54_36:                              ;   in Loop: Header=BB54_30 Depth=1
	s_or_b32 exec_lo, exec_lo, s3
	s_delay_alu instid0(SALU_CYCLE_1)
	s_mov_b32 s3, exec_lo
	v_cmpx_lt_i64_e64 v[13:14], v[23:24]
	s_cbranch_execz .LBB54_38
; %bb.37:                               ;   in Loop: Header=BB54_30 Depth=1
	v_dual_mov_b32 v22, s27 :: v_dual_add_nc_u32 v25, 32, v21
	v_mov_b32_e32 v26, s27
	flat_load_b32 v27, v[21:22] glc dlc
	s_waitcnt vmcnt(0)
	flat_load_b32 v25, v[25:26] glc dlc
	s_waitcnt vmcnt(0) lgkmcnt(0)
	v_dual_max_f32 v26, v27, v27 :: v_dual_max_f32 v25, v25, v25
	s_delay_alu instid0(VALU_DEP_1)
	v_max_f32_e32 v25, v26, v25
	flat_store_b32 v[21:22], v25 dlc
	s_waitcnt_vscnt null, 0x0
.LBB54_38:                              ;   in Loop: Header=BB54_30 Depth=1
	s_or_b32 exec_lo, exec_lo, s3
	s_delay_alu instid0(SALU_CYCLE_1)
	s_mov_b32 s3, exec_lo
	v_cmpx_ge_i64_e64 v[15:16], v[23:24]
	s_xor_b32 s3, exec_lo, s3
; %bb.39:                               ;   in Loop: Header=BB54_30 Depth=1
                                        ; implicit-def: $vgpr21
; %bb.40:                               ;   in Loop: Header=BB54_30 Depth=1
	s_delay_alu instid0(SALU_CYCLE_1)
	s_and_not1_saveexec_b32 s3, s3
	s_cbranch_execz .LBB54_42
; %bb.41:                               ;   in Loop: Header=BB54_30 Depth=1
	v_dual_mov_b32 v22, s27 :: v_dual_add_nc_u32 v25, 16, v21
	v_mov_b32_e32 v26, s27
	flat_load_b32 v27, v[21:22] glc dlc
	s_waitcnt vmcnt(0)
	flat_load_b32 v25, v[25:26] glc dlc
	s_waitcnt vmcnt(0) lgkmcnt(0)
	v_dual_max_f32 v26, v27, v27 :: v_dual_max_f32 v25, v25, v25
	s_delay_alu instid0(VALU_DEP_1)
	v_max_f32_e32 v25, v26, v25
	flat_store_b32 v[21:22], v25 dlc
	s_waitcnt_vscnt null, 0x0
.LBB54_42:                              ;   in Loop: Header=BB54_30 Depth=1
	s_or_b32 exec_lo, exec_lo, s3
	v_lshlrev_b32_e32 v21, 2, v31
	s_mov_b32 s3, exec_lo
	v_cmpx_lt_i64_e64 v[17:18], v[23:24]
	s_cbranch_execz .LBB54_44
; %bb.43:                               ;   in Loop: Header=BB54_30 Depth=1
	s_delay_alu instid0(VALU_DEP_2)
	v_dual_mov_b32 v22, s27 :: v_dual_add_nc_u32 v25, 8, v21
	v_mov_b32_e32 v26, s27
	flat_load_b32 v27, v[21:22] glc dlc
	s_waitcnt vmcnt(0)
	flat_load_b32 v25, v[25:26] glc dlc
	s_waitcnt vmcnt(0) lgkmcnt(0)
	v_dual_max_f32 v26, v27, v27 :: v_dual_max_f32 v25, v25, v25
	s_delay_alu instid0(VALU_DEP_1)
	v_max_f32_e32 v25, v26, v25
	flat_store_b32 v[21:22], v25 dlc
	s_waitcnt_vscnt null, 0x0
.LBB54_44:                              ;   in Loop: Header=BB54_30 Depth=1
	s_or_b32 exec_lo, exec_lo, s3
	s_delay_alu instid0(SALU_CYCLE_1)
	s_mov_b32 s3, exec_lo
	v_cmpx_lt_i64_e64 v[19:20], v[23:24]
	s_cbranch_execz .LBB54_28
; %bb.45:                               ;   in Loop: Header=BB54_30 Depth=1
	v_dual_mov_b32 v22, s27 :: v_dual_add_nc_u32 v23, 4, v21
	v_mov_b32_e32 v24, s27
	flat_load_b32 v25, v[21:22] glc dlc
	s_waitcnt vmcnt(0)
	flat_load_b32 v23, v[23:24] glc dlc
	s_waitcnt vmcnt(0) lgkmcnt(0)
	v_dual_max_f32 v24, v25, v25 :: v_dual_max_f32 v23, v23, v23
	s_delay_alu instid0(VALU_DEP_1)
	v_max_f32_e32 v23, v24, v23
	flat_store_b32 v[21:22], v23 dlc
	s_waitcnt_vscnt null, 0x0
	s_branch .LBB54_28
.LBB54_46:
	s_load_b64 s[12:13], s[0:1], 0x40
	v_cmp_lt_i64_e32 vcc_lo, v[7:8], v[5:6]
	v_cmp_eq_u32_e64 s3, 0, v3
	s_waitcnt lgkmcnt(0)
	s_barrier
	buffer_gl0_inv
	s_and_b32 s9, s3, vcc_lo
	s_delay_alu instid0(SALU_CYCLE_1)
	s_and_saveexec_b32 s3, s9
	s_cbranch_execz .LBB54_53
; %bb.47:
	s_load_b64 s[0:1], s[0:1], 0x20
	ds_load_b32 v5, v29
	s_waitcnt lgkmcnt(0)
	s_cmp_eq_u64 s[0:1], 0
	s_cbranch_scc1 .LBB54_49
; %bb.48:
	s_load_b32 s0, s[0:1], 0x0
	v_max_f32_e32 v3, v5, v5
	s_waitcnt lgkmcnt(0)
	v_max_f32_e64 v4, s0, s0
	s_delay_alu instid0(VALU_DEP_1)
	v_min_f32_e32 v5, v3, v4
.LBB54_49:
	s_add_u32 s0, s12, s34
	s_addc_u32 s1, s13, 0
	s_add_u32 s18, s0, -1
	s_addc_u32 s19, s1, -1
	s_delay_alu instid0(SALU_CYCLE_1) | instskip(SKIP_1) | instid1(SALU_CYCLE_1)
	s_or_b64 s[20:21], s[18:19], s[12:13]
	s_mov_b32 s20, 0
	s_cmp_lg_u64 s[20:21], 0
	s_cbranch_scc0 .LBB54_162
; %bb.50:
	s_ashr_i32 s0, s13, 31
	s_delay_alu instid0(SALU_CYCLE_1) | instskip(SKIP_2) | instid1(SALU_CYCLE_1)
	s_add_u32 s22, s12, s0
	s_mov_b32 s1, s0
	s_addc_u32 s23, s13, s0
	s_xor_b64 s[0:1], s[22:23], s[0:1]
	s_delay_alu instid0(SALU_CYCLE_1) | instskip(SKIP_3) | instid1(VALU_DEP_1)
	v_cvt_f32_u32_e32 v3, s0
	v_cvt_f32_u32_e32 v4, s1
	s_sub_u32 s22, 0, s0
	s_subb_u32 s23, 0, s1
	v_fmamk_f32 v3, v4, 0x4f800000, v3
	s_delay_alu instid0(VALU_DEP_1) | instskip(SKIP_2) | instid1(VALU_DEP_1)
	v_rcp_f32_e32 v3, v3
	s_waitcnt_depctr 0xfff
	v_mul_f32_e32 v3, 0x5f7ffffc, v3
	v_mul_f32_e32 v4, 0x2f800000, v3
	s_delay_alu instid0(VALU_DEP_1) | instskip(NEXT) | instid1(VALU_DEP_1)
	v_trunc_f32_e32 v4, v4
	v_fmamk_f32 v3, v4, 0xcf800000, v3
	v_cvt_u32_f32_e32 v4, v4
	s_delay_alu instid0(VALU_DEP_2) | instskip(NEXT) | instid1(VALU_DEP_2)
	v_cvt_u32_f32_e32 v3, v3
	v_readfirstlane_b32 s9, v4
	s_delay_alu instid0(VALU_DEP_2) | instskip(NEXT) | instid1(VALU_DEP_2)
	v_readfirstlane_b32 s21, v3
	s_mul_i32 s24, s22, s9
	s_delay_alu instid0(VALU_DEP_1)
	s_mul_hi_u32 s26, s22, s21
	s_mul_i32 s25, s23, s21
	s_add_i32 s24, s26, s24
	s_mul_i32 s27, s22, s21
	s_add_i32 s24, s24, s25
	s_mul_hi_u32 s26, s21, s27
	s_mul_hi_u32 s35, s9, s27
	s_mul_i32 s25, s9, s27
	s_mul_hi_u32 s27, s21, s24
	s_mul_i32 s21, s21, s24
	s_mul_hi_u32 s36, s9, s24
	s_add_u32 s21, s26, s21
	s_addc_u32 s26, 0, s27
	s_add_u32 s21, s21, s25
	s_mul_i32 s24, s9, s24
	s_addc_u32 s21, s26, s35
	s_addc_u32 s25, s36, 0
	s_add_u32 s21, s21, s24
	s_addc_u32 s24, 0, s25
	v_add_co_u32 v3, s21, v3, s21
	s_delay_alu instid0(VALU_DEP_1) | instskip(SKIP_1) | instid1(VALU_DEP_1)
	s_cmp_lg_u32 s21, 0
	s_addc_u32 s9, s9, s24
	v_readfirstlane_b32 s21, v3
	s_mul_i32 s24, s22, s9
	s_delay_alu instid0(VALU_DEP_1)
	s_mul_hi_u32 s25, s22, s21
	s_mul_i32 s23, s23, s21
	s_add_i32 s24, s25, s24
	s_mul_i32 s22, s22, s21
	s_add_i32 s24, s24, s23
	s_mul_hi_u32 s25, s9, s22
	s_mul_i32 s26, s9, s22
	s_mul_hi_u32 s22, s21, s22
	s_mul_hi_u32 s27, s21, s24
	s_mul_i32 s21, s21, s24
	s_mul_hi_u32 s23, s9, s24
	s_add_u32 s21, s22, s21
	s_addc_u32 s22, 0, s27
	s_add_u32 s21, s21, s26
	s_mul_i32 s24, s9, s24
	s_addc_u32 s21, s22, s25
	s_addc_u32 s22, s23, 0
	s_add_u32 s21, s21, s24
	s_addc_u32 s22, 0, s22
	v_add_co_u32 v3, s21, v3, s21
	s_delay_alu instid0(VALU_DEP_1) | instskip(SKIP_2) | instid1(VALU_DEP_1)
	s_cmp_lg_u32 s21, 0
	s_addc_u32 s9, s9, s22
	s_ashr_i32 s22, s19, 31
	v_readfirstlane_b32 s21, v3
	s_add_u32 s24, s18, s22
	s_mov_b32 s23, s22
	s_addc_u32 s25, s19, s22
	s_delay_alu instid0(SALU_CYCLE_1) | instskip(NEXT) | instid1(SALU_CYCLE_1)
	s_xor_b64 s[24:25], s[24:25], s[22:23]
	s_mul_i32 s26, s24, s9
	s_mul_hi_u32 s27, s24, s21
	s_mul_hi_u32 s23, s24, s9
	;; [unrolled: 1-line block ×3, first 2 shown]
	s_mul_i32 s21, s25, s21
	s_add_u32 s26, s27, s26
	s_addc_u32 s23, 0, s23
	s_mul_hi_u32 s35, s25, s9
	s_add_u32 s21, s26, s21
	s_mul_i32 s9, s25, s9
	s_addc_u32 s21, s23, s36
	s_addc_u32 s23, s35, 0
	s_add_u32 s9, s21, s9
	s_addc_u32 s21, 0, s23
	s_mul_hi_u32 s23, s0, s9
	s_mul_i32 s21, s0, s21
	s_mul_i32 s26, s1, s9
	;; [unrolled: 1-line block ×3, first 2 shown]
	s_add_i32 s21, s23, s21
	v_sub_co_u32 v3, s9, s24, s9
	s_add_i32 s21, s21, s26
	s_delay_alu instid0(SALU_CYCLE_1) | instskip(SKIP_1) | instid1(VALU_DEP_1)
	s_sub_i32 s23, s25, s21
	s_cmp_lg_u32 s9, 0
	v_sub_co_u32 v4, s24, v3, s0
	s_subb_u32 s23, s23, s1
	s_cmp_lg_u32 s24, 0
	s_subb_u32 s26, s23, 0
	s_delay_alu instid0(VALU_DEP_1)
	v_cmp_le_u32_e32 vcc_lo, s0, v4
	s_cmp_ge_u32 s26, s1
	s_cselect_b32 s27, -1, 0
	s_cmp_eq_u32 s26, s1
	v_cndmask_b32_e64 v6, 0, -1, vcc_lo
	s_cselect_b32 vcc_lo, -1, 0
	s_cmp_lg_u32 s24, 0
	v_sub_co_u32 v7, s24, v4, s0
	s_subb_u32 s23, s23, s1
	s_cmp_lg_u32 s24, 0
	v_cndmask_b32_e32 v6, s27, v6, vcc_lo
	s_subb_u32 s23, s23, 0
	s_cmp_lg_u32 s9, 0
	v_cmp_le_u32_e32 vcc_lo, s0, v3
	s_subb_u32 s9, s25, s21
	s_delay_alu instid0(SALU_CYCLE_1)
	s_cmp_ge_u32 s9, s1
	v_cndmask_b32_e64 v8, 0, -1, vcc_lo
	s_cselect_b32 s21, -1, 0
	s_cmp_eq_u32 s9, s1
	v_cmp_ne_u32_e32 vcc_lo, 0, v6
	v_mov_b32_e32 v6, s23
	s_cselect_b32 s0, -1, 0
	s_delay_alu instid0(SALU_CYCLE_1) | instskip(SKIP_1) | instid1(VALU_DEP_3)
	v_cndmask_b32_e64 v8, s21, v8, s0
	v_cndmask_b32_e32 v4, v4, v7, vcc_lo
	v_cndmask_b32_e32 v6, s26, v6, vcc_lo
	s_delay_alu instid0(VALU_DEP_3) | instskip(NEXT) | instid1(VALU_DEP_3)
	v_cmp_ne_u32_e32 vcc_lo, 0, v8
	v_cndmask_b32_e32 v3, v3, v4, vcc_lo
	s_delay_alu instid0(VALU_DEP_3) | instskip(NEXT) | instid1(VALU_DEP_2)
	v_cndmask_b32_e32 v6, s9, v6, vcc_lo
	v_xor_b32_e32 v3, s22, v3
	s_delay_alu instid0(VALU_DEP_2) | instskip(NEXT) | instid1(VALU_DEP_2)
	v_xor_b32_e32 v4, s22, v6
	v_sub_co_u32 v3, vcc_lo, v3, s22
	s_delay_alu instid0(VALU_DEP_2)
	v_subrev_co_ci_u32_e32 v4, vcc_lo, s22, v4, vcc_lo
	s_and_not1_b32 vcc_lo, exec_lo, s20
	s_cbranch_vccnz .LBB54_52
.LBB54_51:
	v_cvt_f32_u32_e32 v3, s12
	s_sub_i32 s0, 0, s12
	s_delay_alu instid0(VALU_DEP_1) | instskip(SKIP_2) | instid1(VALU_DEP_1)
	v_rcp_iflag_f32_e32 v3, v3
	s_waitcnt_depctr 0xfff
	v_mul_f32_e32 v3, 0x4f7ffffe, v3
	v_cvt_u32_f32_e32 v3, v3
	s_delay_alu instid0(VALU_DEP_1) | instskip(NEXT) | instid1(VALU_DEP_1)
	v_mul_lo_u32 v4, s0, v3
	v_mul_hi_u32 v4, v3, v4
	s_delay_alu instid0(VALU_DEP_1) | instskip(NEXT) | instid1(VALU_DEP_1)
	v_add_nc_u32_e32 v3, v3, v4
	v_mul_hi_u32 v3, s18, v3
	s_delay_alu instid0(VALU_DEP_1) | instskip(NEXT) | instid1(VALU_DEP_1)
	v_mul_lo_u32 v3, v3, s12
	v_sub_nc_u32_e32 v3, s18, v3
	s_delay_alu instid0(VALU_DEP_1) | instskip(SKIP_1) | instid1(VALU_DEP_2)
	v_subrev_nc_u32_e32 v4, s12, v3
	v_cmp_le_u32_e32 vcc_lo, s12, v3
	v_cndmask_b32_e32 v3, v3, v4, vcc_lo
	s_delay_alu instid0(VALU_DEP_1) | instskip(SKIP_1) | instid1(VALU_DEP_2)
	v_subrev_nc_u32_e32 v4, s12, v3
	v_cmp_le_u32_e32 vcc_lo, s12, v3
	v_dual_cndmask_b32 v3, v3, v4 :: v_dual_mov_b32 v4, 0
.LBB54_52:
	v_div_scale_f32 v6, null, 0x43e00000, 0x43e00000, v5
	v_div_scale_f32 v9, vcc_lo, v5, 0x43e00000, v5
	s_delay_alu instid0(VALU_DEP_3) | instskip(NEXT) | instid1(VALU_DEP_3)
	v_sub_co_u32 v10, s0, s18, v3
	v_rcp_f32_e32 v7, v6
	v_sub_co_ci_u32_e64 v3, s0, s19, v4, s0
	s_lshl_b64 s[0:1], s[16:17], 2
	s_delay_alu instid0(SALU_CYCLE_1) | instskip(NEXT) | instid1(VALU_DEP_1)
	s_add_u32 s0, s0, s6
	v_mul_lo_u32 v11, v3, v1
	s_addc_u32 s1, s1, s7
	s_waitcnt_depctr 0xfff
	v_fma_f32 v8, -v6, v7, 1.0
	s_delay_alu instid0(VALU_DEP_1) | instskip(NEXT) | instid1(VALU_DEP_1)
	v_fmac_f32_e32 v7, v8, v7
	v_mul_f32_e32 v8, v9, v7
	s_delay_alu instid0(VALU_DEP_1) | instskip(NEXT) | instid1(VALU_DEP_1)
	v_fma_f32 v4, -v6, v8, v9
	v_fmac_f32_e32 v8, v4, v7
	v_mul_lo_u32 v4, v10, v2
	v_mad_u64_u32 v[2:3], null, v10, v1, 0
	s_delay_alu instid0(VALU_DEP_3) | instskip(NEXT) | instid1(VALU_DEP_2)
	v_fma_f32 v1, -v6, v8, v9
	v_add3_u32 v3, v3, v4, v11
	s_delay_alu instid0(VALU_DEP_2) | instskip(NEXT) | instid1(VALU_DEP_1)
	v_div_fmas_f32 v1, v1, v7, v8
	v_div_fixup_f32 v4, v1, 0x43e00000, v5
	s_delay_alu instid0(VALU_DEP_3) | instskip(NEXT) | instid1(VALU_DEP_2)
	v_lshlrev_b64 v[1:2], 2, v[2:3]
	v_max_f32_e32 v3, 0x36924925, v4
	s_delay_alu instid0(VALU_DEP_2) | instskip(NEXT) | instid1(VALU_DEP_3)
	v_add_co_u32 v1, vcc_lo, s0, v1
	v_add_co_ci_u32_e32 v2, vcc_lo, s1, v2, vcc_lo
	global_store_b32 v[1:2], v3, off
.LBB54_53:
	s_or_b32 exec_lo, exec_lo, s3
	s_waitcnt_vscnt null, 0x0
	s_barrier
	buffer_gl0_inv
	s_and_saveexec_b32 s0, s2
	s_cbranch_execz .LBB54_161
; %bb.54:
	s_add_u32 s0, s12, s34
	s_addc_u32 s1, s13, 0
	s_add_u32 s2, s0, -1
	s_addc_u32 s3, s1, -1
	s_delay_alu instid0(SALU_CYCLE_1) | instskip(SKIP_1) | instid1(SALU_CYCLE_1)
	s_or_b64 s[18:19], s[2:3], s[12:13]
	s_mov_b32 s18, 0
	s_cmp_lg_u64 s[18:19], 0
	s_cbranch_scc0 .LBB54_163
; %bb.55:
	s_ashr_i32 s0, s13, 31
	s_delay_alu instid0(SALU_CYCLE_1) | instskip(SKIP_2) | instid1(SALU_CYCLE_1)
	s_add_u32 s20, s12, s0
	s_mov_b32 s1, s0
	s_addc_u32 s21, s13, s0
	s_xor_b64 s[0:1], s[20:21], s[0:1]
	s_delay_alu instid0(SALU_CYCLE_1) | instskip(SKIP_3) | instid1(VALU_DEP_1)
	v_cvt_f32_u32_e32 v1, s0
	v_cvt_f32_u32_e32 v2, s1
	s_sub_u32 s19, 0, s0
	s_subb_u32 s20, 0, s1
	v_fmamk_f32 v1, v2, 0x4f800000, v1
	s_delay_alu instid0(VALU_DEP_1) | instskip(SKIP_2) | instid1(VALU_DEP_1)
	v_rcp_f32_e32 v1, v1
	s_waitcnt_depctr 0xfff
	v_mul_f32_e32 v1, 0x5f7ffffc, v1
	v_mul_f32_e32 v2, 0x2f800000, v1
	s_delay_alu instid0(VALU_DEP_1) | instskip(NEXT) | instid1(VALU_DEP_1)
	v_trunc_f32_e32 v2, v2
	v_fmamk_f32 v1, v2, 0xcf800000, v1
	v_cvt_u32_f32_e32 v2, v2
	s_delay_alu instid0(VALU_DEP_2) | instskip(NEXT) | instid1(VALU_DEP_2)
	v_cvt_u32_f32_e32 v1, v1
	v_readfirstlane_b32 s9, v2
	s_delay_alu instid0(VALU_DEP_2) | instskip(NEXT) | instid1(VALU_DEP_2)
	v_readfirstlane_b32 s13, v1
	s_mul_i32 s21, s19, s9
	s_delay_alu instid0(VALU_DEP_1)
	s_mul_hi_u32 s23, s19, s13
	s_mul_i32 s22, s20, s13
	s_add_i32 s21, s23, s21
	s_mul_i32 s24, s19, s13
	s_add_i32 s21, s21, s22
	s_mul_hi_u32 s23, s13, s24
	s_mul_hi_u32 s25, s9, s24
	s_mul_i32 s22, s9, s24
	s_mul_hi_u32 s24, s13, s21
	s_mul_i32 s13, s13, s21
	s_mul_hi_u32 s26, s9, s21
	s_add_u32 s13, s23, s13
	s_addc_u32 s23, 0, s24
	s_add_u32 s13, s13, s22
	s_mul_i32 s21, s9, s21
	s_addc_u32 s13, s23, s25
	s_addc_u32 s22, s26, 0
	s_add_u32 s13, s13, s21
	s_addc_u32 s21, 0, s22
	v_add_co_u32 v1, s13, v1, s13
	s_delay_alu instid0(VALU_DEP_1) | instskip(SKIP_1) | instid1(VALU_DEP_1)
	s_cmp_lg_u32 s13, 0
	s_addc_u32 s9, s9, s21
	v_readfirstlane_b32 s13, v1
	s_mul_i32 s21, s19, s9
	s_delay_alu instid0(VALU_DEP_1)
	s_mul_hi_u32 s22, s19, s13
	s_mul_i32 s20, s20, s13
	s_add_i32 s21, s22, s21
	s_mul_i32 s19, s19, s13
	s_add_i32 s21, s21, s20
	s_mul_hi_u32 s22, s9, s19
	s_mul_i32 s23, s9, s19
	s_mul_hi_u32 s19, s13, s19
	s_mul_hi_u32 s24, s13, s21
	s_mul_i32 s13, s13, s21
	s_mul_hi_u32 s20, s9, s21
	s_add_u32 s13, s19, s13
	s_addc_u32 s19, 0, s24
	s_add_u32 s13, s13, s23
	s_mul_i32 s21, s9, s21
	s_addc_u32 s13, s19, s22
	s_addc_u32 s19, s20, 0
	s_add_u32 s13, s13, s21
	s_addc_u32 s19, 0, s19
	v_add_co_u32 v1, s13, v1, s13
	s_delay_alu instid0(VALU_DEP_1) | instskip(SKIP_2) | instid1(VALU_DEP_1)
	s_cmp_lg_u32 s13, 0
	s_addc_u32 s9, s9, s19
	s_ashr_i32 s20, s3, 31
	v_readfirstlane_b32 s13, v1
	s_add_u32 s22, s2, s20
	s_mov_b32 s21, s20
	s_addc_u32 s23, s3, s20
	s_delay_alu instid0(SALU_CYCLE_1) | instskip(NEXT) | instid1(SALU_CYCLE_1)
	s_xor_b64 s[22:23], s[22:23], s[20:21]
	s_mul_i32 s21, s22, s9
	s_mul_hi_u32 s24, s22, s13
	s_mul_hi_u32 s19, s22, s9
	;; [unrolled: 1-line block ×3, first 2 shown]
	s_mul_i32 s13, s23, s13
	s_add_u32 s21, s24, s21
	s_addc_u32 s19, 0, s19
	s_mul_hi_u32 s25, s23, s9
	s_add_u32 s13, s21, s13
	s_mul_i32 s9, s23, s9
	s_addc_u32 s13, s19, s26
	s_addc_u32 s19, s25, 0
	s_add_u32 s9, s13, s9
	s_addc_u32 s13, 0, s19
	s_mul_hi_u32 s19, s0, s9
	s_mul_i32 s13, s0, s13
	s_mul_i32 s21, s1, s9
	;; [unrolled: 1-line block ×3, first 2 shown]
	s_add_i32 s13, s19, s13
	v_sub_co_u32 v1, s9, s22, s9
	s_add_i32 s13, s13, s21
	s_delay_alu instid0(SALU_CYCLE_1) | instskip(SKIP_1) | instid1(VALU_DEP_1)
	s_sub_i32 s19, s23, s13
	s_cmp_lg_u32 s9, 0
	v_sub_co_u32 v2, s21, v1, s0
	s_subb_u32 s19, s19, s1
	s_cmp_lg_u32 s21, 0
	s_subb_u32 s22, s19, 0
	s_delay_alu instid0(VALU_DEP_1)
	v_cmp_le_u32_e32 vcc_lo, s0, v2
	s_cmp_ge_u32 s22, s1
	s_cselect_b32 s24, -1, 0
	s_cmp_eq_u32 s22, s1
	v_cndmask_b32_e64 v3, 0, -1, vcc_lo
	s_cselect_b32 vcc_lo, -1, 0
	s_cmp_lg_u32 s21, 0
	v_sub_co_u32 v4, s21, v2, s0
	s_subb_u32 s19, s19, s1
	s_cmp_lg_u32 s21, 0
	v_cndmask_b32_e32 v3, s24, v3, vcc_lo
	s_subb_u32 s19, s19, 0
	s_cmp_lg_u32 s9, 0
	v_cmp_le_u32_e32 vcc_lo, s0, v1
	s_subb_u32 s9, s23, s13
	s_delay_alu instid0(SALU_CYCLE_1)
	s_cmp_ge_u32 s9, s1
	v_cndmask_b32_e64 v5, 0, -1, vcc_lo
	s_cselect_b32 s13, -1, 0
	s_cmp_eq_u32 s9, s1
	v_cmp_ne_u32_e32 vcc_lo, 0, v3
	v_mov_b32_e32 v3, s19
	s_cselect_b32 s0, -1, 0
	s_delay_alu instid0(SALU_CYCLE_1) | instskip(SKIP_1) | instid1(VALU_DEP_3)
	v_cndmask_b32_e64 v5, s13, v5, s0
	v_cndmask_b32_e32 v2, v2, v4, vcc_lo
	v_cndmask_b32_e32 v3, s22, v3, vcc_lo
	s_delay_alu instid0(VALU_DEP_3) | instskip(NEXT) | instid1(VALU_DEP_3)
	v_cmp_ne_u32_e32 vcc_lo, 0, v5
	v_cndmask_b32_e32 v1, v1, v2, vcc_lo
	s_delay_alu instid0(VALU_DEP_3) | instskip(NEXT) | instid1(VALU_DEP_2)
	v_cndmask_b32_e32 v3, s9, v3, vcc_lo
	v_xor_b32_e32 v1, s20, v1
	s_delay_alu instid0(VALU_DEP_2) | instskip(NEXT) | instid1(VALU_DEP_2)
	v_xor_b32_e32 v2, s20, v3
	v_sub_co_u32 v1, vcc_lo, v1, s20
	s_delay_alu instid0(VALU_DEP_2)
	v_subrev_co_ci_u32_e32 v2, vcc_lo, s20, v2, vcc_lo
	s_and_not1_b32 vcc_lo, exec_lo, s18
	s_cbranch_vccnz .LBB54_57
.LBB54_56:
	v_cvt_f32_u32_e32 v1, s12
	s_sub_i32 s0, 0, s12
	s_delay_alu instid0(VALU_DEP_1) | instskip(SKIP_2) | instid1(VALU_DEP_1)
	v_rcp_iflag_f32_e32 v1, v1
	s_waitcnt_depctr 0xfff
	v_mul_f32_e32 v1, 0x4f7ffffe, v1
	v_cvt_u32_f32_e32 v1, v1
	s_delay_alu instid0(VALU_DEP_1) | instskip(NEXT) | instid1(VALU_DEP_1)
	v_mul_lo_u32 v2, s0, v1
	v_mul_hi_u32 v2, v1, v2
	s_delay_alu instid0(VALU_DEP_1) | instskip(NEXT) | instid1(VALU_DEP_1)
	v_add_nc_u32_e32 v1, v1, v2
	v_mul_hi_u32 v1, s2, v1
	s_delay_alu instid0(VALU_DEP_1) | instskip(NEXT) | instid1(VALU_DEP_1)
	v_mul_lo_u32 v1, v1, s12
	v_sub_nc_u32_e32 v1, s2, v1
	s_delay_alu instid0(VALU_DEP_1) | instskip(SKIP_1) | instid1(VALU_DEP_2)
	v_subrev_nc_u32_e32 v2, s12, v1
	v_cmp_le_u32_e32 vcc_lo, s12, v1
	v_cndmask_b32_e32 v1, v1, v2, vcc_lo
	s_delay_alu instid0(VALU_DEP_1) | instskip(SKIP_1) | instid1(VALU_DEP_2)
	v_subrev_nc_u32_e32 v2, s12, v1
	v_cmp_le_u32_e32 vcc_lo, s12, v1
	v_dual_cndmask_b32 v1, v1, v2 :: v_dual_mov_b32 v2, 0
.LBB54_57:
	s_delay_alu instid0(VALU_DEP_1)
	v_sub_co_u32 v7, vcc_lo, s2, v1
	s_add_u32 s0, s4, s14
	s_addc_u32 s1, s5, s15
	s_lshl_b64 s[4:5], s[16:17], 2
	v_sub_co_ci_u32_e32 v8, vcc_lo, s3, v2, vcc_lo
	v_mov_b32_e32 v1, 0
	s_add_u32 s4, s6, s4
	s_addc_u32 s5, s7, s5
	s_mul_i32 s2, s33, 3
	s_lshl_b32 s3, s33, 1
	s_mov_b32 s6, 0
	s_mov_b32 s7, 0x43e00000
	s_add_i32 s9, s33, s33
	s_branch .LBB54_63
.LBB54_58:                              ;   in Loop: Header=BB54_63 Depth=1
	s_or_b32 exec_lo, exec_lo, s16
.LBB54_59:                              ;   in Loop: Header=BB54_63 Depth=1
	s_delay_alu instid0(SALU_CYCLE_1)
	s_or_b32 exec_lo, exec_lo, s15
	v_lshrrev_b32_e32 v10, 24, v14
	v_lshrrev_b32_e32 v3, 24, v3
	v_lshlrev_b32_e32 v11, 24, v12
	v_and_b32_e32 v12, 0x80000000, v4
	v_lshrrev_b32_e32 v6, 24, v6
	v_and_b32_e32 v10, 0x80, v10
	v_and_b32_e32 v3, 0x80, v3
	;; [unrolled: 1-line block ×3, first 2 shown]
	s_delay_alu instid0(VALU_DEP_3) | instskip(NEXT) | instid1(VALU_DEP_3)
	v_and_or_b32 v10, 0xff, v13, v10
	v_and_or_b32 v5, 0xff, v5, v3
	v_lshlrev_b64 v[3:4], 2, v[0:1]
	v_add3_u32 v0, s9, s33, v2
	v_and_or_b32 v6, 0x80, v6, v9
	v_lshlrev_b32_e32 v10, 16, v10
	v_lshlrev_b32_e32 v5, 8, v5
	v_add_co_u32 v2, vcc_lo, s0, v3
	s_delay_alu instid0(VALU_DEP_3) | instskip(SKIP_2) | instid1(VALU_DEP_3)
	v_or3_b32 v9, v12, v11, v10
	v_add_co_ci_u32_e32 v3, vcc_lo, s1, v4, vcc_lo
	v_cmp_le_u32_e32 vcc_lo, s8, v0
	v_or3_b32 v4, v9, v5, v6
	s_or_not1_b32 s15, vcc_lo, exec_lo
	global_store_b32 v[2:3], v4, off
.LBB54_60:                              ;   in Loop: Header=BB54_63 Depth=1
	s_or_b32 exec_lo, exec_lo, s14
	s_delay_alu instid0(SALU_CYCLE_1)
	s_or_not1_b32 s14, s15, exec_lo
.LBB54_61:                              ;   in Loop: Header=BB54_63 Depth=1
	s_or_b32 exec_lo, exec_lo, s13
	s_delay_alu instid0(SALU_CYCLE_1)
	s_or_not1_b32 s13, s14, exec_lo
.LBB54_62:                              ;   in Loop: Header=BB54_63 Depth=1
	s_or_b32 exec_lo, exec_lo, s12
	s_delay_alu instid0(SALU_CYCLE_1) | instskip(NEXT) | instid1(SALU_CYCLE_1)
	s_and_b32 s12, exec_lo, s13
	s_or_b32 s6, s12, s6
	s_delay_alu instid0(SALU_CYCLE_1)
	s_and_not1_b32 exec_lo, exec_lo, s6
	s_cbranch_execz .LBB54_161
.LBB54_63:                              ; =>This Inner Loop Header: Depth=1
	v_lshlrev_b64 v[2:3], 3, v[0:1]
	v_bfe_u32 v6, v0, 4, 26
	s_mov_b32 s12, exec_lo
	s_delay_alu instid0(VALU_DEP_1) | instskip(NEXT) | instid1(VALU_DEP_3)
	v_mad_u64_u32 v[4:5], null, v7, v6, 0
	v_add_co_u32 v9, vcc_lo, s28, v2
	s_delay_alu instid0(VALU_DEP_4)
	v_add_co_ci_u32_e32 v10, vcc_lo, s29, v3, vcc_lo
	v_add_co_u32 v14, vcc_lo, s30, v2
	v_add_co_ci_u32_e32 v15, vcc_lo, s31, v3, vcc_lo
	v_mad_u64_u32 v[11:12], null, v8, v6, v[5:6]
	global_load_b64 v[12:13], v[9:10], off
	global_load_b64 v[16:17], v[14:15], off
	v_add_co_u32 v2, vcc_lo, s10, v2
	v_add_co_ci_u32_e32 v3, vcc_lo, s11, v3, vcc_lo
	v_mov_b32_e32 v5, v11
	global_load_b64 v[2:3], v[2:3], off
	v_lshlrev_b64 v[4:5], 2, v[4:5]
	s_delay_alu instid0(VALU_DEP_1) | instskip(NEXT) | instid1(VALU_DEP_2)
	v_add_co_u32 v4, vcc_lo, s4, v4
	v_add_co_ci_u32_e32 v5, vcc_lo, s5, v5, vcc_lo
	global_load_b32 v9, v[4:5], off
	s_waitcnt vmcnt(3)
	v_cvt_f32_f16_e32 v4, v12
	s_waitcnt vmcnt(2)
	v_cvt_f32_f16_e32 v5, v16
	v_lshrrev_b32_e32 v12, 16, v12
	v_lshrrev_b32_e32 v16, 16, v16
	s_delay_alu instid0(VALU_DEP_3) | instskip(NEXT) | instid1(VALU_DEP_3)
	v_add_f32_e32 v4, v4, v5
	v_cvt_f32_f16_e32 v12, v12
	s_delay_alu instid0(VALU_DEP_3) | instskip(NEXT) | instid1(VALU_DEP_3)
	v_cvt_f32_f16_e32 v16, v16
	v_fma_mixlo_f16 v5, v28, v4, 0
	s_delay_alu instid0(VALU_DEP_2) | instskip(SKIP_1) | instid1(VALU_DEP_2)
	v_add_f32_e32 v12, v12, v16
	s_waitcnt vmcnt(1)
	v_mul_f16_e32 v5, v2, v5
	s_delay_alu instid0(VALU_DEP_1) | instskip(SKIP_1) | instid1(VALU_DEP_1)
	v_cvt_f32_f16_e32 v5, v5
	s_waitcnt vmcnt(0)
	v_div_scale_f32 v6, null, v9, v9, v5
	v_div_scale_f32 v18, vcc_lo, v5, v9, v5
	s_delay_alu instid0(VALU_DEP_2) | instskip(SKIP_2) | instid1(VALU_DEP_1)
	v_rcp_f32_e32 v10, v6
	s_waitcnt_depctr 0xfff
	v_fma_f32 v11, -v6, v10, 1.0
	v_fmac_f32_e32 v10, v11, v10
	s_delay_alu instid0(VALU_DEP_1) | instskip(NEXT) | instid1(VALU_DEP_1)
	v_mul_f32_e32 v11, v18, v10
	v_fma_f32 v19, -v6, v11, v18
	s_delay_alu instid0(VALU_DEP_1) | instskip(SKIP_2) | instid1(VALU_DEP_3)
	v_fmac_f32_e32 v11, v19, v10
	v_lshrrev_b32_e32 v19, 16, v13
	v_cvt_f32_f16_e32 v13, v13
	v_fma_f32 v6, -v6, v11, v18
	v_lshrrev_b32_e32 v18, 16, v17
	v_cvt_f32_f16_e32 v17, v17
	s_delay_alu instid0(VALU_DEP_3) | instskip(SKIP_1) | instid1(VALU_DEP_4)
	v_div_fmas_f32 v6, v6, v10, v11
	v_cvt_f32_f16_e32 v10, v19
	v_cvt_f32_f16_e32 v18, v18
	s_delay_alu instid0(VALU_DEP_4) | instskip(NEXT) | instid1(VALU_DEP_4)
	v_add_f32_e32 v11, v13, v17
	v_div_fixup_f32 v5, v6, v9, v5
	v_cvt_f16_f32_e32 v6, v4
	s_delay_alu instid0(VALU_DEP_4) | instskip(NEXT) | instid1(VALU_DEP_4)
	v_add_f32_e32 v10, v10, v18
	v_cvt_f16_f32_e32 v16, v11
	v_cvt_f16_f32_e32 v18, v12
	v_minmax_f32 v5, v5, s7, 0xc3e00000
	v_mov_b32_e32 v4, 0x7f
	v_cvt_f16_f32_e32 v17, v10
	s_delay_alu instid0(VALU_DEP_3) | instskip(NEXT) | instid1(VALU_DEP_2)
	v_and_b32_e32 v13, 0x7fffffff, v5
	v_pack_b32_f16 v17, v16, v17
	v_pack_b32_f16 v16, v6, v18
	v_mov_b32_e32 v6, 0x7f
	global_store_b64 v[14:15], v[16:17], off
	v_cmpx_gt_u32_e32 0x43f00000, v13
	s_cbranch_execz .LBB54_69
; %bb.64:                               ;   in Loop: Header=BB54_63 Depth=1
	s_mov_b32 s13, exec_lo
                                        ; implicit-def: $vgpr6
	v_cmpx_lt_u32_e32 0x3c7fffff, v13
	s_xor_b32 s13, exec_lo, s13
; %bb.65:                               ;   in Loop: Header=BB54_63 Depth=1
	v_bfe_u32 v6, v5, 20, 1
	s_delay_alu instid0(VALU_DEP_1) | instskip(NEXT) | instid1(VALU_DEP_1)
	v_add3_u32 v6, v5, v6, 0x407ffff
	v_lshrrev_b32_e32 v6, 20, v6
; %bb.66:                               ;   in Loop: Header=BB54_63 Depth=1
	s_and_not1_saveexec_b32 s13, s13
; %bb.67:                               ;   in Loop: Header=BB54_63 Depth=1
	v_add_f32_e64 v6, 0x46800000, |v5|
; %bb.68:                               ;   in Loop: Header=BB54_63 Depth=1
	s_or_b32 exec_lo, exec_lo, s13
.LBB54_69:                              ;   in Loop: Header=BB54_63 Depth=1
	s_delay_alu instid0(SALU_CYCLE_1) | instskip(SKIP_3) | instid1(VALU_DEP_1)
	s_or_b32 exec_lo, exec_lo, s12
	v_lshrrev_b32_e32 v2, 16, v2
	v_fma_mixlo_f16 v12, v28, v12, 0
	s_mov_b32 s12, exec_lo
	v_mul_f16_e32 v2, v2, v12
	s_delay_alu instid0(VALU_DEP_1) | instskip(NEXT) | instid1(VALU_DEP_1)
	v_cvt_f32_f16_e32 v2, v2
	v_div_scale_f32 v12, null, v9, v9, v2
	s_delay_alu instid0(VALU_DEP_1) | instskip(SKIP_2) | instid1(VALU_DEP_1)
	v_rcp_f32_e32 v13, v12
	s_waitcnt_depctr 0xfff
	v_fma_f32 v14, -v12, v13, 1.0
	v_fmac_f32_e32 v13, v14, v13
	v_div_scale_f32 v14, vcc_lo, v2, v9, v2
	s_delay_alu instid0(VALU_DEP_1) | instskip(NEXT) | instid1(VALU_DEP_1)
	v_mul_f32_e32 v15, v14, v13
	v_fma_f32 v16, -v12, v15, v14
	s_delay_alu instid0(VALU_DEP_1) | instskip(NEXT) | instid1(VALU_DEP_1)
	v_fmac_f32_e32 v15, v16, v13
	v_fma_f32 v12, -v12, v15, v14
	s_delay_alu instid0(VALU_DEP_1) | instskip(NEXT) | instid1(VALU_DEP_1)
	v_div_fmas_f32 v12, v12, v13, v15
	v_div_fixup_f32 v2, v12, v9, v2
	s_delay_alu instid0(VALU_DEP_1) | instskip(NEXT) | instid1(VALU_DEP_1)
	v_minmax_f32 v2, v2, s7, 0xc3e00000
	v_and_b32_e32 v12, 0x7fffffff, v2
	s_delay_alu instid0(VALU_DEP_1)
	v_cmpx_gt_u32_e32 0x43f00000, v12
	s_cbranch_execz .LBB54_75
; %bb.70:                               ;   in Loop: Header=BB54_63 Depth=1
	s_mov_b32 s13, exec_lo
                                        ; implicit-def: $vgpr4
	v_cmpx_lt_u32_e32 0x3c7fffff, v12
	s_xor_b32 s13, exec_lo, s13
; %bb.71:                               ;   in Loop: Header=BB54_63 Depth=1
	v_bfe_u32 v4, v2, 20, 1
	s_delay_alu instid0(VALU_DEP_1) | instskip(NEXT) | instid1(VALU_DEP_1)
	v_add3_u32 v4, v2, v4, 0x407ffff
	v_lshrrev_b32_e32 v4, 20, v4
; %bb.72:                               ;   in Loop: Header=BB54_63 Depth=1
	s_and_not1_saveexec_b32 s13, s13
; %bb.73:                               ;   in Loop: Header=BB54_63 Depth=1
	v_add_f32_e64 v4, 0x46800000, |v2|
; %bb.74:                               ;   in Loop: Header=BB54_63 Depth=1
	s_or_b32 exec_lo, exec_lo, s13
.LBB54_75:                              ;   in Loop: Header=BB54_63 Depth=1
	s_delay_alu instid0(SALU_CYCLE_1) | instskip(SKIP_2) | instid1(VALU_DEP_1)
	s_or_b32 exec_lo, exec_lo, s12
	v_fma_mixlo_f16 v11, v28, v11, 0
	s_mov_b32 s12, exec_lo
	v_mul_f16_e32 v11, v3, v11
	s_delay_alu instid0(VALU_DEP_1) | instskip(NEXT) | instid1(VALU_DEP_1)
	v_cvt_f32_f16_e32 v11, v11
	v_div_scale_f32 v12, null, v9, v9, v11
	v_div_scale_f32 v15, vcc_lo, v11, v9, v11
	s_delay_alu instid0(VALU_DEP_2) | instskip(SKIP_2) | instid1(VALU_DEP_1)
	v_rcp_f32_e32 v13, v12
	s_waitcnt_depctr 0xfff
	v_fma_f32 v14, -v12, v13, 1.0
	v_fmac_f32_e32 v13, v14, v13
	s_delay_alu instid0(VALU_DEP_1) | instskip(NEXT) | instid1(VALU_DEP_1)
	v_mul_f32_e32 v14, v15, v13
	v_fma_f32 v16, -v12, v14, v15
	s_delay_alu instid0(VALU_DEP_1) | instskip(NEXT) | instid1(VALU_DEP_1)
	v_fmac_f32_e32 v14, v16, v13
	v_fma_f32 v12, -v12, v14, v15
	s_delay_alu instid0(VALU_DEP_1) | instskip(NEXT) | instid1(VALU_DEP_1)
	v_div_fmas_f32 v12, v12, v13, v14
	v_div_fixup_f32 v11, v12, v9, v11
	v_mov_b32_e32 v12, 0x7f
	s_delay_alu instid0(VALU_DEP_2) | instskip(SKIP_1) | instid1(VALU_DEP_2)
	v_minmax_f32 v13, v11, s7, 0xc3e00000
	v_mov_b32_e32 v11, 0x7f
	v_and_b32_e32 v14, 0x7fffffff, v13
	s_delay_alu instid0(VALU_DEP_1)
	v_cmpx_gt_u32_e32 0x43f00000, v14
	s_cbranch_execz .LBB54_81
; %bb.76:                               ;   in Loop: Header=BB54_63 Depth=1
	s_mov_b32 s13, exec_lo
                                        ; implicit-def: $vgpr12
	v_cmpx_lt_u32_e32 0x3c7fffff, v14
	s_xor_b32 s13, exec_lo, s13
; %bb.77:                               ;   in Loop: Header=BB54_63 Depth=1
	v_bfe_u32 v12, v13, 20, 1
	s_delay_alu instid0(VALU_DEP_1) | instskip(NEXT) | instid1(VALU_DEP_1)
	v_add3_u32 v12, v13, v12, 0x407ffff
	v_lshrrev_b32_e32 v12, 20, v12
; %bb.78:                               ;   in Loop: Header=BB54_63 Depth=1
	s_and_not1_saveexec_b32 s13, s13
; %bb.79:                               ;   in Loop: Header=BB54_63 Depth=1
	v_add_f32_e64 v12, 0x46800000, |v13|
; %bb.80:                               ;   in Loop: Header=BB54_63 Depth=1
	s_or_b32 exec_lo, exec_lo, s13
.LBB54_81:                              ;   in Loop: Header=BB54_63 Depth=1
	s_delay_alu instid0(SALU_CYCLE_1) | instskip(SKIP_3) | instid1(VALU_DEP_1)
	s_or_b32 exec_lo, exec_lo, s12
	v_lshrrev_b32_e32 v3, 16, v3
	v_fma_mixlo_f16 v10, v28, v10, 0
	s_mov_b32 s12, exec_lo
	v_mul_f16_e32 v3, v3, v10
	s_delay_alu instid0(VALU_DEP_1) | instskip(NEXT) | instid1(VALU_DEP_1)
	v_cvt_f32_f16_e32 v3, v3
	v_div_scale_f32 v10, null, v9, v9, v3
	s_delay_alu instid0(VALU_DEP_1) | instskip(SKIP_2) | instid1(VALU_DEP_1)
	v_rcp_f32_e32 v14, v10
	s_waitcnt_depctr 0xfff
	v_fma_f32 v15, -v10, v14, 1.0
	v_fmac_f32_e32 v14, v15, v14
	v_div_scale_f32 v15, vcc_lo, v3, v9, v3
	s_delay_alu instid0(VALU_DEP_1) | instskip(NEXT) | instid1(VALU_DEP_1)
	v_mul_f32_e32 v16, v15, v14
	v_fma_f32 v17, -v10, v16, v15
	s_delay_alu instid0(VALU_DEP_1) | instskip(NEXT) | instid1(VALU_DEP_1)
	v_fmac_f32_e32 v16, v17, v14
	v_fma_f32 v10, -v10, v16, v15
	s_delay_alu instid0(VALU_DEP_1) | instskip(NEXT) | instid1(VALU_DEP_1)
	v_div_fmas_f32 v10, v10, v14, v16
	v_div_fixup_f32 v3, v10, v9, v3
	s_delay_alu instid0(VALU_DEP_1) | instskip(NEXT) | instid1(VALU_DEP_1)
	v_minmax_f32 v3, v3, s7, 0xc3e00000
	v_and_b32_e32 v9, 0x7fffffff, v3
	s_delay_alu instid0(VALU_DEP_1)
	v_cmpx_gt_u32_e32 0x43f00000, v9
	s_cbranch_execz .LBB54_87
; %bb.82:                               ;   in Loop: Header=BB54_63 Depth=1
	s_mov_b32 s13, exec_lo
                                        ; implicit-def: $vgpr11
	v_cmpx_lt_u32_e32 0x3c7fffff, v9
	s_xor_b32 s13, exec_lo, s13
; %bb.83:                               ;   in Loop: Header=BB54_63 Depth=1
	v_bfe_u32 v9, v3, 20, 1
	s_delay_alu instid0(VALU_DEP_1) | instskip(NEXT) | instid1(VALU_DEP_1)
	v_add3_u32 v9, v3, v9, 0x407ffff
	v_lshrrev_b32_e32 v11, 20, v9
; %bb.84:                               ;   in Loop: Header=BB54_63 Depth=1
	s_and_not1_saveexec_b32 s13, s13
; %bb.85:                               ;   in Loop: Header=BB54_63 Depth=1
	v_add_f32_e64 v11, 0x46800000, |v3|
; %bb.86:                               ;   in Loop: Header=BB54_63 Depth=1
	s_or_b32 exec_lo, exec_lo, s13
.LBB54_87:                              ;   in Loop: Header=BB54_63 Depth=1
	s_delay_alu instid0(SALU_CYCLE_1)
	s_or_b32 exec_lo, exec_lo, s12
	v_lshrrev_b32_e32 v9, 24, v13
	v_lshrrev_b32_e32 v2, 24, v2
	;; [unrolled: 1-line block ×3, first 2 shown]
	v_lshlrev_b32_e32 v10, 24, v11
	v_and_b32_e32 v11, 0x80000000, v3
	v_and_b32_e32 v9, 0x80, v9
	;; [unrolled: 1-line block ×4, first 2 shown]
	s_mov_b32 s13, -1
	s_mov_b32 s12, exec_lo
	v_and_or_b32 v9, 0xff, v12, v9
	v_and_or_b32 v2, 0xff, v4, v2
	v_lshlrev_b64 v[3:4], 2, v[0:1]
	v_and_or_b32 v5, 0x80, v5, v6
	s_delay_alu instid0(VALU_DEP_4) | instskip(NEXT) | instid1(VALU_DEP_4)
	v_lshlrev_b32_e32 v9, 16, v9
	v_lshlrev_b32_e32 v6, 8, v2
	v_add_nc_u32_e32 v2, s33, v0
	v_add_co_u32 v3, vcc_lo, s0, v3
	s_delay_alu instid0(VALU_DEP_4) | instskip(SKIP_1) | instid1(VALU_DEP_2)
	v_or3_b32 v9, v11, v10, v9
	v_add_co_ci_u32_e32 v4, vcc_lo, s1, v4, vcc_lo
	v_or3_b32 v5, v9, v6, v5
	global_store_b32 v[3:4], v5, off
	v_cmpx_gt_u32_e64 s8, v2
	s_cbranch_execz .LBB54_62
; %bb.88:                               ;   in Loop: Header=BB54_63 Depth=1
	v_bfe_u32 v15, v2, 4, 26
	s_mov_b32 s13, exec_lo
	s_delay_alu instid0(VALU_DEP_1) | instskip(NEXT) | instid1(VALU_DEP_1)
	v_mad_u64_u32 v[9:10], null, v7, v15, 0
	v_dual_mov_b32 v3, v1 :: v_dual_mov_b32 v6, v10
	s_delay_alu instid0(VALU_DEP_1) | instskip(NEXT) | instid1(VALU_DEP_2)
	v_lshlrev_b64 v[4:5], 3, v[2:3]
	v_mad_u64_u32 v[13:14], null, v8, v15, v[6:7]
	s_delay_alu instid0(VALU_DEP_2) | instskip(NEXT) | instid1(VALU_DEP_3)
	v_add_co_u32 v11, vcc_lo, s28, v4
	v_add_co_ci_u32_e32 v12, vcc_lo, s29, v5, vcc_lo
	v_add_co_u32 v16, vcc_lo, s30, v4
	v_add_co_ci_u32_e32 v17, vcc_lo, s31, v5, vcc_lo
	global_load_b64 v[14:15], v[11:12], off
	global_load_b64 v[18:19], v[16:17], off
	v_mov_b32_e32 v10, v13
	v_add_co_u32 v4, vcc_lo, s10, v4
	v_add_co_ci_u32_e32 v5, vcc_lo, s11, v5, vcc_lo
	s_delay_alu instid0(VALU_DEP_3)
	v_lshlrev_b64 v[9:10], 2, v[9:10]
	global_load_b64 v[4:5], v[4:5], off
	v_add_co_u32 v9, vcc_lo, s4, v9
	v_add_co_ci_u32_e32 v10, vcc_lo, s5, v10, vcc_lo
	global_load_b32 v11, v[9:10], off
	s_waitcnt vmcnt(3)
	v_cvt_f32_f16_e32 v6, v14
	s_waitcnt vmcnt(2)
	v_cvt_f32_f16_e32 v9, v18
	v_lshrrev_b32_e32 v14, 16, v14
	v_lshrrev_b32_e32 v18, 16, v18
	s_delay_alu instid0(VALU_DEP_3) | instskip(NEXT) | instid1(VALU_DEP_3)
	v_add_f32_e32 v6, v6, v9
	v_cvt_f32_f16_e32 v14, v14
	s_delay_alu instid0(VALU_DEP_3) | instskip(NEXT) | instid1(VALU_DEP_3)
	v_cvt_f32_f16_e32 v18, v18
	v_fma_mixlo_f16 v9, v28, v6, 0
	s_delay_alu instid0(VALU_DEP_2) | instskip(SKIP_1) | instid1(VALU_DEP_2)
	v_add_f32_e32 v14, v14, v18
	s_waitcnt vmcnt(1)
	v_mul_f16_e32 v9, v4, v9
	s_delay_alu instid0(VALU_DEP_1) | instskip(SKIP_1) | instid1(VALU_DEP_1)
	v_cvt_f32_f16_e32 v9, v9
	s_waitcnt vmcnt(0)
	v_div_scale_f32 v10, null, v11, v11, v9
	v_div_scale_f32 v20, vcc_lo, v9, v11, v9
	s_delay_alu instid0(VALU_DEP_2) | instskip(SKIP_2) | instid1(VALU_DEP_1)
	v_rcp_f32_e32 v12, v10
	s_waitcnt_depctr 0xfff
	v_fma_f32 v13, -v10, v12, 1.0
	v_fmac_f32_e32 v12, v13, v12
	s_delay_alu instid0(VALU_DEP_1) | instskip(NEXT) | instid1(VALU_DEP_1)
	v_mul_f32_e32 v13, v20, v12
	v_fma_f32 v21, -v10, v13, v20
	s_delay_alu instid0(VALU_DEP_1) | instskip(SKIP_2) | instid1(VALU_DEP_3)
	v_fmac_f32_e32 v13, v21, v12
	v_lshrrev_b32_e32 v21, 16, v15
	v_cvt_f32_f16_e32 v15, v15
	v_fma_f32 v10, -v10, v13, v20
	v_lshrrev_b32_e32 v20, 16, v19
	v_cvt_f32_f16_e32 v19, v19
	s_delay_alu instid0(VALU_DEP_3) | instskip(SKIP_1) | instid1(VALU_DEP_3)
	v_div_fmas_f32 v10, v10, v12, v13
	v_cvt_f32_f16_e32 v12, v21
	v_add_f32_e32 v13, v15, v19
	v_cvt_f32_f16_e32 v20, v20
	s_delay_alu instid0(VALU_DEP_4) | instskip(SKIP_1) | instid1(VALU_DEP_4)
	v_div_fixup_f32 v9, v10, v11, v9
	v_cvt_f16_f32_e32 v10, v6
	v_cvt_f16_f32_e32 v18, v13
	v_mov_b32_e32 v6, 0x7f
	s_delay_alu instid0(VALU_DEP_4) | instskip(SKIP_2) | instid1(VALU_DEP_3)
	v_minmax_f32 v9, v9, s7, 0xc3e00000
	v_add_f32_e32 v12, v12, v20
	v_cvt_f16_f32_e32 v20, v14
	v_and_b32_e32 v15, 0x7fffffff, v9
	s_delay_alu instid0(VALU_DEP_3) | instskip(NEXT) | instid1(VALU_DEP_1)
	v_cvt_f16_f32_e32 v19, v12
	v_pack_b32_f16 v19, v18, v19
	s_delay_alu instid0(VALU_DEP_4)
	v_pack_b32_f16 v18, v10, v20
	v_mov_b32_e32 v10, 0x7f
	global_store_b64 v[16:17], v[18:19], off
	v_cmpx_gt_u32_e32 0x43f00000, v15
	s_cbranch_execz .LBB54_94
; %bb.89:                               ;   in Loop: Header=BB54_63 Depth=1
	s_mov_b32 s14, exec_lo
                                        ; implicit-def: $vgpr10
	v_cmpx_lt_u32_e32 0x3c7fffff, v15
	s_xor_b32 s14, exec_lo, s14
; %bb.90:                               ;   in Loop: Header=BB54_63 Depth=1
	v_bfe_u32 v10, v9, 20, 1
	s_delay_alu instid0(VALU_DEP_1) | instskip(NEXT) | instid1(VALU_DEP_1)
	v_add3_u32 v10, v9, v10, 0x407ffff
	v_lshrrev_b32_e32 v10, 20, v10
; %bb.91:                               ;   in Loop: Header=BB54_63 Depth=1
	s_and_not1_saveexec_b32 s14, s14
; %bb.92:                               ;   in Loop: Header=BB54_63 Depth=1
	v_add_f32_e64 v10, 0x46800000, |v9|
; %bb.93:                               ;   in Loop: Header=BB54_63 Depth=1
	s_or_b32 exec_lo, exec_lo, s14
.LBB54_94:                              ;   in Loop: Header=BB54_63 Depth=1
	s_delay_alu instid0(SALU_CYCLE_1) | instskip(SKIP_3) | instid1(VALU_DEP_1)
	s_or_b32 exec_lo, exec_lo, s13
	v_lshrrev_b32_e32 v4, 16, v4
	v_fma_mixlo_f16 v14, v28, v14, 0
	s_mov_b32 s13, exec_lo
	v_mul_f16_e32 v4, v4, v14
	s_delay_alu instid0(VALU_DEP_1) | instskip(NEXT) | instid1(VALU_DEP_1)
	v_cvt_f32_f16_e32 v4, v4
	v_div_scale_f32 v14, null, v11, v11, v4
	s_delay_alu instid0(VALU_DEP_1) | instskip(SKIP_2) | instid1(VALU_DEP_1)
	v_rcp_f32_e32 v15, v14
	s_waitcnt_depctr 0xfff
	v_fma_f32 v16, -v14, v15, 1.0
	v_fmac_f32_e32 v15, v16, v15
	v_div_scale_f32 v16, vcc_lo, v4, v11, v4
	s_delay_alu instid0(VALU_DEP_1) | instskip(NEXT) | instid1(VALU_DEP_1)
	v_mul_f32_e32 v17, v16, v15
	v_fma_f32 v18, -v14, v17, v16
	s_delay_alu instid0(VALU_DEP_1) | instskip(NEXT) | instid1(VALU_DEP_1)
	v_fmac_f32_e32 v17, v18, v15
	v_fma_f32 v14, -v14, v17, v16
	s_delay_alu instid0(VALU_DEP_1) | instskip(NEXT) | instid1(VALU_DEP_1)
	v_div_fmas_f32 v14, v14, v15, v17
	v_div_fixup_f32 v4, v14, v11, v4
	s_delay_alu instid0(VALU_DEP_1) | instskip(NEXT) | instid1(VALU_DEP_1)
	v_minmax_f32 v4, v4, s7, 0xc3e00000
	v_and_b32_e32 v14, 0x7fffffff, v4
	s_delay_alu instid0(VALU_DEP_1)
	v_cmpx_gt_u32_e32 0x43f00000, v14
	s_cbranch_execz .LBB54_100
; %bb.95:                               ;   in Loop: Header=BB54_63 Depth=1
	s_mov_b32 s14, exec_lo
                                        ; implicit-def: $vgpr6
	v_cmpx_lt_u32_e32 0x3c7fffff, v14
	s_xor_b32 s14, exec_lo, s14
; %bb.96:                               ;   in Loop: Header=BB54_63 Depth=1
	v_bfe_u32 v6, v4, 20, 1
	s_delay_alu instid0(VALU_DEP_1) | instskip(NEXT) | instid1(VALU_DEP_1)
	v_add3_u32 v6, v4, v6, 0x407ffff
	v_lshrrev_b32_e32 v6, 20, v6
; %bb.97:                               ;   in Loop: Header=BB54_63 Depth=1
	s_and_not1_saveexec_b32 s14, s14
; %bb.98:                               ;   in Loop: Header=BB54_63 Depth=1
	v_add_f32_e64 v6, 0x46800000, |v4|
; %bb.99:                               ;   in Loop: Header=BB54_63 Depth=1
	s_or_b32 exec_lo, exec_lo, s14
.LBB54_100:                             ;   in Loop: Header=BB54_63 Depth=1
	s_delay_alu instid0(SALU_CYCLE_1) | instskip(SKIP_2) | instid1(VALU_DEP_1)
	s_or_b32 exec_lo, exec_lo, s13
	v_fma_mixlo_f16 v13, v28, v13, 0
	s_mov_b32 s13, exec_lo
	v_mul_f16_e32 v13, v5, v13
	s_delay_alu instid0(VALU_DEP_1) | instskip(NEXT) | instid1(VALU_DEP_1)
	v_cvt_f32_f16_e32 v13, v13
	v_div_scale_f32 v14, null, v11, v11, v13
	v_div_scale_f32 v17, vcc_lo, v13, v11, v13
	s_delay_alu instid0(VALU_DEP_2) | instskip(SKIP_2) | instid1(VALU_DEP_1)
	v_rcp_f32_e32 v15, v14
	s_waitcnt_depctr 0xfff
	v_fma_f32 v16, -v14, v15, 1.0
	v_fmac_f32_e32 v15, v16, v15
	s_delay_alu instid0(VALU_DEP_1) | instskip(NEXT) | instid1(VALU_DEP_1)
	v_mul_f32_e32 v16, v17, v15
	v_fma_f32 v18, -v14, v16, v17
	s_delay_alu instid0(VALU_DEP_1) | instskip(NEXT) | instid1(VALU_DEP_1)
	v_fmac_f32_e32 v16, v18, v15
	v_fma_f32 v14, -v14, v16, v17
	s_delay_alu instid0(VALU_DEP_1) | instskip(NEXT) | instid1(VALU_DEP_1)
	v_div_fmas_f32 v14, v14, v15, v16
	v_div_fixup_f32 v13, v14, v11, v13
	v_mov_b32_e32 v14, 0x7f
	s_delay_alu instid0(VALU_DEP_2) | instskip(SKIP_1) | instid1(VALU_DEP_2)
	v_minmax_f32 v15, v13, s7, 0xc3e00000
	v_mov_b32_e32 v13, 0x7f
	v_and_b32_e32 v16, 0x7fffffff, v15
	s_delay_alu instid0(VALU_DEP_1)
	v_cmpx_gt_u32_e32 0x43f00000, v16
	s_cbranch_execz .LBB54_106
; %bb.101:                              ;   in Loop: Header=BB54_63 Depth=1
	s_mov_b32 s14, exec_lo
                                        ; implicit-def: $vgpr14
	v_cmpx_lt_u32_e32 0x3c7fffff, v16
	s_xor_b32 s14, exec_lo, s14
; %bb.102:                              ;   in Loop: Header=BB54_63 Depth=1
	v_bfe_u32 v14, v15, 20, 1
	s_delay_alu instid0(VALU_DEP_1) | instskip(NEXT) | instid1(VALU_DEP_1)
	v_add3_u32 v14, v15, v14, 0x407ffff
	v_lshrrev_b32_e32 v14, 20, v14
; %bb.103:                              ;   in Loop: Header=BB54_63 Depth=1
	s_and_not1_saveexec_b32 s14, s14
; %bb.104:                              ;   in Loop: Header=BB54_63 Depth=1
	v_add_f32_e64 v14, 0x46800000, |v15|
; %bb.105:                              ;   in Loop: Header=BB54_63 Depth=1
	s_or_b32 exec_lo, exec_lo, s14
.LBB54_106:                             ;   in Loop: Header=BB54_63 Depth=1
	s_delay_alu instid0(SALU_CYCLE_1) | instskip(SKIP_3) | instid1(VALU_DEP_1)
	s_or_b32 exec_lo, exec_lo, s13
	v_lshrrev_b32_e32 v5, 16, v5
	v_fma_mixlo_f16 v12, v28, v12, 0
	s_mov_b32 s13, exec_lo
	v_mul_f16_e32 v5, v5, v12
	s_delay_alu instid0(VALU_DEP_1) | instskip(NEXT) | instid1(VALU_DEP_1)
	v_cvt_f32_f16_e32 v5, v5
	v_div_scale_f32 v12, null, v11, v11, v5
	s_delay_alu instid0(VALU_DEP_1) | instskip(SKIP_2) | instid1(VALU_DEP_1)
	v_rcp_f32_e32 v16, v12
	s_waitcnt_depctr 0xfff
	v_fma_f32 v17, -v12, v16, 1.0
	v_fmac_f32_e32 v16, v17, v16
	v_div_scale_f32 v17, vcc_lo, v5, v11, v5
	s_delay_alu instid0(VALU_DEP_1) | instskip(NEXT) | instid1(VALU_DEP_1)
	v_mul_f32_e32 v18, v17, v16
	v_fma_f32 v19, -v12, v18, v17
	s_delay_alu instid0(VALU_DEP_1) | instskip(NEXT) | instid1(VALU_DEP_1)
	v_fmac_f32_e32 v18, v19, v16
	v_fma_f32 v12, -v12, v18, v17
	s_delay_alu instid0(VALU_DEP_1) | instskip(NEXT) | instid1(VALU_DEP_1)
	v_div_fmas_f32 v12, v12, v16, v18
	v_div_fixup_f32 v5, v12, v11, v5
	s_delay_alu instid0(VALU_DEP_1) | instskip(NEXT) | instid1(VALU_DEP_1)
	v_minmax_f32 v5, v5, s7, 0xc3e00000
	v_and_b32_e32 v11, 0x7fffffff, v5
	s_delay_alu instid0(VALU_DEP_1)
	v_cmpx_gt_u32_e32 0x43f00000, v11
	s_cbranch_execz .LBB54_112
; %bb.107:                              ;   in Loop: Header=BB54_63 Depth=1
	s_mov_b32 s14, exec_lo
                                        ; implicit-def: $vgpr13
	v_cmpx_lt_u32_e32 0x3c7fffff, v11
	s_xor_b32 s14, exec_lo, s14
; %bb.108:                              ;   in Loop: Header=BB54_63 Depth=1
	v_bfe_u32 v11, v5, 20, 1
	s_delay_alu instid0(VALU_DEP_1) | instskip(NEXT) | instid1(VALU_DEP_1)
	v_add3_u32 v11, v5, v11, 0x407ffff
	v_lshrrev_b32_e32 v13, 20, v11
; %bb.109:                              ;   in Loop: Header=BB54_63 Depth=1
	s_and_not1_saveexec_b32 s14, s14
; %bb.110:                              ;   in Loop: Header=BB54_63 Depth=1
	v_add_f32_e64 v13, 0x46800000, |v5|
; %bb.111:                              ;   in Loop: Header=BB54_63 Depth=1
	s_or_b32 exec_lo, exec_lo, s14
.LBB54_112:                             ;   in Loop: Header=BB54_63 Depth=1
	s_delay_alu instid0(SALU_CYCLE_1)
	s_or_b32 exec_lo, exec_lo, s13
	v_lshrrev_b32_e32 v11, 24, v15
	v_lshrrev_b32_e32 v4, 24, v4
	;; [unrolled: 1-line block ×3, first 2 shown]
	v_lshlrev_b32_e32 v12, 24, v13
	v_and_b32_e32 v13, 0x80000000, v5
	v_and_b32_e32 v11, 0x80, v11
	;; [unrolled: 1-line block ×4, first 2 shown]
	s_mov_b32 s14, -1
	s_mov_b32 s13, exec_lo
	v_and_or_b32 v11, 0xff, v14, v11
	v_and_or_b32 v6, 0xff, v6, v4
	v_lshlrev_b64 v[4:5], 2, v[2:3]
	v_and_or_b32 v9, 0x80, v9, v10
	v_add_nc_u32_e32 v3, s3, v0
	v_lshlrev_b32_e32 v11, 16, v11
	v_lshlrev_b32_e32 v6, 8, v6
	v_add_co_u32 v4, vcc_lo, s0, v4
	s_delay_alu instid0(VALU_DEP_3) | instskip(SKIP_1) | instid1(VALU_DEP_2)
	v_or3_b32 v10, v13, v12, v11
	v_add_co_ci_u32_e32 v5, vcc_lo, s1, v5, vcc_lo
	v_or3_b32 v6, v10, v6, v9
	global_store_b32 v[4:5], v6, off
	v_cmpx_gt_u32_e64 s8, v3
	s_cbranch_execz .LBB54_61
; %bb.113:                              ;   in Loop: Header=BB54_63 Depth=1
	v_mov_b32_e32 v4, v1
	v_bfe_u32 v15, v3, 4, 26
	s_mov_b32 s14, exec_lo
	s_delay_alu instid0(VALU_DEP_2) | instskip(NEXT) | instid1(VALU_DEP_2)
	v_lshlrev_b64 v[5:6], 3, v[3:4]
	v_mad_u64_u32 v[9:10], null, v7, v15, 0
	s_delay_alu instid0(VALU_DEP_2) | instskip(NEXT) | instid1(VALU_DEP_3)
	v_add_co_u32 v11, vcc_lo, s28, v5
	v_add_co_ci_u32_e32 v12, vcc_lo, s29, v6, vcc_lo
	v_add_co_u32 v17, vcc_lo, s30, v5
	v_add_co_ci_u32_e32 v18, vcc_lo, s31, v6, vcc_lo
	s_delay_alu instid0(VALU_DEP_4)
	v_mad_u64_u32 v[13:14], null, v8, v15, v[10:11]
	global_load_b64 v[14:15], v[11:12], off
	global_load_b64 v[19:20], v[17:18], off
	v_add_co_u32 v5, vcc_lo, s10, v5
	v_add_co_ci_u32_e32 v6, vcc_lo, s11, v6, vcc_lo
	v_mov_b32_e32 v10, v13
	global_load_b64 v[5:6], v[5:6], off
	v_lshlrev_b64 v[9:10], 2, v[9:10]
	s_delay_alu instid0(VALU_DEP_1) | instskip(NEXT) | instid1(VALU_DEP_2)
	v_add_co_u32 v9, vcc_lo, s4, v9
	v_add_co_ci_u32_e32 v10, vcc_lo, s5, v10, vcc_lo
	global_load_b32 v12, v[9:10], off
	s_waitcnt vmcnt(3)
	v_cvt_f32_f16_e32 v9, v14
	s_waitcnt vmcnt(2)
	v_cvt_f32_f16_e32 v10, v19
	v_lshrrev_b32_e32 v14, 16, v14
	v_lshrrev_b32_e32 v19, 16, v19
	s_delay_alu instid0(VALU_DEP_3) | instskip(NEXT) | instid1(VALU_DEP_2)
	v_add_f32_e32 v9, v9, v10
	v_cvt_f32_f16_e32 v19, v19
	s_delay_alu instid0(VALU_DEP_2) | instskip(SKIP_1) | instid1(VALU_DEP_1)
	v_fma_mixlo_f16 v10, v28, v9, 0
	s_waitcnt vmcnt(1)
	v_mul_f16_e32 v10, v5, v10
	s_delay_alu instid0(VALU_DEP_1) | instskip(SKIP_1) | instid1(VALU_DEP_1)
	v_cvt_f32_f16_e32 v10, v10
	s_waitcnt vmcnt(0)
	v_div_scale_f32 v11, null, v12, v12, v10
	v_div_scale_f32 v21, vcc_lo, v10, v12, v10
	s_delay_alu instid0(VALU_DEP_2) | instskip(SKIP_2) | instid1(VALU_DEP_1)
	v_rcp_f32_e32 v13, v11
	s_waitcnt_depctr 0xfff
	v_fma_f32 v16, -v11, v13, 1.0
	v_fmac_f32_e32 v13, v16, v13
	s_delay_alu instid0(VALU_DEP_1) | instskip(NEXT) | instid1(VALU_DEP_1)
	v_mul_f32_e32 v16, v21, v13
	v_fma_f32 v22, -v11, v16, v21
	s_delay_alu instid0(VALU_DEP_1) | instskip(SKIP_2) | instid1(VALU_DEP_3)
	v_fmac_f32_e32 v16, v22, v13
	v_lshrrev_b32_e32 v22, 16, v15
	v_cvt_f32_f16_e32 v15, v15
	v_fma_f32 v11, -v11, v16, v21
	v_lshrrev_b32_e32 v21, 16, v20
	v_cvt_f32_f16_e32 v20, v20
	s_delay_alu instid0(VALU_DEP_3)
	v_div_fmas_f32 v11, v11, v13, v16
	v_cvt_f32_f16_e32 v16, v14
	v_cvt_f32_f16_e32 v13, v22
	;; [unrolled: 1-line block ×3, first 2 shown]
	v_add_f32_e32 v14, v15, v20
	v_div_fixup_f32 v10, v11, v12, v10
	v_add_f32_e32 v15, v16, v19
	v_cvt_f16_f32_e32 v11, v9
	v_add_f32_e32 v13, v13, v21
	v_cvt_f16_f32_e32 v19, v14
	v_minmax_f32 v10, v10, s7, 0xc3e00000
	v_cvt_f16_f32_e32 v21, v15
	v_mov_b32_e32 v9, 0x7f
	v_cvt_f16_f32_e32 v20, v13
	s_delay_alu instid0(VALU_DEP_4) | instskip(NEXT) | instid1(VALU_DEP_2)
	v_and_b32_e32 v16, 0x7fffffff, v10
	v_pack_b32_f16 v20, v19, v20
	v_pack_b32_f16 v19, v11, v21
	v_mov_b32_e32 v11, 0x7f
	global_store_b64 v[17:18], v[19:20], off
	v_cmpx_gt_u32_e32 0x43f00000, v16
	s_cbranch_execz .LBB54_119
; %bb.114:                              ;   in Loop: Header=BB54_63 Depth=1
	s_mov_b32 s15, exec_lo
                                        ; implicit-def: $vgpr11
	v_cmpx_lt_u32_e32 0x3c7fffff, v16
	s_xor_b32 s15, exec_lo, s15
; %bb.115:                              ;   in Loop: Header=BB54_63 Depth=1
	v_bfe_u32 v11, v10, 20, 1
	s_delay_alu instid0(VALU_DEP_1) | instskip(NEXT) | instid1(VALU_DEP_1)
	v_add3_u32 v11, v10, v11, 0x407ffff
	v_lshrrev_b32_e32 v11, 20, v11
; %bb.116:                              ;   in Loop: Header=BB54_63 Depth=1
	s_and_not1_saveexec_b32 s15, s15
; %bb.117:                              ;   in Loop: Header=BB54_63 Depth=1
	v_add_f32_e64 v11, 0x46800000, |v10|
; %bb.118:                              ;   in Loop: Header=BB54_63 Depth=1
	s_or_b32 exec_lo, exec_lo, s15
.LBB54_119:                             ;   in Loop: Header=BB54_63 Depth=1
	s_delay_alu instid0(SALU_CYCLE_1) | instskip(SKIP_3) | instid1(VALU_DEP_1)
	s_or_b32 exec_lo, exec_lo, s14
	v_lshrrev_b32_e32 v5, 16, v5
	v_fma_mixlo_f16 v15, v28, v15, 0
	s_mov_b32 s14, exec_lo
	v_mul_f16_e32 v5, v5, v15
	s_delay_alu instid0(VALU_DEP_1) | instskip(NEXT) | instid1(VALU_DEP_1)
	v_cvt_f32_f16_e32 v5, v5
	v_div_scale_f32 v15, null, v12, v12, v5
	s_delay_alu instid0(VALU_DEP_1) | instskip(SKIP_2) | instid1(VALU_DEP_1)
	v_rcp_f32_e32 v16, v15
	s_waitcnt_depctr 0xfff
	v_fma_f32 v17, -v15, v16, 1.0
	v_fmac_f32_e32 v16, v17, v16
	v_div_scale_f32 v17, vcc_lo, v5, v12, v5
	s_delay_alu instid0(VALU_DEP_1) | instskip(NEXT) | instid1(VALU_DEP_1)
	v_mul_f32_e32 v18, v17, v16
	v_fma_f32 v19, -v15, v18, v17
	s_delay_alu instid0(VALU_DEP_1) | instskip(NEXT) | instid1(VALU_DEP_1)
	v_fmac_f32_e32 v18, v19, v16
	v_fma_f32 v15, -v15, v18, v17
	s_delay_alu instid0(VALU_DEP_1) | instskip(NEXT) | instid1(VALU_DEP_1)
	v_div_fmas_f32 v15, v15, v16, v18
	v_div_fixup_f32 v5, v15, v12, v5
	s_delay_alu instid0(VALU_DEP_1) | instskip(NEXT) | instid1(VALU_DEP_1)
	v_minmax_f32 v5, v5, s7, 0xc3e00000
	v_and_b32_e32 v15, 0x7fffffff, v5
	s_delay_alu instid0(VALU_DEP_1)
	v_cmpx_gt_u32_e32 0x43f00000, v15
	s_cbranch_execz .LBB54_125
; %bb.120:                              ;   in Loop: Header=BB54_63 Depth=1
	s_mov_b32 s15, exec_lo
                                        ; implicit-def: $vgpr9
	v_cmpx_lt_u32_e32 0x3c7fffff, v15
	s_xor_b32 s15, exec_lo, s15
; %bb.121:                              ;   in Loop: Header=BB54_63 Depth=1
	v_bfe_u32 v9, v5, 20, 1
	s_delay_alu instid0(VALU_DEP_1) | instskip(NEXT) | instid1(VALU_DEP_1)
	v_add3_u32 v9, v5, v9, 0x407ffff
	v_lshrrev_b32_e32 v9, 20, v9
; %bb.122:                              ;   in Loop: Header=BB54_63 Depth=1
	s_and_not1_saveexec_b32 s15, s15
; %bb.123:                              ;   in Loop: Header=BB54_63 Depth=1
	v_add_f32_e64 v9, 0x46800000, |v5|
; %bb.124:                              ;   in Loop: Header=BB54_63 Depth=1
	s_or_b32 exec_lo, exec_lo, s15
.LBB54_125:                             ;   in Loop: Header=BB54_63 Depth=1
	s_delay_alu instid0(SALU_CYCLE_1) | instskip(SKIP_2) | instid1(VALU_DEP_1)
	s_or_b32 exec_lo, exec_lo, s14
	v_fma_mixlo_f16 v14, v28, v14, 0
	s_mov_b32 s14, exec_lo
	v_mul_f16_e32 v14, v6, v14
	s_delay_alu instid0(VALU_DEP_1) | instskip(NEXT) | instid1(VALU_DEP_1)
	v_cvt_f32_f16_e32 v14, v14
	v_div_scale_f32 v15, null, v12, v12, v14
	v_div_scale_f32 v18, vcc_lo, v14, v12, v14
	s_delay_alu instid0(VALU_DEP_2) | instskip(SKIP_2) | instid1(VALU_DEP_1)
	v_rcp_f32_e32 v16, v15
	s_waitcnt_depctr 0xfff
	v_fma_f32 v17, -v15, v16, 1.0
	v_fmac_f32_e32 v16, v17, v16
	s_delay_alu instid0(VALU_DEP_1) | instskip(NEXT) | instid1(VALU_DEP_1)
	v_mul_f32_e32 v17, v18, v16
	v_fma_f32 v19, -v15, v17, v18
	s_delay_alu instid0(VALU_DEP_1) | instskip(NEXT) | instid1(VALU_DEP_1)
	v_fmac_f32_e32 v17, v19, v16
	v_fma_f32 v15, -v15, v17, v18
	s_delay_alu instid0(VALU_DEP_1) | instskip(NEXT) | instid1(VALU_DEP_1)
	v_div_fmas_f32 v15, v15, v16, v17
	v_div_fixup_f32 v14, v15, v12, v14
	v_mov_b32_e32 v15, 0x7f
	s_delay_alu instid0(VALU_DEP_2) | instskip(SKIP_1) | instid1(VALU_DEP_2)
	v_minmax_f32 v16, v14, s7, 0xc3e00000
	v_mov_b32_e32 v14, 0x7f
	v_and_b32_e32 v17, 0x7fffffff, v16
	s_delay_alu instid0(VALU_DEP_1)
	v_cmpx_gt_u32_e32 0x43f00000, v17
	s_cbranch_execz .LBB54_131
; %bb.126:                              ;   in Loop: Header=BB54_63 Depth=1
	s_mov_b32 s15, exec_lo
                                        ; implicit-def: $vgpr15
	v_cmpx_lt_u32_e32 0x3c7fffff, v17
	s_xor_b32 s15, exec_lo, s15
; %bb.127:                              ;   in Loop: Header=BB54_63 Depth=1
	v_bfe_u32 v15, v16, 20, 1
	s_delay_alu instid0(VALU_DEP_1) | instskip(NEXT) | instid1(VALU_DEP_1)
	v_add3_u32 v15, v16, v15, 0x407ffff
	v_lshrrev_b32_e32 v15, 20, v15
; %bb.128:                              ;   in Loop: Header=BB54_63 Depth=1
	s_and_not1_saveexec_b32 s15, s15
; %bb.129:                              ;   in Loop: Header=BB54_63 Depth=1
	v_add_f32_e64 v15, 0x46800000, |v16|
; %bb.130:                              ;   in Loop: Header=BB54_63 Depth=1
	s_or_b32 exec_lo, exec_lo, s15
.LBB54_131:                             ;   in Loop: Header=BB54_63 Depth=1
	s_delay_alu instid0(SALU_CYCLE_1) | instskip(SKIP_3) | instid1(VALU_DEP_1)
	s_or_b32 exec_lo, exec_lo, s14
	v_lshrrev_b32_e32 v6, 16, v6
	v_fma_mixlo_f16 v13, v28, v13, 0
	s_mov_b32 s14, exec_lo
	v_mul_f16_e32 v6, v6, v13
	s_delay_alu instid0(VALU_DEP_1) | instskip(NEXT) | instid1(VALU_DEP_1)
	v_cvt_f32_f16_e32 v6, v6
	v_div_scale_f32 v13, null, v12, v12, v6
	s_delay_alu instid0(VALU_DEP_1) | instskip(SKIP_2) | instid1(VALU_DEP_1)
	v_rcp_f32_e32 v17, v13
	s_waitcnt_depctr 0xfff
	v_fma_f32 v18, -v13, v17, 1.0
	v_fmac_f32_e32 v17, v18, v17
	v_div_scale_f32 v18, vcc_lo, v6, v12, v6
	s_delay_alu instid0(VALU_DEP_1) | instskip(NEXT) | instid1(VALU_DEP_1)
	v_mul_f32_e32 v19, v18, v17
	v_fma_f32 v20, -v13, v19, v18
	s_delay_alu instid0(VALU_DEP_1) | instskip(NEXT) | instid1(VALU_DEP_1)
	v_fmac_f32_e32 v19, v20, v17
	v_fma_f32 v13, -v13, v19, v18
	s_delay_alu instid0(VALU_DEP_1) | instskip(NEXT) | instid1(VALU_DEP_1)
	v_div_fmas_f32 v13, v13, v17, v19
	v_div_fixup_f32 v6, v13, v12, v6
	s_delay_alu instid0(VALU_DEP_1) | instskip(NEXT) | instid1(VALU_DEP_1)
	v_minmax_f32 v6, v6, s7, 0xc3e00000
	v_and_b32_e32 v12, 0x7fffffff, v6
	s_delay_alu instid0(VALU_DEP_1)
	v_cmpx_gt_u32_e32 0x43f00000, v12
	s_cbranch_execz .LBB54_137
; %bb.132:                              ;   in Loop: Header=BB54_63 Depth=1
	s_mov_b32 s15, exec_lo
                                        ; implicit-def: $vgpr14
	v_cmpx_lt_u32_e32 0x3c7fffff, v12
	s_xor_b32 s15, exec_lo, s15
; %bb.133:                              ;   in Loop: Header=BB54_63 Depth=1
	v_bfe_u32 v12, v6, 20, 1
	s_delay_alu instid0(VALU_DEP_1) | instskip(NEXT) | instid1(VALU_DEP_1)
	v_add3_u32 v12, v6, v12, 0x407ffff
	v_lshrrev_b32_e32 v14, 20, v12
; %bb.134:                              ;   in Loop: Header=BB54_63 Depth=1
	s_and_not1_saveexec_b32 s15, s15
; %bb.135:                              ;   in Loop: Header=BB54_63 Depth=1
	v_add_f32_e64 v14, 0x46800000, |v6|
; %bb.136:                              ;   in Loop: Header=BB54_63 Depth=1
	s_or_b32 exec_lo, exec_lo, s15
.LBB54_137:                             ;   in Loop: Header=BB54_63 Depth=1
	s_delay_alu instid0(SALU_CYCLE_1)
	s_or_b32 exec_lo, exec_lo, s14
	v_lshrrev_b32_e32 v12, 24, v16
	v_lshrrev_b32_e32 v5, 24, v5
	;; [unrolled: 1-line block ×3, first 2 shown]
	v_lshlrev_b32_e32 v13, 24, v14
	v_and_b32_e32 v6, 0x80000000, v6
	v_and_b32_e32 v12, 0x80, v12
	;; [unrolled: 1-line block ×4, first 2 shown]
	v_lshlrev_b64 v[3:4], 2, v[3:4]
	v_add_nc_u32_e32 v0, s2, v0
	v_and_or_b32 v12, 0xff, v15, v12
	v_and_or_b32 v5, 0xff, v9, v5
	;; [unrolled: 1-line block ×3, first 2 shown]
	s_mov_b32 s15, -1
	v_add_co_u32 v3, vcc_lo, s0, v3
	v_lshlrev_b32_e32 v9, 16, v12
	v_lshlrev_b32_e32 v5, 8, v5
	v_add_co_ci_u32_e32 v4, vcc_lo, s1, v4, vcc_lo
	s_mov_b32 s14, exec_lo
	s_delay_alu instid0(VALU_DEP_3) | instskip(NEXT) | instid1(VALU_DEP_1)
	v_or3_b32 v6, v6, v13, v9
	v_or3_b32 v5, v6, v5, v10
	global_store_b32 v[3:4], v5, off
	v_cmpx_gt_u32_e64 s8, v0
	s_cbranch_execz .LBB54_60
; %bb.138:                              ;   in Loop: Header=BB54_63 Depth=1
	v_lshlrev_b64 v[3:4], 3, v[0:1]
	v_bfe_u32 v13, v0, 4, 26
	s_mov_b32 s15, exec_lo
	s_delay_alu instid0(VALU_DEP_1) | instskip(NEXT) | instid1(VALU_DEP_3)
	v_mad_u64_u32 v[5:6], null, v7, v13, 0
	v_add_co_u32 v9, vcc_lo, s28, v3
	s_delay_alu instid0(VALU_DEP_4)
	v_add_co_ci_u32_e32 v10, vcc_lo, s29, v4, vcc_lo
	v_add_co_u32 v15, vcc_lo, s30, v3
	v_add_co_ci_u32_e32 v16, vcc_lo, s31, v4, vcc_lo
	v_mad_u64_u32 v[11:12], null, v8, v13, v[6:7]
	global_load_b64 v[12:13], v[9:10], off
	global_load_b64 v[17:18], v[15:16], off
	v_add_co_u32 v3, vcc_lo, s10, v3
	v_add_co_ci_u32_e32 v4, vcc_lo, s11, v4, vcc_lo
	v_mov_b32_e32 v6, v11
	global_load_b64 v[3:4], v[3:4], off
	v_lshlrev_b64 v[5:6], 2, v[5:6]
	s_delay_alu instid0(VALU_DEP_1) | instskip(NEXT) | instid1(VALU_DEP_2)
	v_add_co_u32 v5, vcc_lo, s4, v5
	v_add_co_ci_u32_e32 v6, vcc_lo, s5, v6, vcc_lo
	global_load_b32 v10, v[5:6], off
	s_waitcnt vmcnt(3)
	v_cvt_f32_f16_e32 v5, v12
	s_waitcnt vmcnt(2)
	v_cvt_f32_f16_e32 v6, v17
	v_lshrrev_b32_e32 v12, 16, v12
	v_lshrrev_b32_e32 v17, 16, v17
	s_delay_alu instid0(VALU_DEP_3) | instskip(NEXT) | instid1(VALU_DEP_2)
	v_add_f32_e32 v5, v5, v6
	v_cvt_f32_f16_e32 v17, v17
	s_delay_alu instid0(VALU_DEP_2) | instskip(SKIP_1) | instid1(VALU_DEP_1)
	v_fma_mixlo_f16 v6, v28, v5, 0
	s_waitcnt vmcnt(1)
	v_mul_f16_e32 v6, v3, v6
	s_delay_alu instid0(VALU_DEP_1) | instskip(SKIP_1) | instid1(VALU_DEP_1)
	v_cvt_f32_f16_e32 v6, v6
	s_waitcnt vmcnt(0)
	v_div_scale_f32 v9, null, v10, v10, v6
	v_div_scale_f32 v19, vcc_lo, v6, v10, v6
	s_delay_alu instid0(VALU_DEP_2) | instskip(SKIP_2) | instid1(VALU_DEP_1)
	v_rcp_f32_e32 v11, v9
	s_waitcnt_depctr 0xfff
	v_fma_f32 v14, -v9, v11, 1.0
	v_fmac_f32_e32 v11, v14, v11
	s_delay_alu instid0(VALU_DEP_1) | instskip(NEXT) | instid1(VALU_DEP_1)
	v_mul_f32_e32 v14, v19, v11
	v_fma_f32 v20, -v9, v14, v19
	s_delay_alu instid0(VALU_DEP_1) | instskip(SKIP_2) | instid1(VALU_DEP_3)
	v_fmac_f32_e32 v14, v20, v11
	v_lshrrev_b32_e32 v20, 16, v13
	v_cvt_f32_f16_e32 v13, v13
	v_fma_f32 v9, -v9, v14, v19
	v_lshrrev_b32_e32 v19, 16, v18
	v_cvt_f32_f16_e32 v18, v18
	s_delay_alu instid0(VALU_DEP_3)
	v_div_fmas_f32 v9, v9, v11, v14
	v_cvt_f32_f16_e32 v14, v12
	v_cvt_f32_f16_e32 v11, v20
	;; [unrolled: 1-line block ×3, first 2 shown]
	v_add_f32_e32 v12, v13, v18
	v_div_fixup_f32 v6, v9, v10, v6
	v_cvt_f16_f32_e32 v9, v5
	v_mov_b32_e32 v5, 0x7f
	v_add_f32_e32 v11, v11, v19
	s_delay_alu instid0(VALU_DEP_4) | instskip(SKIP_2) | instid1(VALU_DEP_4)
	v_minmax_f32 v6, v6, s7, 0xc3e00000
	v_add_f32_e32 v13, v14, v17
	v_cvt_f16_f32_e32 v17, v12
	v_cvt_f16_f32_e32 v18, v11
	s_delay_alu instid0(VALU_DEP_4) | instskip(NEXT) | instid1(VALU_DEP_4)
	v_and_b32_e32 v14, 0x7fffffff, v6
	v_cvt_f16_f32_e32 v19, v13
	s_delay_alu instid0(VALU_DEP_3) | instskip(NEXT) | instid1(VALU_DEP_2)
	v_pack_b32_f16 v18, v17, v18
	v_pack_b32_f16 v17, v9, v19
	v_mov_b32_e32 v9, 0x7f
	global_store_b64 v[15:16], v[17:18], off
	v_cmpx_gt_u32_e32 0x43f00000, v14
	s_cbranch_execz .LBB54_144
; %bb.139:                              ;   in Loop: Header=BB54_63 Depth=1
	s_mov_b32 s16, exec_lo
                                        ; implicit-def: $vgpr9
	v_cmpx_lt_u32_e32 0x3c7fffff, v14
	s_xor_b32 s16, exec_lo, s16
; %bb.140:                              ;   in Loop: Header=BB54_63 Depth=1
	v_bfe_u32 v9, v6, 20, 1
	s_delay_alu instid0(VALU_DEP_1) | instskip(NEXT) | instid1(VALU_DEP_1)
	v_add3_u32 v9, v6, v9, 0x407ffff
	v_lshrrev_b32_e32 v9, 20, v9
; %bb.141:                              ;   in Loop: Header=BB54_63 Depth=1
	s_and_not1_saveexec_b32 s16, s16
; %bb.142:                              ;   in Loop: Header=BB54_63 Depth=1
	v_add_f32_e64 v9, 0x46800000, |v6|
; %bb.143:                              ;   in Loop: Header=BB54_63 Depth=1
	s_or_b32 exec_lo, exec_lo, s16
.LBB54_144:                             ;   in Loop: Header=BB54_63 Depth=1
	s_delay_alu instid0(SALU_CYCLE_1) | instskip(SKIP_3) | instid1(VALU_DEP_1)
	s_or_b32 exec_lo, exec_lo, s15
	v_lshrrev_b32_e32 v3, 16, v3
	v_fma_mixlo_f16 v13, v28, v13, 0
	s_mov_b32 s15, exec_lo
	v_mul_f16_e32 v3, v3, v13
	s_delay_alu instid0(VALU_DEP_1) | instskip(NEXT) | instid1(VALU_DEP_1)
	v_cvt_f32_f16_e32 v3, v3
	v_div_scale_f32 v13, null, v10, v10, v3
	s_delay_alu instid0(VALU_DEP_1) | instskip(SKIP_2) | instid1(VALU_DEP_1)
	v_rcp_f32_e32 v14, v13
	s_waitcnt_depctr 0xfff
	v_fma_f32 v15, -v13, v14, 1.0
	v_fmac_f32_e32 v14, v15, v14
	v_div_scale_f32 v15, vcc_lo, v3, v10, v3
	s_delay_alu instid0(VALU_DEP_1) | instskip(NEXT) | instid1(VALU_DEP_1)
	v_mul_f32_e32 v16, v15, v14
	v_fma_f32 v17, -v13, v16, v15
	s_delay_alu instid0(VALU_DEP_1) | instskip(NEXT) | instid1(VALU_DEP_1)
	v_fmac_f32_e32 v16, v17, v14
	v_fma_f32 v13, -v13, v16, v15
	s_delay_alu instid0(VALU_DEP_1) | instskip(NEXT) | instid1(VALU_DEP_1)
	v_div_fmas_f32 v13, v13, v14, v16
	v_div_fixup_f32 v3, v13, v10, v3
	s_delay_alu instid0(VALU_DEP_1) | instskip(NEXT) | instid1(VALU_DEP_1)
	v_minmax_f32 v3, v3, s7, 0xc3e00000
	v_and_b32_e32 v13, 0x7fffffff, v3
	s_delay_alu instid0(VALU_DEP_1)
	v_cmpx_gt_u32_e32 0x43f00000, v13
	s_cbranch_execz .LBB54_150
; %bb.145:                              ;   in Loop: Header=BB54_63 Depth=1
	s_mov_b32 s16, exec_lo
                                        ; implicit-def: $vgpr5
	v_cmpx_lt_u32_e32 0x3c7fffff, v13
	s_xor_b32 s16, exec_lo, s16
; %bb.146:                              ;   in Loop: Header=BB54_63 Depth=1
	v_bfe_u32 v5, v3, 20, 1
	s_delay_alu instid0(VALU_DEP_1) | instskip(NEXT) | instid1(VALU_DEP_1)
	v_add3_u32 v5, v3, v5, 0x407ffff
	v_lshrrev_b32_e32 v5, 20, v5
; %bb.147:                              ;   in Loop: Header=BB54_63 Depth=1
	s_and_not1_saveexec_b32 s16, s16
; %bb.148:                              ;   in Loop: Header=BB54_63 Depth=1
	v_add_f32_e64 v5, 0x46800000, |v3|
; %bb.149:                              ;   in Loop: Header=BB54_63 Depth=1
	s_or_b32 exec_lo, exec_lo, s16
.LBB54_150:                             ;   in Loop: Header=BB54_63 Depth=1
	s_delay_alu instid0(SALU_CYCLE_1) | instskip(SKIP_2) | instid1(VALU_DEP_1)
	s_or_b32 exec_lo, exec_lo, s15
	v_fma_mixlo_f16 v12, v28, v12, 0
	s_mov_b32 s15, exec_lo
	v_mul_f16_e32 v12, v4, v12
	s_delay_alu instid0(VALU_DEP_1) | instskip(NEXT) | instid1(VALU_DEP_1)
	v_cvt_f32_f16_e32 v12, v12
	v_div_scale_f32 v13, null, v10, v10, v12
	v_div_scale_f32 v16, vcc_lo, v12, v10, v12
	s_delay_alu instid0(VALU_DEP_2) | instskip(SKIP_2) | instid1(VALU_DEP_1)
	v_rcp_f32_e32 v14, v13
	s_waitcnt_depctr 0xfff
	v_fma_f32 v15, -v13, v14, 1.0
	v_fmac_f32_e32 v14, v15, v14
	s_delay_alu instid0(VALU_DEP_1) | instskip(NEXT) | instid1(VALU_DEP_1)
	v_mul_f32_e32 v15, v16, v14
	v_fma_f32 v17, -v13, v15, v16
	s_delay_alu instid0(VALU_DEP_1) | instskip(NEXT) | instid1(VALU_DEP_1)
	v_fmac_f32_e32 v15, v17, v14
	v_fma_f32 v13, -v13, v15, v16
	s_delay_alu instid0(VALU_DEP_1) | instskip(NEXT) | instid1(VALU_DEP_1)
	v_div_fmas_f32 v13, v13, v14, v15
	v_div_fixup_f32 v12, v13, v10, v12
	v_mov_b32_e32 v13, 0x7f
	s_delay_alu instid0(VALU_DEP_2) | instskip(SKIP_1) | instid1(VALU_DEP_2)
	v_minmax_f32 v14, v12, s7, 0xc3e00000
	v_mov_b32_e32 v12, 0x7f
	v_and_b32_e32 v15, 0x7fffffff, v14
	s_delay_alu instid0(VALU_DEP_1)
	v_cmpx_gt_u32_e32 0x43f00000, v15
	s_cbranch_execz .LBB54_156
; %bb.151:                              ;   in Loop: Header=BB54_63 Depth=1
	s_mov_b32 s16, exec_lo
                                        ; implicit-def: $vgpr13
	v_cmpx_lt_u32_e32 0x3c7fffff, v15
	s_xor_b32 s16, exec_lo, s16
; %bb.152:                              ;   in Loop: Header=BB54_63 Depth=1
	v_bfe_u32 v13, v14, 20, 1
	s_delay_alu instid0(VALU_DEP_1) | instskip(NEXT) | instid1(VALU_DEP_1)
	v_add3_u32 v13, v14, v13, 0x407ffff
	v_lshrrev_b32_e32 v13, 20, v13
; %bb.153:                              ;   in Loop: Header=BB54_63 Depth=1
	s_and_not1_saveexec_b32 s16, s16
; %bb.154:                              ;   in Loop: Header=BB54_63 Depth=1
	v_add_f32_e64 v13, 0x46800000, |v14|
; %bb.155:                              ;   in Loop: Header=BB54_63 Depth=1
	s_or_b32 exec_lo, exec_lo, s16
.LBB54_156:                             ;   in Loop: Header=BB54_63 Depth=1
	s_delay_alu instid0(SALU_CYCLE_1) | instskip(SKIP_3) | instid1(VALU_DEP_1)
	s_or_b32 exec_lo, exec_lo, s15
	v_lshrrev_b32_e32 v4, 16, v4
	v_fma_mixlo_f16 v11, v28, v11, 0
	s_mov_b32 s15, exec_lo
	v_mul_f16_e32 v4, v4, v11
	s_delay_alu instid0(VALU_DEP_1) | instskip(NEXT) | instid1(VALU_DEP_1)
	v_cvt_f32_f16_e32 v4, v4
	v_div_scale_f32 v11, null, v10, v10, v4
	s_delay_alu instid0(VALU_DEP_1) | instskip(SKIP_2) | instid1(VALU_DEP_1)
	v_rcp_f32_e32 v15, v11
	s_waitcnt_depctr 0xfff
	v_fma_f32 v16, -v11, v15, 1.0
	v_fmac_f32_e32 v15, v16, v15
	v_div_scale_f32 v16, vcc_lo, v4, v10, v4
	s_delay_alu instid0(VALU_DEP_1) | instskip(NEXT) | instid1(VALU_DEP_1)
	v_mul_f32_e32 v17, v16, v15
	v_fma_f32 v18, -v11, v17, v16
	s_delay_alu instid0(VALU_DEP_1) | instskip(NEXT) | instid1(VALU_DEP_1)
	v_fmac_f32_e32 v17, v18, v15
	v_fma_f32 v11, -v11, v17, v16
	s_delay_alu instid0(VALU_DEP_1) | instskip(NEXT) | instid1(VALU_DEP_1)
	v_div_fmas_f32 v11, v11, v15, v17
	v_div_fixup_f32 v4, v11, v10, v4
	s_delay_alu instid0(VALU_DEP_1) | instskip(NEXT) | instid1(VALU_DEP_1)
	v_minmax_f32 v4, v4, s7, 0xc3e00000
	v_and_b32_e32 v10, 0x7fffffff, v4
	s_delay_alu instid0(VALU_DEP_1)
	v_cmpx_gt_u32_e32 0x43f00000, v10
	s_cbranch_execz .LBB54_59
; %bb.157:                              ;   in Loop: Header=BB54_63 Depth=1
	s_mov_b32 s16, exec_lo
                                        ; implicit-def: $vgpr12
	v_cmpx_lt_u32_e32 0x3c7fffff, v10
	s_xor_b32 s16, exec_lo, s16
; %bb.158:                              ;   in Loop: Header=BB54_63 Depth=1
	v_bfe_u32 v10, v4, 20, 1
	s_delay_alu instid0(VALU_DEP_1) | instskip(NEXT) | instid1(VALU_DEP_1)
	v_add3_u32 v10, v4, v10, 0x407ffff
	v_lshrrev_b32_e32 v12, 20, v10
; %bb.159:                              ;   in Loop: Header=BB54_63 Depth=1
	s_and_not1_saveexec_b32 s16, s16
	s_cbranch_execz .LBB54_58
; %bb.160:                              ;   in Loop: Header=BB54_63 Depth=1
	v_add_f32_e64 v12, 0x46800000, |v4|
	s_branch .LBB54_58
.LBB54_161:
	s_nop 0
	s_sendmsg sendmsg(MSG_DEALLOC_VGPRS)
	s_endpgm
.LBB54_162:
                                        ; implicit-def: $vgpr3_vgpr4
	s_branch .LBB54_51
.LBB54_163:
                                        ; implicit-def: $vgpr1_vgpr2
	s_branch .LBB54_56
	.section	.rodata,"a",@progbits
	.p2align	6, 0x0
	.amdhsa_kernel _ZN4vllm31rms_norm_per_block_quant_kernelIN3c104HalfENS1_13Float8_e4m3fnELb1ELb1ELi64EEEvPT0_PfPKT_S9_PKffiiPS7_l
		.amdhsa_group_segment_fixed_size 4228
		.amdhsa_private_segment_fixed_size 0
		.amdhsa_kernarg_size 328
		.amdhsa_user_sgpr_count 15
		.amdhsa_user_sgpr_dispatch_ptr 0
		.amdhsa_user_sgpr_queue_ptr 0
		.amdhsa_user_sgpr_kernarg_segment_ptr 1
		.amdhsa_user_sgpr_dispatch_id 0
		.amdhsa_user_sgpr_private_segment_size 0
		.amdhsa_wavefront_size32 1
		.amdhsa_uses_dynamic_stack 0
		.amdhsa_enable_private_segment 0
		.amdhsa_system_sgpr_workgroup_id_x 1
		.amdhsa_system_sgpr_workgroup_id_y 0
		.amdhsa_system_sgpr_workgroup_id_z 0
		.amdhsa_system_sgpr_workgroup_info 0
		.amdhsa_system_vgpr_workitem_id 0
		.amdhsa_next_free_vgpr 35
		.amdhsa_next_free_sgpr 42
		.amdhsa_reserve_vcc 1
		.amdhsa_float_round_mode_32 0
		.amdhsa_float_round_mode_16_64 0
		.amdhsa_float_denorm_mode_32 3
		.amdhsa_float_denorm_mode_16_64 3
		.amdhsa_dx10_clamp 1
		.amdhsa_ieee_mode 1
		.amdhsa_fp16_overflow 0
		.amdhsa_workgroup_processor_mode 1
		.amdhsa_memory_ordered 1
		.amdhsa_forward_progress 0
		.amdhsa_shared_vgpr_count 0
		.amdhsa_exception_fp_ieee_invalid_op 0
		.amdhsa_exception_fp_denorm_src 0
		.amdhsa_exception_fp_ieee_div_zero 0
		.amdhsa_exception_fp_ieee_overflow 0
		.amdhsa_exception_fp_ieee_underflow 0
		.amdhsa_exception_fp_ieee_inexact 0
		.amdhsa_exception_int_div_zero 0
	.end_amdhsa_kernel
	.section	.text._ZN4vllm31rms_norm_per_block_quant_kernelIN3c104HalfENS1_13Float8_e4m3fnELb1ELb1ELi64EEEvPT0_PfPKT_S9_PKffiiPS7_l,"axG",@progbits,_ZN4vllm31rms_norm_per_block_quant_kernelIN3c104HalfENS1_13Float8_e4m3fnELb1ELb1ELi64EEEvPT0_PfPKT_S9_PKffiiPS7_l,comdat
.Lfunc_end54:
	.size	_ZN4vllm31rms_norm_per_block_quant_kernelIN3c104HalfENS1_13Float8_e4m3fnELb1ELb1ELi64EEEvPT0_PfPKT_S9_PKffiiPS7_l, .Lfunc_end54-_ZN4vllm31rms_norm_per_block_quant_kernelIN3c104HalfENS1_13Float8_e4m3fnELb1ELb1ELi64EEEvPT0_PfPKT_S9_PKffiiPS7_l
                                        ; -- End function
	.section	.AMDGPU.csdata,"",@progbits
; Kernel info:
; codeLenInByte = 12400
; NumSgprs: 44
; NumVgprs: 35
; ScratchSize: 0
; MemoryBound: 0
; FloatMode: 240
; IeeeMode: 1
; LDSByteSize: 4228 bytes/workgroup (compile time only)
; SGPRBlocks: 5
; VGPRBlocks: 4
; NumSGPRsForWavesPerEU: 44
; NumVGPRsForWavesPerEU: 35
; Occupancy: 16
; WaveLimiterHint : 0
; COMPUTE_PGM_RSRC2:SCRATCH_EN: 0
; COMPUTE_PGM_RSRC2:USER_SGPR: 15
; COMPUTE_PGM_RSRC2:TRAP_HANDLER: 0
; COMPUTE_PGM_RSRC2:TGID_X_EN: 1
; COMPUTE_PGM_RSRC2:TGID_Y_EN: 0
; COMPUTE_PGM_RSRC2:TGID_Z_EN: 0
; COMPUTE_PGM_RSRC2:TIDIG_COMP_CNT: 0
	.section	.text._ZN4vllm31rms_norm_per_block_quant_kernelIN3c104HalfENS1_15Float8_e4m3fnuzELb1ELb1ELi64EEEvPT0_PfPKT_S9_PKffiiPS7_l,"axG",@progbits,_ZN4vllm31rms_norm_per_block_quant_kernelIN3c104HalfENS1_15Float8_e4m3fnuzELb1ELb1ELi64EEEvPT0_PfPKT_S9_PKffiiPS7_l,comdat
	.protected	_ZN4vllm31rms_norm_per_block_quant_kernelIN3c104HalfENS1_15Float8_e4m3fnuzELb1ELb1ELi64EEEvPT0_PfPKT_S9_PKffiiPS7_l ; -- Begin function _ZN4vllm31rms_norm_per_block_quant_kernelIN3c104HalfENS1_15Float8_e4m3fnuzELb1ELb1ELi64EEEvPT0_PfPKT_S9_PKffiiPS7_l
	.globl	_ZN4vllm31rms_norm_per_block_quant_kernelIN3c104HalfENS1_15Float8_e4m3fnuzELb1ELb1ELi64EEEvPT0_PfPKT_S9_PKffiiPS7_l
	.p2align	8
	.type	_ZN4vllm31rms_norm_per_block_quant_kernelIN3c104HalfENS1_15Float8_e4m3fnuzELb1ELb1ELi64EEEvPT0_PfPKT_S9_PKffiiPS7_l,@function
_ZN4vllm31rms_norm_per_block_quant_kernelIN3c104HalfENS1_15Float8_e4m3fnuzELb1ELb1ELi64EEEvPT0_PfPKT_S9_PKffiiPS7_l: ; @_ZN4vllm31rms_norm_per_block_quant_kernelIN3c104HalfENS1_15Float8_e4m3fnuzELb1ELb1ELi64EEEvPT0_PfPKT_S9_PKffiiPS7_l
; %bb.0:
	s_mov_b32 s16, s15
	s_clause 0x3
	s_load_b128 s[12:15], s[0:1], 0x28
	s_load_b256 s[4:11], s[0:1], 0x0
	s_load_b64 s[2:3], s[0:1], 0x38
	s_load_b32 s34, s[0:1], 0x48
	v_mov_b32_e32 v6, 0
	s_waitcnt lgkmcnt(0)
	s_ashr_i32 s15, s14, 31
	s_mul_hi_u32 s17, s14, s16
	s_mul_i32 s15, s15, s16
	s_ashr_i32 s19, s13, 31
	s_mul_i32 s20, s14, s16
	s_add_i32 s21, s17, s15
	s_mul_hi_u32 s18, s13, s16
	s_mul_i32 s15, s19, s16
	s_lshl_b64 s[20:21], s[20:21], 1
	s_mul_i32 s14, s13, s16
	s_add_i32 s15, s18, s15
	s_add_u32 s28, s8, s20
	s_addc_u32 s29, s9, s21
	s_lshl_b64 s[8:9], s[14:15], 1
	s_mov_b32 s17, 0
	s_add_u32 s30, s2, s8
	s_addc_u32 s31, s3, s9
	s_ashr_i32 s8, s13, 2
	s_add_u32 s20, s0, 0x48
	v_cmp_gt_u32_e64 s2, s8, v0
	s_mov_b32 s18, s13
	s_addc_u32 s21, s1, 0
	s_delay_alu instid0(VALU_DEP_1)
	s_and_saveexec_b32 s3, s2
	s_cbranch_execz .LBB55_10
; %bb.1:
	s_cmp_lt_u32 s16, s34
	v_mov_b32_e32 v2, 0
	s_cselect_b32 s9, 12, 18
                                        ; implicit-def: $sgpr13
	v_mov_b32_e32 v1, v0
	s_add_u32 s22, s20, s9
	s_addc_u32 s23, s21, 0
	s_mov_b32 s9, s17
	global_load_u16 v7, v2, s[22:23]
	s_waitcnt vmcnt(0)
	v_lshlrev_b32_e32 v9, 1, v7
	v_mul_lo_u32 v8, v7, 3
	v_add_nc_u32_e32 v10, v7, v7
	v_mov_b32_e32 v6, v2
	s_branch .LBB55_5
.LBB55_2:                               ;   in Loop: Header=BB55_5 Depth=1
	s_or_b32 exec_lo, exec_lo, s24
	s_delay_alu instid0(SALU_CYCLE_1)
	s_or_not1_b32 s24, s25, exec_lo
.LBB55_3:                               ;   in Loop: Header=BB55_5 Depth=1
	s_or_b32 exec_lo, exec_lo, s23
	s_delay_alu instid0(SALU_CYCLE_1) | instskip(SKIP_1) | instid1(SALU_CYCLE_1)
	s_and_not1_b32 s13, s13, exec_lo
	s_and_b32 s23, s24, exec_lo
	s_or_b32 s13, s13, s23
.LBB55_4:                               ;   in Loop: Header=BB55_5 Depth=1
	s_or_b32 exec_lo, exec_lo, s22
	s_delay_alu instid0(SALU_CYCLE_1) | instskip(NEXT) | instid1(SALU_CYCLE_1)
	s_and_b32 s22, exec_lo, s13
	s_or_b32 s9, s22, s9
	s_delay_alu instid0(SALU_CYCLE_1)
	s_and_not1_b32 exec_lo, exec_lo, s9
	s_cbranch_execz .LBB55_9
.LBB55_5:                               ; =>This Inner Loop Header: Depth=1
	v_lshlrev_b64 v[3:4], 3, v[1:2]
	s_or_b32 s13, s13, exec_lo
	s_mov_b32 s22, exec_lo
	s_delay_alu instid0(VALU_DEP_1) | instskip(NEXT) | instid1(VALU_DEP_2)
	v_add_co_u32 v11, vcc_lo, s28, v3
	v_add_co_ci_u32_e32 v12, vcc_lo, s29, v4, vcc_lo
	v_add_co_u32 v3, vcc_lo, s30, v3
	v_add_co_ci_u32_e32 v4, vcc_lo, s31, v4, vcc_lo
	global_load_b64 v[11:12], v[11:12], off
	global_load_b64 v[3:4], v[3:4], off
	s_waitcnt vmcnt(1)
	v_lshrrev_b32_e32 v5, 16, v11
	s_waitcnt vmcnt(0)
	v_lshrrev_b32_e32 v13, 16, v3
	v_cvt_f32_f16_e32 v11, v11
	v_cvt_f32_f16_e32 v3, v3
	v_lshrrev_b32_e32 v14, 16, v12
	v_cvt_f32_f16_e32 v5, v5
	v_cvt_f32_f16_e32 v13, v13
	s_delay_alu instid0(VALU_DEP_1) | instskip(SKIP_4) | instid1(VALU_DEP_4)
	v_add_f32_e32 v5, v5, v13
	v_add_f32_e32 v3, v11, v3
	v_cvt_f32_f16_e32 v11, v12
	v_lshrrev_b32_e32 v12, 16, v4
	v_cvt_f32_f16_e32 v4, v4
	v_fmac_f32_e32 v6, v3, v3
	v_cvt_f32_f16_e32 v3, v14
	s_delay_alu instid0(VALU_DEP_3) | instskip(SKIP_1) | instid1(VALU_DEP_1)
	v_add_f32_e32 v4, v11, v4
	v_cvt_f32_f16_e32 v11, v12
	v_dual_fmac_f32 v6, v5, v5 :: v_dual_add_f32 v5, v3, v11
	s_delay_alu instid0(VALU_DEP_1) | instskip(NEXT) | instid1(VALU_DEP_1)
	v_dual_fmac_f32 v6, v4, v4 :: v_dual_add_nc_u32 v3, v1, v7
	v_fmac_f32_e32 v6, v5, v5
	s_delay_alu instid0(VALU_DEP_2)
	v_cmpx_gt_u32_e64 s8, v3
	s_cbranch_execz .LBB55_4
; %bb.6:                                ;   in Loop: Header=BB55_5 Depth=1
	v_mov_b32_e32 v4, v2
	s_mov_b32 s24, -1
	s_mov_b32 s23, exec_lo
	s_delay_alu instid0(VALU_DEP_1) | instskip(NEXT) | instid1(VALU_DEP_1)
	v_lshlrev_b64 v[4:5], 3, v[3:4]
	v_add_co_u32 v11, vcc_lo, s28, v4
	s_delay_alu instid0(VALU_DEP_2)
	v_add_co_ci_u32_e32 v12, vcc_lo, s29, v5, vcc_lo
	v_add_co_u32 v4, vcc_lo, s30, v4
	v_add_co_ci_u32_e32 v5, vcc_lo, s31, v5, vcc_lo
	global_load_b64 v[11:12], v[11:12], off
	global_load_b64 v[4:5], v[4:5], off
	s_waitcnt vmcnt(1)
	v_lshrrev_b32_e32 v13, 16, v11
	v_cvt_f32_f16_e32 v11, v11
	s_waitcnt vmcnt(0)
	v_lshrrev_b32_e32 v14, 16, v4
	v_cvt_f32_f16_e32 v4, v4
	v_lshrrev_b32_e32 v15, 16, v12
	v_cvt_f32_f16_e32 v13, v13
	s_delay_alu instid0(VALU_DEP_4) | instskip(NEXT) | instid1(VALU_DEP_4)
	v_cvt_f32_f16_e32 v14, v14
	v_add_f32_e32 v4, v11, v4
	v_cvt_f32_f16_e32 v11, v12
	v_lshrrev_b32_e32 v12, 16, v5
	v_cvt_f32_f16_e32 v5, v5
	s_delay_alu instid0(VALU_DEP_4) | instskip(SKIP_1) | instid1(VALU_DEP_3)
	v_dual_add_f32 v13, v13, v14 :: v_dual_fmac_f32 v6, v4, v4
	v_cvt_f32_f16_e32 v4, v15
	v_add_f32_e32 v5, v11, v5
	v_cvt_f32_f16_e32 v11, v12
	s_delay_alu instid0(VALU_DEP_1) | instskip(NEXT) | instid1(VALU_DEP_1)
	v_dual_fmac_f32 v6, v13, v13 :: v_dual_add_f32 v11, v4, v11
	v_fmac_f32_e32 v6, v5, v5
	v_add_nc_u32_e32 v4, v9, v1
	s_delay_alu instid0(VALU_DEP_2) | instskip(NEXT) | instid1(VALU_DEP_2)
	v_fmac_f32_e32 v6, v11, v11
	v_cmpx_gt_u32_e64 s8, v4
	s_cbranch_execz .LBB55_3
; %bb.7:                                ;   in Loop: Header=BB55_5 Depth=1
	v_mov_b32_e32 v5, v2
	v_add_nc_u32_e32 v1, v8, v1
	s_mov_b32 s25, -1
	s_mov_b32 s24, exec_lo
	s_delay_alu instid0(VALU_DEP_2) | instskip(NEXT) | instid1(VALU_DEP_1)
	v_lshlrev_b64 v[4:5], 3, v[4:5]
	v_add_co_u32 v11, vcc_lo, s28, v4
	s_delay_alu instid0(VALU_DEP_2)
	v_add_co_ci_u32_e32 v12, vcc_lo, s29, v5, vcc_lo
	v_add_co_u32 v4, vcc_lo, s30, v4
	v_add_co_ci_u32_e32 v5, vcc_lo, s31, v5, vcc_lo
	global_load_b64 v[11:12], v[11:12], off
	global_load_b64 v[4:5], v[4:5], off
	s_waitcnt vmcnt(1)
	v_lshrrev_b32_e32 v13, 16, v11
	v_cvt_f32_f16_e32 v11, v11
	s_waitcnt vmcnt(0)
	v_lshrrev_b32_e32 v14, 16, v4
	v_cvt_f32_f16_e32 v4, v4
	v_lshrrev_b32_e32 v15, 16, v12
	v_cvt_f32_f16_e32 v13, v13
	s_delay_alu instid0(VALU_DEP_4) | instskip(NEXT) | instid1(VALU_DEP_4)
	v_cvt_f32_f16_e32 v14, v14
	v_add_f32_e32 v4, v11, v4
	v_cvt_f32_f16_e32 v11, v12
	v_lshrrev_b32_e32 v12, 16, v5
	v_cvt_f32_f16_e32 v5, v5
	s_delay_alu instid0(VALU_DEP_4) | instskip(SKIP_1) | instid1(VALU_DEP_3)
	v_dual_add_f32 v13, v13, v14 :: v_dual_fmac_f32 v6, v4, v4
	v_cvt_f32_f16_e32 v4, v15
	v_add_f32_e32 v5, v11, v5
	v_cvt_f32_f16_e32 v11, v12
	s_delay_alu instid0(VALU_DEP_4) | instskip(NEXT) | instid1(VALU_DEP_2)
	v_fmac_f32_e32 v6, v13, v13
	v_add_f32_e32 v4, v4, v11
	s_delay_alu instid0(VALU_DEP_2) | instskip(NEXT) | instid1(VALU_DEP_1)
	v_fmac_f32_e32 v6, v5, v5
	v_fmac_f32_e32 v6, v4, v4
	v_cmpx_gt_u32_e64 s8, v1
	s_xor_b32 s24, exec_lo, s24
	s_cbranch_execz .LBB55_2
; %bb.8:                                ;   in Loop: Header=BB55_5 Depth=1
	v_lshlrev_b64 v[4:5], 3, v[1:2]
	s_delay_alu instid0(VALU_DEP_1) | instskip(NEXT) | instid1(VALU_DEP_2)
	v_add_co_u32 v11, vcc_lo, s28, v4
	v_add_co_ci_u32_e32 v12, vcc_lo, s29, v5, vcc_lo
	v_add_co_u32 v4, vcc_lo, s30, v4
	v_add_co_ci_u32_e32 v5, vcc_lo, s31, v5, vcc_lo
	global_load_b64 v[11:12], v[11:12], off
	global_load_b64 v[4:5], v[4:5], off
	s_waitcnt vmcnt(1)
	v_lshrrev_b32_e32 v1, 16, v11
	v_cvt_f32_f16_e32 v11, v11
	s_waitcnt vmcnt(0)
	v_lshrrev_b32_e32 v13, 16, v4
	v_cvt_f32_f16_e32 v4, v4
	v_lshrrev_b32_e32 v14, 16, v12
	v_cvt_f32_f16_e32 v1, v1
	s_delay_alu instid0(VALU_DEP_4) | instskip(NEXT) | instid1(VALU_DEP_4)
	v_cvt_f32_f16_e32 v13, v13
	v_add_f32_e32 v4, v11, v4
	v_cvt_f32_f16_e32 v11, v12
	v_lshrrev_b32_e32 v12, 16, v5
	v_cvt_f32_f16_e32 v5, v5
	s_delay_alu instid0(VALU_DEP_4) | instskip(SKIP_1) | instid1(VALU_DEP_3)
	v_dual_add_f32 v1, v1, v13 :: v_dual_fmac_f32 v6, v4, v4
	v_cvt_f32_f16_e32 v4, v14
	v_add_f32_e32 v5, v11, v5
	v_cvt_f32_f16_e32 v11, v12
	s_delay_alu instid0(VALU_DEP_4) | instskip(SKIP_1) | instid1(VALU_DEP_2)
	v_fmac_f32_e32 v6, v1, v1
	v_add3_u32 v1, v10, v7, v3
	v_dual_add_f32 v3, v4, v11 :: v_dual_fmac_f32 v6, v5, v5
	s_delay_alu instid0(VALU_DEP_2) | instskip(NEXT) | instid1(VALU_DEP_2)
	v_cmp_le_u32_e32 vcc_lo, s8, v1
	v_fmac_f32_e32 v6, v3, v3
	s_or_not1_b32 s25, vcc_lo, exec_lo
	s_branch .LBB55_2
.LBB55_9:
	s_or_b32 exec_lo, exec_lo, s9
.LBB55_10:
	s_delay_alu instid0(SALU_CYCLE_1) | instskip(SKIP_4) | instid1(VALU_DEP_2)
	s_or_b32 exec_lo, exec_lo, s3
	v_mbcnt_lo_u32_b32 v1, -1, 0
	s_load_b32 s3, s[20:21], 0xc
	v_and_b32_e32 v7, 0x3e0, v0
	s_mov_b32 s9, exec_lo
	v_cmp_ne_u32_e32 vcc_lo, 31, v1
	v_add_nc_u32_e32 v3, 1, v1
	v_add_co_ci_u32_e32 v2, vcc_lo, 0, v1, vcc_lo
	v_cmp_gt_u32_e32 vcc_lo, 30, v1
	s_delay_alu instid0(VALU_DEP_2)
	v_lshlrev_b32_e32 v2, 2, v2
	v_cndmask_b32_e64 v5, 0, 1, vcc_lo
	ds_bpermute_b32 v4, v2, v6
	s_waitcnt lgkmcnt(0)
	s_and_b32 s3, s3, 0xffff
	v_lshlrev_b32_e32 v5, 1, v5
	v_sub_nc_u32_e64 v12, s3, v7 clamp
	s_delay_alu instid0(VALU_DEP_1) | instskip(SKIP_1) | instid1(VALU_DEP_4)
	v_cmp_lt_u32_e32 vcc_lo, v3, v12
	v_add_f32_e32 v7, v6, v4
	v_add_lshl_u32 v4, v5, v1, 2
	s_delay_alu instid0(VALU_DEP_2) | instskip(SKIP_2) | instid1(VALU_DEP_1)
	v_cndmask_b32_e32 v7, v6, v7, vcc_lo
	v_cmp_gt_u32_e32 vcc_lo, 28, v1
	v_cndmask_b32_e64 v5, 0, 1, vcc_lo
	v_lshlrev_b32_e32 v8, 2, v5
	ds_bpermute_b32 v6, v4, v7
	v_add_nc_u32_e32 v5, 2, v1
	s_delay_alu instid0(VALU_DEP_1) | instskip(SKIP_3) | instid1(VALU_DEP_2)
	v_cmp_lt_u32_e32 vcc_lo, v5, v12
	s_waitcnt lgkmcnt(0)
	v_add_f32_e32 v9, v7, v6
	v_add_lshl_u32 v6, v8, v1, 2
	v_cndmask_b32_e32 v9, v7, v9, vcc_lo
	v_cmp_gt_u32_e32 vcc_lo, 24, v1
	ds_bpermute_b32 v8, v6, v9
	v_cndmask_b32_e64 v7, 0, 1, vcc_lo
	s_delay_alu instid0(VALU_DEP_1) | instskip(SKIP_1) | instid1(VALU_DEP_1)
	v_lshlrev_b32_e32 v10, 3, v7
	v_add_nc_u32_e32 v7, 4, v1
	v_cmp_lt_u32_e32 vcc_lo, v7, v12
	s_waitcnt lgkmcnt(0)
	v_add_f32_e32 v11, v9, v8
	v_add_lshl_u32 v8, v10, v1, 2
	s_delay_alu instid0(VALU_DEP_2) | instskip(SKIP_3) | instid1(VALU_DEP_1)
	v_cndmask_b32_e32 v11, v9, v11, vcc_lo
	v_cmp_gt_u32_e32 vcc_lo, 16, v1
	ds_bpermute_b32 v10, v8, v11
	v_cndmask_b32_e64 v9, 0, 1, vcc_lo
	v_lshlrev_b32_e32 v13, 4, v9
	v_add_nc_u32_e32 v9, 8, v1
	s_delay_alu instid0(VALU_DEP_1) | instskip(SKIP_3) | instid1(VALU_DEP_2)
	v_cmp_lt_u32_e32 vcc_lo, v9, v12
	s_waitcnt lgkmcnt(0)
	v_add_f32_e32 v14, v11, v10
	v_add_lshl_u32 v10, v13, v1, 2
	v_cndmask_b32_e32 v13, v11, v14, vcc_lo
	v_add_nc_u32_e32 v11, 16, v1
	ds_bpermute_b32 v14, v10, v13
	v_cmp_lt_u32_e32 vcc_lo, v11, v12
	s_waitcnt lgkmcnt(0)
	v_add_f32_e32 v14, v13, v14
	s_delay_alu instid0(VALU_DEP_1)
	v_cndmask_b32_e32 v12, v13, v14, vcc_lo
	v_cmpx_eq_u32_e32 0, v1
	s_cbranch_execz .LBB55_12
; %bb.11:
	v_lshrrev_b32_e32 v13, 3, v0
	s_delay_alu instid0(VALU_DEP_1)
	v_and_b32_e32 v13, 0x7c, v13
	ds_store_b32 v13, v12 offset:4096
.LBB55_12:
	s_or_b32 exec_lo, exec_lo, s9
	s_delay_alu instid0(SALU_CYCLE_1)
	s_mov_b32 s9, exec_lo
	s_waitcnt lgkmcnt(0)
	s_barrier
	buffer_gl0_inv
	v_cmpx_gt_u32_e32 32, v0
	s_cbranch_execz .LBB55_14
; %bb.13:
	v_lshlrev_b32_e32 v1, 2, v1
	s_add_i32 s3, s3, 31
	s_delay_alu instid0(SALU_CYCLE_1) | instskip(NEXT) | instid1(SALU_CYCLE_1)
	s_lshr_b32 s3, s3, 5
	v_cmp_gt_u32_e32 vcc_lo, s3, v3
	ds_load_b32 v1, v1 offset:4096
	s_waitcnt lgkmcnt(0)
	ds_bpermute_b32 v2, v2, v1
	s_waitcnt lgkmcnt(0)
	v_add_f32_e32 v2, v1, v2
	s_delay_alu instid0(VALU_DEP_1) | instskip(SKIP_4) | instid1(VALU_DEP_1)
	v_cndmask_b32_e32 v1, v1, v2, vcc_lo
	v_cmp_gt_u32_e32 vcc_lo, s3, v5
	ds_bpermute_b32 v2, v4, v1
	s_waitcnt lgkmcnt(0)
	v_add_f32_e32 v2, v1, v2
	v_cndmask_b32_e32 v1, v1, v2, vcc_lo
	v_cmp_gt_u32_e32 vcc_lo, s3, v7
	ds_bpermute_b32 v2, v6, v1
	s_waitcnt lgkmcnt(0)
	v_add_f32_e32 v2, v1, v2
	s_delay_alu instid0(VALU_DEP_1) | instskip(SKIP_4) | instid1(VALU_DEP_1)
	v_cndmask_b32_e32 v1, v1, v2, vcc_lo
	v_cmp_gt_u32_e32 vcc_lo, s3, v9
	ds_bpermute_b32 v2, v8, v1
	s_waitcnt lgkmcnt(0)
	v_add_f32_e32 v2, v1, v2
	v_cndmask_b32_e32 v1, v1, v2, vcc_lo
	v_cmp_gt_u32_e32 vcc_lo, s3, v11
	ds_bpermute_b32 v2, v10, v1
	s_waitcnt lgkmcnt(0)
	v_add_f32_e32 v2, v1, v2
	s_delay_alu instid0(VALU_DEP_1)
	v_cndmask_b32_e32 v12, v1, v2, vcc_lo
.LBB55_14:
	s_or_b32 exec_lo, exec_lo, s9
	s_delay_alu instid0(SALU_CYCLE_1)
	s_mov_b32 s3, exec_lo
	v_cmpx_eq_u32_e32 0, v0
	s_cbranch_execz .LBB55_16
; %bb.15:
	v_cvt_f32_i32_e32 v1, s18
	s_delay_alu instid0(VALU_DEP_1) | instskip(SKIP_1) | instid1(VALU_DEP_2)
	v_div_scale_f32 v2, null, v1, v1, v12
	v_div_scale_f32 v5, vcc_lo, v12, v1, v12
	v_rcp_f32_e32 v3, v2
	s_waitcnt_depctr 0xfff
	v_fma_f32 v4, -v2, v3, 1.0
	s_delay_alu instid0(VALU_DEP_1) | instskip(NEXT) | instid1(VALU_DEP_1)
	v_fmac_f32_e32 v3, v4, v3
	v_mul_f32_e32 v4, v5, v3
	s_delay_alu instid0(VALU_DEP_1) | instskip(NEXT) | instid1(VALU_DEP_1)
	v_fma_f32 v6, -v2, v4, v5
	v_fmac_f32_e32 v4, v6, v3
	s_delay_alu instid0(VALU_DEP_1) | instskip(NEXT) | instid1(VALU_DEP_1)
	v_fma_f32 v2, -v2, v4, v5
	v_div_fmas_f32 v2, v2, v3, v4
	s_delay_alu instid0(VALU_DEP_1) | instskip(NEXT) | instid1(VALU_DEP_1)
	v_div_fixup_f32 v1, v2, v1, v12
	v_add_f32_e32 v1, s12, v1
	s_delay_alu instid0(VALU_DEP_1) | instskip(SKIP_1) | instid1(VALU_DEP_2)
	v_mul_f32_e32 v2, 0x4b800000, v1
	v_cmp_gt_f32_e32 vcc_lo, 0x800000, v1
	v_cndmask_b32_e32 v1, v1, v2, vcc_lo
	s_delay_alu instid0(VALU_DEP_1) | instskip(SKIP_2) | instid1(VALU_DEP_1)
	v_rsq_f32_e32 v1, v1
	s_waitcnt_depctr 0xfff
	v_mul_f32_e32 v2, 0x45800000, v1
	v_dual_cndmask_b32 v1, v1, v2 :: v_dual_mov_b32 v2, 0
	ds_store_b32 v2, v1 offset:4224
.LBB55_16:
	s_or_b32 exec_lo, exec_lo, s3
	s_ashr_i32 s3, s18, 31
	v_mov_b32_e32 v4, 0
	s_lshr_b32 s3, s3, 26
	s_waitcnt lgkmcnt(0)
	s_add_i32 s3, s18, s3
	s_barrier
	s_ashr_i32 s12, s3, 6
	s_cmp_lt_u32 s16, s34
	buffer_gl0_inv
	s_cselect_b32 s9, 12, 18
	ds_load_b32 v28, v4 offset:4224
	s_add_u32 s20, s20, s9
	s_addc_u32 s21, s21, 0
	s_abs_i32 s9, s12
	global_load_u16 v1, v4, s[20:21]
	v_cvt_f32_u32_e32 v2, s9
	s_sub_i32 s20, 0, s9
	s_ashr_i32 s3, s3, 31
	s_delay_alu instid0(VALU_DEP_1) | instskip(SKIP_2) | instid1(VALU_DEP_1)
	v_rcp_iflag_f32_e32 v2, v2
	s_waitcnt_depctr 0xfff
	v_mul_f32_e32 v2, 0x4f7ffffe, v2
	v_cvt_u32_f32_e32 v2, v2
	s_delay_alu instid0(VALU_DEP_1) | instskip(NEXT) | instid1(VALU_DEP_1)
	v_readfirstlane_b32 s13, v2
	s_mul_i32 s20, s20, s13
	s_delay_alu instid0(SALU_CYCLE_1) | instskip(NEXT) | instid1(SALU_CYCLE_1)
	s_mul_hi_u32 s20, s13, s20
	s_add_i32 s13, s13, s20
	s_waitcnt vmcnt(0)
	v_readfirstlane_b32 s33, v1
	s_delay_alu instid0(VALU_DEP_1) | instskip(NEXT) | instid1(SALU_CYCLE_1)
	s_mul_hi_u32 s13, s33, s13
	s_mul_i32 s20, s13, s9
	s_add_i32 s21, s13, 1
	s_sub_i32 s20, s33, s20
	s_delay_alu instid0(SALU_CYCLE_1)
	s_sub_i32 s22, s20, s9
	s_cmp_ge_u32 s20, s9
	s_cselect_b32 s13, s21, s13
	s_cselect_b32 s20, s22, s20
	s_add_i32 s21, s13, 1
	s_cmp_ge_u32 s20, s9
	s_cselect_b32 s9, s21, s13
	s_delay_alu instid0(SALU_CYCLE_1) | instskip(NEXT) | instid1(SALU_CYCLE_1)
	s_xor_b32 s9, s9, s3
	s_sub_i32 s20, s9, s3
	s_delay_alu instid0(SALU_CYCLE_1) | instskip(SKIP_3) | instid1(VALU_DEP_1)
	s_abs_i32 s3, s20
	s_ashr_i32 s21, s20, 31
	v_cvt_f32_u32_e32 v1, s3
	s_sub_i32 s9, 0, s3
	v_rcp_iflag_f32_e32 v1, v1
	s_waitcnt_depctr 0xfff
	v_mul_f32_e32 v1, 0x4f7ffffe, v1
	s_delay_alu instid0(VALU_DEP_1) | instskip(NEXT) | instid1(VALU_DEP_1)
	v_cvt_u32_f32_e32 v1, v1
	v_mul_lo_u32 v2, s9, v1
	s_ashr_i32 s9, s8, 31
	s_delay_alu instid0(VALU_DEP_1) | instskip(NEXT) | instid1(VALU_DEP_1)
	v_mul_hi_u32 v2, v1, v2
	v_add_nc_u32_e32 v1, v1, v2
	s_delay_alu instid0(VALU_DEP_1) | instskip(NEXT) | instid1(VALU_DEP_1)
	v_mul_hi_u32 v1, v0, v1
	v_mul_lo_u32 v2, v1, s3
	v_add_nc_u32_e32 v3, 1, v1
	s_delay_alu instid0(VALU_DEP_2) | instskip(NEXT) | instid1(VALU_DEP_1)
	v_sub_nc_u32_e32 v2, v0, v2
	v_subrev_nc_u32_e32 v5, s3, v2
	v_cmp_le_u32_e32 vcc_lo, s3, v2
	s_delay_alu instid0(VALU_DEP_2) | instskip(NEXT) | instid1(VALU_DEP_1)
	v_dual_cndmask_b32 v2, v2, v5 :: v_dual_cndmask_b32 v1, v1, v3
	v_cmp_le_u32_e32 vcc_lo, s3, v2
	s_delay_alu instid0(VALU_DEP_2) | instskip(NEXT) | instid1(VALU_DEP_1)
	v_add_nc_u32_e32 v3, 1, v1
	v_cndmask_b32_e32 v1, v1, v3, vcc_lo
	s_delay_alu instid0(VALU_DEP_1) | instskip(NEXT) | instid1(VALU_DEP_1)
	v_xor_b32_e32 v1, s21, v1
	v_subrev_nc_u32_e32 v1, s21, v1
	s_delay_alu instid0(VALU_DEP_1) | instskip(SKIP_1) | instid1(VALU_DEP_2)
	v_ashrrev_i32_e32 v2, 31, v1
	v_mul_lo_u32 v3, v1, s20
	v_lshlrev_b64 v[7:8], 4, v[1:2]
	s_delay_alu instid0(VALU_DEP_2) | instskip(NEXT) | instid1(VALU_DEP_2)
	v_sub_nc_u32_e32 v3, v0, v3
	v_add_co_u32 v5, vcc_lo, v7, 16
	s_delay_alu instid0(VALU_DEP_3) | instskip(NEXT) | instid1(VALU_DEP_1)
	v_add_co_ci_u32_e32 v6, vcc_lo, 0, v8, vcc_lo
	v_cmp_gt_i64_e32 vcc_lo, s[8:9], v[5:6]
	v_cndmask_b32_e32 v6, s9, v6, vcc_lo
	v_cndmask_b32_e32 v5, s8, v5, vcc_lo
	v_add_co_u32 v7, vcc_lo, v7, v3
	v_add_co_ci_u32_e32 v8, vcc_lo, 0, v8, vcc_lo
	s_delay_alu instid0(VALU_DEP_3) | instskip(SKIP_2) | instid1(VALU_DEP_1)
	v_ashrrev_i32_e32 v10, 31, v5
	v_mov_b32_e32 v9, v5
	s_mov_b32 s9, exec_lo
	v_cmpx_lt_i64_e64 v[7:8], v[9:10]
	s_cbranch_execz .LBB55_26
; %bb.17:
	v_lshlrev_b64 v[11:12], 7, v[1:2]
	v_lshlrev_b64 v[13:14], 3, v[3:4]
	v_mov_b32_e32 v4, 0
	s_lshl_b64 s[22:23], s[20:21], 5
	s_mul_hi_i32 s13, s20, 3
	s_mul_i32 s35, s20, 3
	s_lshl_b64 s[24:25], s[20:21], 1
	v_add_co_u32 v21, vcc_lo, v11, v13
	v_add_co_ci_u32_e32 v22, vcc_lo, v12, v14, vcc_lo
	v_dual_mov_b32 v12, v8 :: v_dual_mov_b32 v11, v7
	s_lshl_b64 s[26:27], s[20:21], 3
	s_mov_b32 s36, 0
                                        ; implicit-def: $sgpr37
	s_branch .LBB55_21
.LBB55_18:                              ;   in Loop: Header=BB55_21 Depth=1
	s_or_b32 exec_lo, exec_lo, s40
	s_delay_alu instid0(SALU_CYCLE_1)
	s_or_not1_b32 s3, s3, exec_lo
.LBB55_19:                              ;   in Loop: Header=BB55_21 Depth=1
	s_or_b32 exec_lo, exec_lo, s39
	s_delay_alu instid0(SALU_CYCLE_1) | instskip(SKIP_1) | instid1(SALU_CYCLE_1)
	s_and_not1_b32 s37, s37, exec_lo
	s_and_b32 s3, s3, exec_lo
	s_or_b32 s37, s37, s3
.LBB55_20:                              ;   in Loop: Header=BB55_21 Depth=1
	s_or_b32 exec_lo, exec_lo, s38
	s_delay_alu instid0(SALU_CYCLE_1) | instskip(NEXT) | instid1(SALU_CYCLE_1)
	s_and_b32 s3, exec_lo, s37
	s_or_b32 s36, s3, s36
	s_delay_alu instid0(SALU_CYCLE_1)
	s_and_not1_b32 exec_lo, exec_lo, s36
	s_cbranch_execz .LBB55_25
.LBB55_21:                              ; =>This Inner Loop Header: Depth=1
	v_add_co_u32 v15, vcc_lo, s28, v21
	v_add_co_ci_u32_e32 v16, vcc_lo, s29, v22, vcc_lo
	v_add_co_u32 v19, vcc_lo, s30, v21
	v_add_co_ci_u32_e32 v20, vcc_lo, s31, v22, vcc_lo
	v_add_co_u32 v17, vcc_lo, s10, v21
	global_load_b64 v[13:14], v[15:16], off
	global_load_b64 v[23:24], v[19:20], off
	v_add_co_ci_u32_e32 v18, vcc_lo, s11, v22, vcc_lo
	s_or_b32 s37, s37, exec_lo
	s_mov_b32 s38, exec_lo
	global_load_b64 v[25:26], v[17:18], off
	s_waitcnt vmcnt(2)
	v_lshrrev_b32_e32 v27, 16, v13
	s_waitcnt vmcnt(1)
	v_lshrrev_b32_e32 v30, 16, v23
	v_lshrrev_b32_e32 v29, 16, v14
	v_cvt_f32_f16_e32 v13, v13
	v_lshrrev_b32_e32 v31, 16, v24
	v_cvt_f32_f16_e32 v23, v23
	v_cvt_f32_f16_e32 v27, v27
	;; [unrolled: 1-line block ×6, first 2 shown]
	v_add_f32_e32 v13, v13, v23
	v_cvt_f32_f16_e32 v23, v31
	s_delay_alu instid0(VALU_DEP_4)
	v_dual_add_f32 v27, v27, v30 :: v_dual_add_f32 v14, v14, v24
	s_waitcnt vmcnt(0)
	v_lshrrev_b32_e32 v30, 16, v25
	s_waitcnt lgkmcnt(0)
	v_fma_mixlo_f16 v13, v28, v13, 0
	v_add_f32_e32 v23, v29, v23
	v_fma_mixlo_f16 v24, v28, v27, 0
	v_lshrrev_b32_e32 v27, 16, v26
	v_fma_mixlo_f16 v14, v28, v14, 0
	v_mul_f16_e32 v13, v25, v13
	v_fma_mixlo_f16 v23, v28, v23, 0
	v_mul_f16_e32 v24, v30, v24
	s_delay_alu instid0(VALU_DEP_4) | instskip(NEXT) | instid1(VALU_DEP_4)
	v_mul_f16_e32 v25, v26, v14
	v_cvt_f32_f16_e64 v26, |v13|
	s_delay_alu instid0(VALU_DEP_4) | instskip(NEXT) | instid1(VALU_DEP_4)
	v_mul_f16_e32 v23, v27, v23
	v_cvt_f32_f16_e64 v24, |v24|
	v_add_co_u32 v13, vcc_lo, v11, s20
	v_cvt_f32_f16_e64 v25, |v25|
	s_delay_alu instid0(VALU_DEP_4) | instskip(NEXT) | instid1(VALU_DEP_4)
	v_cvt_f32_f16_e64 v23, |v23|
	v_max3_f32 v4, v4, v26, v24
	v_add_co_ci_u32_e32 v14, vcc_lo, s21, v12, vcc_lo
	s_delay_alu instid0(VALU_DEP_2) | instskip(NEXT) | instid1(VALU_DEP_2)
	v_max3_f32 v4, v4, v25, v23
	v_cmpx_lt_i64_e64 v[13:14], v[9:10]
	s_cbranch_execz .LBB55_20
; %bb.22:                               ;   in Loop: Header=BB55_21 Depth=1
	v_add_co_u32 v15, vcc_lo, v15, s26
	v_add_co_ci_u32_e32 v16, vcc_lo, s27, v16, vcc_lo
	v_add_co_u32 v19, vcc_lo, v19, s26
	v_add_co_ci_u32_e32 v20, vcc_lo, s27, v20, vcc_lo
	v_add_co_u32 v17, vcc_lo, v17, s26
	global_load_b64 v[23:24], v[15:16], off
	global_load_b64 v[25:26], v[19:20], off
	v_add_co_ci_u32_e32 v18, vcc_lo, s27, v18, vcc_lo
	s_mov_b32 s3, -1
	s_mov_b32 s39, exec_lo
	global_load_b64 v[29:30], v[17:18], off
	s_waitcnt vmcnt(2)
	v_lshrrev_b32_e32 v27, 16, v23
	s_waitcnt vmcnt(1)
	v_lshrrev_b32_e32 v32, 16, v25
	v_lshrrev_b32_e32 v31, 16, v24
	v_cvt_f32_f16_e32 v23, v23
	v_lshrrev_b32_e32 v33, 16, v26
	v_cvt_f32_f16_e32 v25, v25
	v_cvt_f32_f16_e32 v27, v27
	;; [unrolled: 1-line block ×6, first 2 shown]
	v_add_f32_e32 v23, v23, v25
	v_cvt_f32_f16_e32 v25, v33
	s_delay_alu instid0(VALU_DEP_4)
	v_dual_add_f32 v27, v27, v32 :: v_dual_add_f32 v24, v24, v26
	s_waitcnt vmcnt(0)
	v_lshrrev_b32_e32 v32, 16, v29
	v_fma_mixlo_f16 v23, v28, v23, 0
	v_add_f32_e32 v25, v31, v25
	v_fma_mixlo_f16 v26, v28, v27, 0
	v_lshrrev_b32_e32 v27, 16, v30
	v_fma_mixlo_f16 v24, v28, v24, 0
	v_mul_f16_e32 v23, v29, v23
	v_fma_mixlo_f16 v25, v28, v25, 0
	v_mul_f16_e32 v26, v32, v26
	s_delay_alu instid0(VALU_DEP_4) | instskip(NEXT) | instid1(VALU_DEP_4)
	v_mul_f16_e32 v29, v30, v24
	v_cvt_f32_f16_e64 v30, |v23|
	s_delay_alu instid0(VALU_DEP_4) | instskip(NEXT) | instid1(VALU_DEP_4)
	v_mul_f16_e32 v25, v27, v25
	v_cvt_f32_f16_e64 v26, |v26|
	v_add_co_u32 v23, vcc_lo, s24, v11
	v_cvt_f32_f16_e64 v27, |v29|
	s_delay_alu instid0(VALU_DEP_4) | instskip(NEXT) | instid1(VALU_DEP_4)
	v_cvt_f32_f16_e64 v25, |v25|
	v_max3_f32 v4, v4, v30, v26
	v_add_co_ci_u32_e32 v24, vcc_lo, s25, v12, vcc_lo
	s_delay_alu instid0(VALU_DEP_2) | instskip(NEXT) | instid1(VALU_DEP_2)
	v_max3_f32 v4, v4, v27, v25
	v_cmpx_lt_i64_e64 v[23:24], v[9:10]
	s_cbranch_execz .LBB55_19
; %bb.23:                               ;   in Loop: Header=BB55_21 Depth=1
	v_add_co_u32 v15, vcc_lo, v15, s26
	v_add_co_ci_u32_e32 v16, vcc_lo, s27, v16, vcc_lo
	v_add_co_u32 v19, vcc_lo, v19, s26
	v_add_co_ci_u32_e32 v20, vcc_lo, s27, v20, vcc_lo
	v_add_co_u32 v17, vcc_lo, v17, s26
	global_load_b64 v[23:24], v[15:16], off
	global_load_b64 v[25:26], v[19:20], off
	v_add_co_ci_u32_e32 v18, vcc_lo, s27, v18, vcc_lo
	v_add_co_u32 v11, vcc_lo, s35, v11
	v_add_co_ci_u32_e32 v12, vcc_lo, s13, v12, vcc_lo
	global_load_b64 v[29:30], v[17:18], off
	v_cmp_lt_i64_e32 vcc_lo, v[11:12], v[9:10]
                                        ; implicit-def: $vgpr11_vgpr12
	s_waitcnt vmcnt(2)
	v_lshrrev_b32_e32 v27, 16, v23
	s_waitcnt vmcnt(1)
	v_lshrrev_b32_e32 v32, 16, v25
	v_lshrrev_b32_e32 v31, 16, v24
	v_cvt_f32_f16_e32 v23, v23
	v_lshrrev_b32_e32 v33, 16, v26
	v_cvt_f32_f16_e32 v25, v25
	v_cvt_f32_f16_e32 v27, v27
	v_cvt_f32_f16_e32 v32, v32
	v_cvt_f32_f16_e32 v24, v24
	v_cvt_f32_f16_e32 v26, v26
	v_cvt_f32_f16_e32 v31, v31
	v_add_f32_e32 v23, v23, v25
	v_cvt_f32_f16_e32 v25, v33
	s_delay_alu instid0(VALU_DEP_4)
	v_dual_add_f32 v27, v27, v32 :: v_dual_add_f32 v24, v24, v26
	s_waitcnt vmcnt(0)
	v_lshrrev_b32_e32 v32, 16, v29
	v_fma_mixlo_f16 v23, v28, v23, 0
	v_add_f32_e32 v25, v31, v25
	v_fma_mixlo_f16 v26, v28, v27, 0
	v_lshrrev_b32_e32 v27, 16, v30
	v_fma_mixlo_f16 v24, v28, v24, 0
	v_mul_f16_e32 v23, v29, v23
	v_fma_mixlo_f16 v25, v28, v25, 0
	v_mul_f16_e32 v26, v32, v26
	s_delay_alu instid0(VALU_DEP_4) | instskip(NEXT) | instid1(VALU_DEP_4)
	v_mul_f16_e32 v24, v30, v24
	v_cvt_f32_f16_e64 v23, |v23|
	s_delay_alu instid0(VALU_DEP_4) | instskip(NEXT) | instid1(VALU_DEP_4)
	v_mul_f16_e32 v25, v27, v25
	v_cvt_f32_f16_e64 v26, |v26|
	s_delay_alu instid0(VALU_DEP_4) | instskip(NEXT) | instid1(VALU_DEP_2)
	v_cvt_f32_f16_e64 v24, |v24|
	v_max3_f32 v4, v4, v23, v26
	s_delay_alu instid0(VALU_DEP_4) | instskip(NEXT) | instid1(VALU_DEP_1)
	v_cvt_f32_f16_e64 v23, |v25|
	v_max3_f32 v4, v4, v24, v23
	s_and_saveexec_b32 s40, vcc_lo
	s_delay_alu instid0(SALU_CYCLE_1)
	s_xor_b32 s40, exec_lo, s40
	s_cbranch_execz .LBB55_18
; %bb.24:                               ;   in Loop: Header=BB55_21 Depth=1
	v_add_co_u32 v11, vcc_lo, v15, s26
	v_add_co_ci_u32_e32 v12, vcc_lo, s27, v16, vcc_lo
	v_add_co_u32 v15, vcc_lo, v19, s26
	v_add_co_ci_u32_e32 v16, vcc_lo, s27, v20, vcc_lo
	v_add_co_u32 v17, vcc_lo, v17, s26
	global_load_b64 v[11:12], v[11:12], off
	global_load_b64 v[15:16], v[15:16], off
	v_add_co_ci_u32_e32 v18, vcc_lo, s27, v18, vcc_lo
	s_add_u32 s3, s20, s20
	s_addc_u32 s41, s21, s21
	s_add_u32 s3, s3, s20
	global_load_b64 v[17:18], v[17:18], off
	s_addc_u32 s41, s41, s21
	s_waitcnt vmcnt(2)
	v_lshrrev_b32_e32 v19, 16, v11
	s_waitcnt vmcnt(1)
	v_lshrrev_b32_e32 v23, 16, v15
	v_lshrrev_b32_e32 v20, 16, v12
	v_cvt_f32_f16_e32 v11, v11
	v_lshrrev_b32_e32 v24, 16, v16
	v_cvt_f32_f16_e32 v15, v15
	v_cvt_f32_f16_e32 v19, v19
	;; [unrolled: 1-line block ×6, first 2 shown]
	v_add_f32_e32 v11, v11, v15
	v_cvt_f32_f16_e32 v15, v24
	s_delay_alu instid0(VALU_DEP_4)
	v_dual_add_f32 v19, v19, v23 :: v_dual_add_f32 v12, v12, v16
	s_waitcnt vmcnt(0)
	v_lshrrev_b32_e32 v23, 16, v17
	v_fma_mixlo_f16 v11, v28, v11, 0
	v_add_f32_e32 v15, v20, v15
	v_fma_mixlo_f16 v16, v28, v19, 0
	v_lshrrev_b32_e32 v19, 16, v18
	v_fma_mixlo_f16 v12, v28, v12, 0
	v_mul_f16_e32 v11, v17, v11
	v_fma_mixlo_f16 v15, v28, v15, 0
	v_mul_f16_e32 v16, v23, v16
	s_delay_alu instid0(VALU_DEP_4) | instskip(NEXT) | instid1(VALU_DEP_4)
	v_mul_f16_e32 v17, v18, v12
	v_cvt_f32_f16_e64 v18, |v11|
	s_delay_alu instid0(VALU_DEP_4) | instskip(NEXT) | instid1(VALU_DEP_4)
	v_mul_f16_e32 v15, v19, v15
	v_cvt_f32_f16_e64 v16, |v16|
	v_add_co_u32 v11, vcc_lo, s3, v13
	v_add_co_ci_u32_e32 v12, vcc_lo, s41, v14, vcc_lo
	v_cvt_f32_f16_e64 v13, |v17|
	v_cvt_f32_f16_e64 v14, |v15|
	v_max3_f32 v4, v4, v18, v16
	s_delay_alu instid0(VALU_DEP_4) | instskip(SKIP_1) | instid1(VALU_DEP_1)
	v_cmp_ge_i64_e32 vcc_lo, v[11:12], v[9:10]
	v_add_co_u32 v21, s3, v21, s22
	v_add_co_ci_u32_e64 v22, s3, s23, v22, s3
	s_delay_alu instid0(VALU_DEP_4)
	v_max3_f32 v4, v4, v13, v14
	s_or_not1_b32 s3, vcc_lo, exec_lo
	s_branch .LBB55_18
.LBB55_25:
	s_or_b32 exec_lo, exec_lo, s36
.LBB55_26:
	s_delay_alu instid0(SALU_CYCLE_1)
	s_or_b32 exec_lo, exec_lo, s9
	s_lshr_b32 s9, s33, 5
	v_lshlrev_b32_e32 v29, 2, v0
	v_cvt_f32_u32_e32 v9, s9
	s_sub_i32 s13, 0, s9
	s_add_i32 s22, s12, s9
	s_delay_alu instid0(SALU_CYCLE_1) | instskip(NEXT) | instid1(VALU_DEP_1)
	s_add_i32 s22, s22, -1
	v_rcp_iflag_f32_e32 v9, v9
	s_abs_i32 s23, s22
	s_ashr_i32 s22, s22, 31
	ds_store_b32 v29, v4
	s_waitcnt lgkmcnt(0)
	s_barrier
	buffer_gl0_inv
	v_mul_f32_e32 v9, 0x4f7ffffe, v9
	s_delay_alu instid0(VALU_DEP_1) | instskip(NEXT) | instid1(VALU_DEP_1)
	v_cvt_u32_f32_e32 v9, v9
	v_readfirstlane_b32 s3, v9
	s_delay_alu instid0(VALU_DEP_1) | instskip(NEXT) | instid1(SALU_CYCLE_1)
	s_mul_i32 s13, s13, s3
	s_mul_hi_u32 s13, s3, s13
	s_delay_alu instid0(SALU_CYCLE_1) | instskip(NEXT) | instid1(SALU_CYCLE_1)
	s_add_i32 s3, s3, s13
	s_mul_hi_u32 s3, s23, s3
	s_delay_alu instid0(SALU_CYCLE_1) | instskip(NEXT) | instid1(SALU_CYCLE_1)
	s_mul_i32 s13, s3, s9
	s_sub_i32 s13, s23, s13
	s_add_i32 s23, s3, 1
	s_sub_i32 s24, s13, s9
	s_cmp_ge_u32 s13, s9
	s_cselect_b32 s3, s23, s3
	s_cselect_b32 s13, s24, s13
	s_add_i32 s23, s3, 1
	s_cmp_ge_u32 s13, s9
	s_cselect_b32 s3, s23, s3
	s_delay_alu instid0(SALU_CYCLE_1) | instskip(NEXT) | instid1(SALU_CYCLE_1)
	s_xor_b32 s3, s3, s22
	s_sub_i32 s22, s3, s22
	s_delay_alu instid0(SALU_CYCLE_1) | instskip(NEXT) | instid1(SALU_CYCLE_1)
	s_ashr_i32 s23, s22, 31
	v_cmp_lt_i64_e64 s3, s[22:23], 1
	s_delay_alu instid0(VALU_DEP_1)
	s_and_b32 vcc_lo, exec_lo, s3
	s_cbranch_vccnz .LBB55_46
; %bb.27:
	v_lshrrev_b32_e32 v9, 5, v0
	v_and_b32_e32 v4, 31, v0
	s_ashr_i32 s13, s12, 31
	s_mov_b64 s[24:25], 0
	s_mov_b64 s[26:27], src_shared_base
	v_mul_lo_u32 v19, s20, v9
	v_add_co_u32 v11, s3, v4, 16
	s_delay_alu instid0(VALU_DEP_1) | instskip(SKIP_1) | instid1(VALU_DEP_1)
	v_add_co_ci_u32_e64 v12, null, 0, 0, s3
	v_add_co_u32 v13, s3, v4, 8
	v_add_co_ci_u32_e64 v14, null, 0, 0, s3
	v_add_co_u32 v15, s3, v4, 4
	v_dual_mov_b32 v10, 0 :: v_dual_lshlrev_b32 v21, 2, v19
	v_lshlrev_b32_e32 v22, 2, v4
	v_add_co_ci_u32_e64 v16, null, 0, 0, s3
	v_add_co_u32 v17, s3, v4, 2
	s_delay_alu instid0(VALU_DEP_1) | instskip(SKIP_1) | instid1(VALU_DEP_1)
	v_add_co_ci_u32_e64 v18, null, 0, 0, s3
	v_add_co_u32 v19, s3, v4, 1
	v_add_co_ci_u32_e64 v20, null, 0, 0, s3
	v_add3_u32 v30, v21, v22, 0x80
	s_mul_i32 s3, s20, s9
	s_delay_alu instid0(SALU_CYCLE_1)
	s_lshl_b32 s35, s3, 2
	s_branch .LBB55_30
.LBB55_28:                              ;   in Loop: Header=BB55_30 Depth=1
	s_or_b32 exec_lo, exec_lo, s3
	v_mov_b32_e32 v22, s27
	flat_load_b32 v21, v[21:22] glc dlc
	s_waitcnt vmcnt(0)
.LBB55_29:                              ;   in Loop: Header=BB55_30 Depth=1
	s_or_b32 exec_lo, exec_lo, s26
	s_add_u32 s24, s24, 1
	v_add_nc_u32_e32 v30, s35, v30
	s_addc_u32 s25, s25, 0
	s_delay_alu instid0(SALU_CYCLE_1)
	s_cmp_eq_u64 s[24:25], s[22:23]
	s_cbranch_scc1 .LBB55_46
.LBB55_30:                              ; =>This Loop Header: Depth=1
                                        ;     Child Loop BB55_33 Depth 2
	s_waitcnt lgkmcnt(0)
	v_mad_u64_u32 v[21:22], null, s24, s9, v[9:10]
	s_mov_b32 s26, exec_lo
	s_delay_alu instid0(VALU_DEP_1) | instskip(NEXT) | instid1(VALU_DEP_1)
	v_mad_u64_u32 v[23:24], null, s25, s9, v[22:23]
	v_mov_b32_e32 v22, v23
	s_delay_alu instid0(VALU_DEP_1)
	v_cmpx_gt_i64_e64 s[12:13], v[21:22]
	s_cbranch_execz .LBB55_29
; %bb.31:                               ;   in Loop: Header=BB55_30 Depth=1
	v_mul_lo_u32 v24, v22, s20
	v_mul_lo_u32 v25, v21, s21
	v_mad_u64_u32 v[22:23], null, v21, s20, 0
	s_delay_alu instid0(VALU_DEP_1) | instskip(NEXT) | instid1(VALU_DEP_2)
	v_add3_u32 v23, v23, v25, v24
	v_add_co_u32 v24, vcc_lo, v22, s20
	v_add_co_u32 v31, s3, v22, v4
	s_delay_alu instid0(VALU_DEP_3) | instskip(SKIP_2) | instid1(VALU_DEP_2)
	v_add_co_ci_u32_e32 v25, vcc_lo, s21, v23, vcc_lo
	v_add_co_ci_u32_e64 v21, s3, 0, v23, s3
	s_mov_b32 s3, exec_lo
	v_cmp_gt_i64_e32 vcc_lo, s[18:19], v[24:25]
	v_cndmask_b32_e32 v25, s19, v25, vcc_lo
	v_cndmask_b32_e32 v24, s18, v24, vcc_lo
	v_add_co_u32 v26, vcc_lo, v31, 32
	v_add_co_ci_u32_e32 v27, vcc_lo, 0, v21, vcc_lo
	v_lshlrev_b32_e32 v21, 2, v31
	s_delay_alu instid0(VALU_DEP_2)
	v_cmpx_lt_i64_e64 v[26:27], v[24:25]
	s_cbranch_execz .LBB55_34
; %bb.32:                               ;   in Loop: Header=BB55_30 Depth=1
	ds_load_b32 v33, v21
	v_mov_b32_e32 v32, v30
	s_mov_b32 s36, 0
.LBB55_33:                              ;   Parent Loop BB55_30 Depth=1
                                        ; =>  This Inner Loop Header: Depth=2
	ds_load_b32 v34, v32
	v_add_co_u32 v26, vcc_lo, v26, 32
	v_add_co_ci_u32_e32 v27, vcc_lo, 0, v27, vcc_lo
	s_waitcnt lgkmcnt(1)
	v_dual_max_f32 v33, v33, v33 :: v_dual_add_nc_u32 v32, 0x80, v32
	s_delay_alu instid0(VALU_DEP_2) | instskip(SKIP_3) | instid1(VALU_DEP_1)
	v_cmp_ge_i64_e32 vcc_lo, v[26:27], v[24:25]
	s_or_b32 s36, vcc_lo, s36
	s_waitcnt lgkmcnt(0)
	v_max_f32_e32 v34, v34, v34
	v_max_f32_e32 v33, v33, v34
	ds_store_b32 v21, v33
	s_and_not1_b32 exec_lo, exec_lo, s36
	s_cbranch_execnz .LBB55_33
.LBB55_34:                              ;   in Loop: Header=BB55_30 Depth=1
	s_or_b32 exec_lo, exec_lo, s3
	v_sub_co_u32 v22, vcc_lo, v24, v22
	v_sub_co_ci_u32_e32 v23, vcc_lo, v25, v23, vcc_lo
	s_mov_b32 s3, exec_lo
	s_delay_alu instid0(VALU_DEP_1) | instskip(SKIP_1) | instid1(VALU_DEP_1)
	v_cmp_gt_i64_e32 vcc_lo, 32, v[22:23]
	v_dual_cndmask_b32 v24, 0, v23 :: v_dual_cndmask_b32 v23, 32, v22
	v_cmpx_lt_i64_e64 v[11:12], v[23:24]
	s_cbranch_execz .LBB55_36
; %bb.35:                               ;   in Loop: Header=BB55_30 Depth=1
	v_dual_mov_b32 v22, s27 :: v_dual_add_nc_u32 v25, 64, v21
	v_mov_b32_e32 v26, s27
	flat_load_b32 v27, v[21:22] glc dlc
	s_waitcnt vmcnt(0)
	flat_load_b32 v25, v[25:26] glc dlc
	s_waitcnt vmcnt(0) lgkmcnt(0)
	v_dual_max_f32 v26, v27, v27 :: v_dual_max_f32 v25, v25, v25
	s_delay_alu instid0(VALU_DEP_1)
	v_max_f32_e32 v25, v26, v25
	flat_store_b32 v[21:22], v25 dlc
	s_waitcnt_vscnt null, 0x0
.LBB55_36:                              ;   in Loop: Header=BB55_30 Depth=1
	s_or_b32 exec_lo, exec_lo, s3
	s_delay_alu instid0(SALU_CYCLE_1)
	s_mov_b32 s3, exec_lo
	v_cmpx_lt_i64_e64 v[13:14], v[23:24]
	s_cbranch_execz .LBB55_38
; %bb.37:                               ;   in Loop: Header=BB55_30 Depth=1
	v_dual_mov_b32 v22, s27 :: v_dual_add_nc_u32 v25, 32, v21
	v_mov_b32_e32 v26, s27
	flat_load_b32 v27, v[21:22] glc dlc
	s_waitcnt vmcnt(0)
	flat_load_b32 v25, v[25:26] glc dlc
	s_waitcnt vmcnt(0) lgkmcnt(0)
	v_dual_max_f32 v26, v27, v27 :: v_dual_max_f32 v25, v25, v25
	s_delay_alu instid0(VALU_DEP_1)
	v_max_f32_e32 v25, v26, v25
	flat_store_b32 v[21:22], v25 dlc
	s_waitcnt_vscnt null, 0x0
.LBB55_38:                              ;   in Loop: Header=BB55_30 Depth=1
	s_or_b32 exec_lo, exec_lo, s3
	s_delay_alu instid0(SALU_CYCLE_1)
	s_mov_b32 s3, exec_lo
	v_cmpx_ge_i64_e64 v[15:16], v[23:24]
	s_xor_b32 s3, exec_lo, s3
; %bb.39:                               ;   in Loop: Header=BB55_30 Depth=1
                                        ; implicit-def: $vgpr21
; %bb.40:                               ;   in Loop: Header=BB55_30 Depth=1
	s_delay_alu instid0(SALU_CYCLE_1)
	s_and_not1_saveexec_b32 s3, s3
	s_cbranch_execz .LBB55_42
; %bb.41:                               ;   in Loop: Header=BB55_30 Depth=1
	v_dual_mov_b32 v22, s27 :: v_dual_add_nc_u32 v25, 16, v21
	v_mov_b32_e32 v26, s27
	flat_load_b32 v27, v[21:22] glc dlc
	s_waitcnt vmcnt(0)
	flat_load_b32 v25, v[25:26] glc dlc
	s_waitcnt vmcnt(0) lgkmcnt(0)
	v_dual_max_f32 v26, v27, v27 :: v_dual_max_f32 v25, v25, v25
	s_delay_alu instid0(VALU_DEP_1)
	v_max_f32_e32 v25, v26, v25
	flat_store_b32 v[21:22], v25 dlc
	s_waitcnt_vscnt null, 0x0
.LBB55_42:                              ;   in Loop: Header=BB55_30 Depth=1
	s_or_b32 exec_lo, exec_lo, s3
	v_lshlrev_b32_e32 v21, 2, v31
	s_mov_b32 s3, exec_lo
	v_cmpx_lt_i64_e64 v[17:18], v[23:24]
	s_cbranch_execz .LBB55_44
; %bb.43:                               ;   in Loop: Header=BB55_30 Depth=1
	s_delay_alu instid0(VALU_DEP_2)
	v_dual_mov_b32 v22, s27 :: v_dual_add_nc_u32 v25, 8, v21
	v_mov_b32_e32 v26, s27
	flat_load_b32 v27, v[21:22] glc dlc
	s_waitcnt vmcnt(0)
	flat_load_b32 v25, v[25:26] glc dlc
	s_waitcnt vmcnt(0) lgkmcnt(0)
	v_dual_max_f32 v26, v27, v27 :: v_dual_max_f32 v25, v25, v25
	s_delay_alu instid0(VALU_DEP_1)
	v_max_f32_e32 v25, v26, v25
	flat_store_b32 v[21:22], v25 dlc
	s_waitcnt_vscnt null, 0x0
.LBB55_44:                              ;   in Loop: Header=BB55_30 Depth=1
	s_or_b32 exec_lo, exec_lo, s3
	s_delay_alu instid0(SALU_CYCLE_1)
	s_mov_b32 s3, exec_lo
	v_cmpx_lt_i64_e64 v[19:20], v[23:24]
	s_cbranch_execz .LBB55_28
; %bb.45:                               ;   in Loop: Header=BB55_30 Depth=1
	v_dual_mov_b32 v22, s27 :: v_dual_add_nc_u32 v23, 4, v21
	v_mov_b32_e32 v24, s27
	flat_load_b32 v25, v[21:22] glc dlc
	s_waitcnt vmcnt(0)
	flat_load_b32 v23, v[23:24] glc dlc
	s_waitcnt vmcnt(0) lgkmcnt(0)
	v_dual_max_f32 v24, v25, v25 :: v_dual_max_f32 v23, v23, v23
	s_delay_alu instid0(VALU_DEP_1)
	v_max_f32_e32 v23, v24, v23
	flat_store_b32 v[21:22], v23 dlc
	s_waitcnt_vscnt null, 0x0
	s_branch .LBB55_28
.LBB55_46:
	s_load_b64 s[12:13], s[0:1], 0x40
	v_cmp_lt_i64_e32 vcc_lo, v[7:8], v[5:6]
	v_cmp_eq_u32_e64 s3, 0, v3
	s_waitcnt lgkmcnt(0)
	s_barrier
	buffer_gl0_inv
	s_and_b32 s9, s3, vcc_lo
	s_delay_alu instid0(SALU_CYCLE_1)
	s_and_saveexec_b32 s3, s9
	s_cbranch_execz .LBB55_53
; %bb.47:
	s_load_b64 s[0:1], s[0:1], 0x20
	ds_load_b32 v5, v29
	s_waitcnt lgkmcnt(0)
	s_cmp_eq_u64 s[0:1], 0
	s_cbranch_scc1 .LBB55_49
; %bb.48:
	s_load_b32 s0, s[0:1], 0x0
	v_max_f32_e32 v3, v5, v5
	s_waitcnt lgkmcnt(0)
	v_max_f32_e64 v4, s0, s0
	s_delay_alu instid0(VALU_DEP_1)
	v_min_f32_e32 v5, v3, v4
.LBB55_49:
	s_add_u32 s0, s12, s34
	s_addc_u32 s1, s13, 0
	s_add_u32 s18, s0, -1
	s_addc_u32 s19, s1, -1
	s_delay_alu instid0(SALU_CYCLE_1) | instskip(SKIP_1) | instid1(SALU_CYCLE_1)
	s_or_b64 s[20:21], s[18:19], s[12:13]
	s_mov_b32 s20, 0
	s_cmp_lg_u64 s[20:21], 0
	s_cbranch_scc0 .LBB55_194
; %bb.50:
	s_ashr_i32 s0, s13, 31
	s_delay_alu instid0(SALU_CYCLE_1) | instskip(SKIP_2) | instid1(SALU_CYCLE_1)
	s_add_u32 s22, s12, s0
	s_mov_b32 s1, s0
	s_addc_u32 s23, s13, s0
	s_xor_b64 s[0:1], s[22:23], s[0:1]
	s_delay_alu instid0(SALU_CYCLE_1) | instskip(SKIP_3) | instid1(VALU_DEP_1)
	v_cvt_f32_u32_e32 v3, s0
	v_cvt_f32_u32_e32 v4, s1
	s_sub_u32 s22, 0, s0
	s_subb_u32 s23, 0, s1
	v_fmamk_f32 v3, v4, 0x4f800000, v3
	s_delay_alu instid0(VALU_DEP_1) | instskip(SKIP_2) | instid1(VALU_DEP_1)
	v_rcp_f32_e32 v3, v3
	s_waitcnt_depctr 0xfff
	v_mul_f32_e32 v3, 0x5f7ffffc, v3
	v_mul_f32_e32 v4, 0x2f800000, v3
	s_delay_alu instid0(VALU_DEP_1) | instskip(NEXT) | instid1(VALU_DEP_1)
	v_trunc_f32_e32 v4, v4
	v_fmamk_f32 v3, v4, 0xcf800000, v3
	v_cvt_u32_f32_e32 v4, v4
	s_delay_alu instid0(VALU_DEP_2) | instskip(NEXT) | instid1(VALU_DEP_2)
	v_cvt_u32_f32_e32 v3, v3
	v_readfirstlane_b32 s9, v4
	s_delay_alu instid0(VALU_DEP_2) | instskip(NEXT) | instid1(VALU_DEP_2)
	v_readfirstlane_b32 s21, v3
	s_mul_i32 s24, s22, s9
	s_delay_alu instid0(VALU_DEP_1)
	s_mul_hi_u32 s26, s22, s21
	s_mul_i32 s25, s23, s21
	s_add_i32 s24, s26, s24
	s_mul_i32 s27, s22, s21
	s_add_i32 s24, s24, s25
	s_mul_hi_u32 s26, s21, s27
	s_mul_hi_u32 s35, s9, s27
	s_mul_i32 s25, s9, s27
	s_mul_hi_u32 s27, s21, s24
	s_mul_i32 s21, s21, s24
	s_mul_hi_u32 s36, s9, s24
	s_add_u32 s21, s26, s21
	s_addc_u32 s26, 0, s27
	s_add_u32 s21, s21, s25
	s_mul_i32 s24, s9, s24
	s_addc_u32 s21, s26, s35
	s_addc_u32 s25, s36, 0
	s_add_u32 s21, s21, s24
	s_addc_u32 s24, 0, s25
	v_add_co_u32 v3, s21, v3, s21
	s_delay_alu instid0(VALU_DEP_1) | instskip(SKIP_1) | instid1(VALU_DEP_1)
	s_cmp_lg_u32 s21, 0
	s_addc_u32 s9, s9, s24
	v_readfirstlane_b32 s21, v3
	s_mul_i32 s24, s22, s9
	s_delay_alu instid0(VALU_DEP_1)
	s_mul_hi_u32 s25, s22, s21
	s_mul_i32 s23, s23, s21
	s_add_i32 s24, s25, s24
	s_mul_i32 s22, s22, s21
	s_add_i32 s24, s24, s23
	s_mul_hi_u32 s25, s9, s22
	s_mul_i32 s26, s9, s22
	s_mul_hi_u32 s22, s21, s22
	s_mul_hi_u32 s27, s21, s24
	s_mul_i32 s21, s21, s24
	s_mul_hi_u32 s23, s9, s24
	s_add_u32 s21, s22, s21
	s_addc_u32 s22, 0, s27
	s_add_u32 s21, s21, s26
	s_mul_i32 s24, s9, s24
	s_addc_u32 s21, s22, s25
	s_addc_u32 s22, s23, 0
	s_add_u32 s21, s21, s24
	s_addc_u32 s22, 0, s22
	v_add_co_u32 v3, s21, v3, s21
	s_delay_alu instid0(VALU_DEP_1) | instskip(SKIP_2) | instid1(VALU_DEP_1)
	s_cmp_lg_u32 s21, 0
	s_addc_u32 s9, s9, s22
	s_ashr_i32 s22, s19, 31
	v_readfirstlane_b32 s21, v3
	s_add_u32 s24, s18, s22
	s_mov_b32 s23, s22
	s_addc_u32 s25, s19, s22
	s_delay_alu instid0(SALU_CYCLE_1) | instskip(NEXT) | instid1(SALU_CYCLE_1)
	s_xor_b64 s[24:25], s[24:25], s[22:23]
	s_mul_i32 s26, s24, s9
	s_mul_hi_u32 s27, s24, s21
	s_mul_hi_u32 s23, s24, s9
	;; [unrolled: 1-line block ×3, first 2 shown]
	s_mul_i32 s21, s25, s21
	s_add_u32 s26, s27, s26
	s_addc_u32 s23, 0, s23
	s_mul_hi_u32 s35, s25, s9
	s_add_u32 s21, s26, s21
	s_mul_i32 s9, s25, s9
	s_addc_u32 s21, s23, s36
	s_addc_u32 s23, s35, 0
	s_add_u32 s9, s21, s9
	s_addc_u32 s21, 0, s23
	s_mul_hi_u32 s23, s0, s9
	s_mul_i32 s21, s0, s21
	s_mul_i32 s26, s1, s9
	;; [unrolled: 1-line block ×3, first 2 shown]
	s_add_i32 s21, s23, s21
	v_sub_co_u32 v3, s9, s24, s9
	s_add_i32 s21, s21, s26
	s_delay_alu instid0(SALU_CYCLE_1) | instskip(SKIP_1) | instid1(VALU_DEP_1)
	s_sub_i32 s23, s25, s21
	s_cmp_lg_u32 s9, 0
	v_sub_co_u32 v4, s24, v3, s0
	s_subb_u32 s23, s23, s1
	s_cmp_lg_u32 s24, 0
	s_subb_u32 s26, s23, 0
	s_delay_alu instid0(VALU_DEP_1)
	v_cmp_le_u32_e32 vcc_lo, s0, v4
	s_cmp_ge_u32 s26, s1
	s_cselect_b32 s27, -1, 0
	s_cmp_eq_u32 s26, s1
	v_cndmask_b32_e64 v6, 0, -1, vcc_lo
	s_cselect_b32 vcc_lo, -1, 0
	s_cmp_lg_u32 s24, 0
	v_sub_co_u32 v7, s24, v4, s0
	s_subb_u32 s23, s23, s1
	s_cmp_lg_u32 s24, 0
	v_cndmask_b32_e32 v6, s27, v6, vcc_lo
	s_subb_u32 s23, s23, 0
	s_cmp_lg_u32 s9, 0
	v_cmp_le_u32_e32 vcc_lo, s0, v3
	s_subb_u32 s9, s25, s21
	s_delay_alu instid0(SALU_CYCLE_1)
	s_cmp_ge_u32 s9, s1
	v_cndmask_b32_e64 v8, 0, -1, vcc_lo
	s_cselect_b32 s21, -1, 0
	s_cmp_eq_u32 s9, s1
	v_cmp_ne_u32_e32 vcc_lo, 0, v6
	v_mov_b32_e32 v6, s23
	s_cselect_b32 s0, -1, 0
	s_delay_alu instid0(SALU_CYCLE_1) | instskip(SKIP_1) | instid1(VALU_DEP_3)
	v_cndmask_b32_e64 v8, s21, v8, s0
	v_cndmask_b32_e32 v4, v4, v7, vcc_lo
	v_cndmask_b32_e32 v6, s26, v6, vcc_lo
	s_delay_alu instid0(VALU_DEP_3) | instskip(NEXT) | instid1(VALU_DEP_3)
	v_cmp_ne_u32_e32 vcc_lo, 0, v8
	v_cndmask_b32_e32 v3, v3, v4, vcc_lo
	s_delay_alu instid0(VALU_DEP_3) | instskip(NEXT) | instid1(VALU_DEP_2)
	v_cndmask_b32_e32 v6, s9, v6, vcc_lo
	v_xor_b32_e32 v3, s22, v3
	s_delay_alu instid0(VALU_DEP_2) | instskip(NEXT) | instid1(VALU_DEP_2)
	v_xor_b32_e32 v4, s22, v6
	v_sub_co_u32 v3, vcc_lo, v3, s22
	s_delay_alu instid0(VALU_DEP_2)
	v_subrev_co_ci_u32_e32 v4, vcc_lo, s22, v4, vcc_lo
	s_and_not1_b32 vcc_lo, exec_lo, s20
	s_cbranch_vccnz .LBB55_52
.LBB55_51:
	v_cvt_f32_u32_e32 v3, s12
	s_sub_i32 s0, 0, s12
	s_delay_alu instid0(VALU_DEP_1) | instskip(SKIP_2) | instid1(VALU_DEP_1)
	v_rcp_iflag_f32_e32 v3, v3
	s_waitcnt_depctr 0xfff
	v_mul_f32_e32 v3, 0x4f7ffffe, v3
	v_cvt_u32_f32_e32 v3, v3
	s_delay_alu instid0(VALU_DEP_1) | instskip(NEXT) | instid1(VALU_DEP_1)
	v_mul_lo_u32 v4, s0, v3
	v_mul_hi_u32 v4, v3, v4
	s_delay_alu instid0(VALU_DEP_1) | instskip(NEXT) | instid1(VALU_DEP_1)
	v_add_nc_u32_e32 v3, v3, v4
	v_mul_hi_u32 v3, s18, v3
	s_delay_alu instid0(VALU_DEP_1) | instskip(NEXT) | instid1(VALU_DEP_1)
	v_mul_lo_u32 v3, v3, s12
	v_sub_nc_u32_e32 v3, s18, v3
	s_delay_alu instid0(VALU_DEP_1) | instskip(SKIP_1) | instid1(VALU_DEP_2)
	v_subrev_nc_u32_e32 v4, s12, v3
	v_cmp_le_u32_e32 vcc_lo, s12, v3
	v_cndmask_b32_e32 v3, v3, v4, vcc_lo
	s_delay_alu instid0(VALU_DEP_1) | instskip(SKIP_1) | instid1(VALU_DEP_2)
	v_subrev_nc_u32_e32 v4, s12, v3
	v_cmp_le_u32_e32 vcc_lo, s12, v3
	v_dual_cndmask_b32 v3, v3, v4 :: v_dual_mov_b32 v4, 0
.LBB55_52:
	v_div_scale_f32 v6, null, 0x43600000, 0x43600000, v5
	v_div_scale_f32 v9, vcc_lo, v5, 0x43600000, v5
	s_delay_alu instid0(VALU_DEP_3) | instskip(NEXT) | instid1(VALU_DEP_3)
	v_sub_co_u32 v10, s0, s18, v3
	v_rcp_f32_e32 v7, v6
	v_sub_co_ci_u32_e64 v3, s0, s19, v4, s0
	s_lshl_b64 s[0:1], s[16:17], 2
	s_delay_alu instid0(SALU_CYCLE_1) | instskip(NEXT) | instid1(VALU_DEP_1)
	s_add_u32 s0, s0, s6
	v_mul_lo_u32 v11, v3, v1
	s_addc_u32 s1, s1, s7
	s_waitcnt_depctr 0xfff
	v_fma_f32 v8, -v6, v7, 1.0
	s_delay_alu instid0(VALU_DEP_1) | instskip(NEXT) | instid1(VALU_DEP_1)
	v_fmac_f32_e32 v7, v8, v7
	v_mul_f32_e32 v8, v9, v7
	s_delay_alu instid0(VALU_DEP_1) | instskip(NEXT) | instid1(VALU_DEP_1)
	v_fma_f32 v4, -v6, v8, v9
	v_fmac_f32_e32 v8, v4, v7
	v_mul_lo_u32 v4, v10, v2
	v_mad_u64_u32 v[2:3], null, v10, v1, 0
	s_delay_alu instid0(VALU_DEP_3) | instskip(NEXT) | instid1(VALU_DEP_2)
	v_fma_f32 v1, -v6, v8, v9
	v_add3_u32 v3, v3, v4, v11
	s_delay_alu instid0(VALU_DEP_2) | instskip(NEXT) | instid1(VALU_DEP_1)
	v_div_fmas_f32 v1, v1, v7, v8
	v_div_fixup_f32 v4, v1, 0x43600000, v5
	s_delay_alu instid0(VALU_DEP_3) | instskip(NEXT) | instid1(VALU_DEP_2)
	v_lshlrev_b64 v[1:2], 2, v[2:3]
	v_max_f32_e32 v3, 0x37124925, v4
	s_delay_alu instid0(VALU_DEP_2) | instskip(NEXT) | instid1(VALU_DEP_3)
	v_add_co_u32 v1, vcc_lo, s0, v1
	v_add_co_ci_u32_e32 v2, vcc_lo, s1, v2, vcc_lo
	global_store_b32 v[1:2], v3, off
.LBB55_53:
	s_or_b32 exec_lo, exec_lo, s3
	s_waitcnt_vscnt null, 0x0
	s_barrier
	buffer_gl0_inv
	s_and_saveexec_b32 s0, s2
	s_cbranch_execz .LBB55_193
; %bb.54:
	s_add_u32 s0, s12, s34
	s_addc_u32 s1, s13, 0
	s_add_u32 s2, s0, -1
	s_addc_u32 s3, s1, -1
	s_delay_alu instid0(SALU_CYCLE_1) | instskip(SKIP_1) | instid1(SALU_CYCLE_1)
	s_or_b64 s[18:19], s[2:3], s[12:13]
	s_mov_b32 s18, 0
	s_cmp_lg_u64 s[18:19], 0
	s_cbranch_scc0 .LBB55_195
; %bb.55:
	s_ashr_i32 s0, s13, 31
	s_delay_alu instid0(SALU_CYCLE_1) | instskip(SKIP_2) | instid1(SALU_CYCLE_1)
	s_add_u32 s20, s12, s0
	s_mov_b32 s1, s0
	s_addc_u32 s21, s13, s0
	s_xor_b64 s[0:1], s[20:21], s[0:1]
	s_delay_alu instid0(SALU_CYCLE_1) | instskip(SKIP_3) | instid1(VALU_DEP_1)
	v_cvt_f32_u32_e32 v1, s0
	v_cvt_f32_u32_e32 v2, s1
	s_sub_u32 s19, 0, s0
	s_subb_u32 s20, 0, s1
	v_fmamk_f32 v1, v2, 0x4f800000, v1
	s_delay_alu instid0(VALU_DEP_1) | instskip(SKIP_2) | instid1(VALU_DEP_1)
	v_rcp_f32_e32 v1, v1
	s_waitcnt_depctr 0xfff
	v_mul_f32_e32 v1, 0x5f7ffffc, v1
	v_mul_f32_e32 v2, 0x2f800000, v1
	s_delay_alu instid0(VALU_DEP_1) | instskip(NEXT) | instid1(VALU_DEP_1)
	v_trunc_f32_e32 v2, v2
	v_fmamk_f32 v1, v2, 0xcf800000, v1
	v_cvt_u32_f32_e32 v2, v2
	s_delay_alu instid0(VALU_DEP_2) | instskip(NEXT) | instid1(VALU_DEP_2)
	v_cvt_u32_f32_e32 v1, v1
	v_readfirstlane_b32 s9, v2
	s_delay_alu instid0(VALU_DEP_2) | instskip(NEXT) | instid1(VALU_DEP_2)
	v_readfirstlane_b32 s13, v1
	s_mul_i32 s21, s19, s9
	s_delay_alu instid0(VALU_DEP_1)
	s_mul_hi_u32 s23, s19, s13
	s_mul_i32 s22, s20, s13
	s_add_i32 s21, s23, s21
	s_mul_i32 s24, s19, s13
	s_add_i32 s21, s21, s22
	s_mul_hi_u32 s23, s13, s24
	s_mul_hi_u32 s25, s9, s24
	s_mul_i32 s22, s9, s24
	s_mul_hi_u32 s24, s13, s21
	s_mul_i32 s13, s13, s21
	s_mul_hi_u32 s26, s9, s21
	s_add_u32 s13, s23, s13
	s_addc_u32 s23, 0, s24
	s_add_u32 s13, s13, s22
	s_mul_i32 s21, s9, s21
	s_addc_u32 s13, s23, s25
	s_addc_u32 s22, s26, 0
	s_add_u32 s13, s13, s21
	s_addc_u32 s21, 0, s22
	v_add_co_u32 v1, s13, v1, s13
	s_delay_alu instid0(VALU_DEP_1) | instskip(SKIP_1) | instid1(VALU_DEP_1)
	s_cmp_lg_u32 s13, 0
	s_addc_u32 s9, s9, s21
	v_readfirstlane_b32 s13, v1
	s_mul_i32 s21, s19, s9
	s_delay_alu instid0(VALU_DEP_1)
	s_mul_hi_u32 s22, s19, s13
	s_mul_i32 s20, s20, s13
	s_add_i32 s21, s22, s21
	s_mul_i32 s19, s19, s13
	s_add_i32 s21, s21, s20
	s_mul_hi_u32 s22, s9, s19
	s_mul_i32 s23, s9, s19
	s_mul_hi_u32 s19, s13, s19
	s_mul_hi_u32 s24, s13, s21
	s_mul_i32 s13, s13, s21
	s_mul_hi_u32 s20, s9, s21
	s_add_u32 s13, s19, s13
	s_addc_u32 s19, 0, s24
	s_add_u32 s13, s13, s23
	s_mul_i32 s21, s9, s21
	s_addc_u32 s13, s19, s22
	s_addc_u32 s19, s20, 0
	s_add_u32 s13, s13, s21
	s_addc_u32 s19, 0, s19
	v_add_co_u32 v1, s13, v1, s13
	s_delay_alu instid0(VALU_DEP_1) | instskip(SKIP_2) | instid1(VALU_DEP_1)
	s_cmp_lg_u32 s13, 0
	s_addc_u32 s9, s9, s19
	s_ashr_i32 s20, s3, 31
	v_readfirstlane_b32 s13, v1
	s_add_u32 s22, s2, s20
	s_mov_b32 s21, s20
	s_addc_u32 s23, s3, s20
	s_delay_alu instid0(SALU_CYCLE_1) | instskip(NEXT) | instid1(SALU_CYCLE_1)
	s_xor_b64 s[22:23], s[22:23], s[20:21]
	s_mul_i32 s21, s22, s9
	s_mul_hi_u32 s24, s22, s13
	s_mul_hi_u32 s19, s22, s9
	;; [unrolled: 1-line block ×3, first 2 shown]
	s_mul_i32 s13, s23, s13
	s_add_u32 s21, s24, s21
	s_addc_u32 s19, 0, s19
	s_mul_hi_u32 s25, s23, s9
	s_add_u32 s13, s21, s13
	s_mul_i32 s9, s23, s9
	s_addc_u32 s13, s19, s26
	s_addc_u32 s19, s25, 0
	s_add_u32 s9, s13, s9
	s_addc_u32 s13, 0, s19
	s_mul_hi_u32 s19, s0, s9
	s_mul_i32 s13, s0, s13
	s_mul_i32 s21, s1, s9
	;; [unrolled: 1-line block ×3, first 2 shown]
	s_add_i32 s13, s19, s13
	v_sub_co_u32 v1, s9, s22, s9
	s_add_i32 s13, s13, s21
	s_delay_alu instid0(SALU_CYCLE_1) | instskip(SKIP_1) | instid1(VALU_DEP_1)
	s_sub_i32 s19, s23, s13
	s_cmp_lg_u32 s9, 0
	v_sub_co_u32 v2, s21, v1, s0
	s_subb_u32 s19, s19, s1
	s_cmp_lg_u32 s21, 0
	s_subb_u32 s22, s19, 0
	s_delay_alu instid0(VALU_DEP_1)
	v_cmp_le_u32_e32 vcc_lo, s0, v2
	s_cmp_ge_u32 s22, s1
	s_cselect_b32 s24, -1, 0
	s_cmp_eq_u32 s22, s1
	v_cndmask_b32_e64 v3, 0, -1, vcc_lo
	s_cselect_b32 vcc_lo, -1, 0
	s_cmp_lg_u32 s21, 0
	v_sub_co_u32 v4, s21, v2, s0
	s_subb_u32 s19, s19, s1
	s_cmp_lg_u32 s21, 0
	v_cndmask_b32_e32 v3, s24, v3, vcc_lo
	s_subb_u32 s19, s19, 0
	s_cmp_lg_u32 s9, 0
	v_cmp_le_u32_e32 vcc_lo, s0, v1
	s_subb_u32 s9, s23, s13
	s_delay_alu instid0(SALU_CYCLE_1)
	s_cmp_ge_u32 s9, s1
	v_cndmask_b32_e64 v5, 0, -1, vcc_lo
	s_cselect_b32 s13, -1, 0
	s_cmp_eq_u32 s9, s1
	v_cmp_ne_u32_e32 vcc_lo, 0, v3
	v_mov_b32_e32 v3, s19
	s_cselect_b32 s0, -1, 0
	s_delay_alu instid0(SALU_CYCLE_1) | instskip(SKIP_1) | instid1(VALU_DEP_3)
	v_cndmask_b32_e64 v5, s13, v5, s0
	v_cndmask_b32_e32 v2, v2, v4, vcc_lo
	v_cndmask_b32_e32 v3, s22, v3, vcc_lo
	s_delay_alu instid0(VALU_DEP_3) | instskip(NEXT) | instid1(VALU_DEP_3)
	v_cmp_ne_u32_e32 vcc_lo, 0, v5
	v_cndmask_b32_e32 v1, v1, v2, vcc_lo
	s_delay_alu instid0(VALU_DEP_3) | instskip(NEXT) | instid1(VALU_DEP_2)
	v_cndmask_b32_e32 v3, s9, v3, vcc_lo
	v_xor_b32_e32 v1, s20, v1
	s_delay_alu instid0(VALU_DEP_2) | instskip(NEXT) | instid1(VALU_DEP_2)
	v_xor_b32_e32 v2, s20, v3
	v_sub_co_u32 v1, vcc_lo, v1, s20
	s_delay_alu instid0(VALU_DEP_2)
	v_subrev_co_ci_u32_e32 v2, vcc_lo, s20, v2, vcc_lo
	s_and_not1_b32 vcc_lo, exec_lo, s18
	s_cbranch_vccnz .LBB55_57
.LBB55_56:
	v_cvt_f32_u32_e32 v1, s12
	s_sub_i32 s0, 0, s12
	s_delay_alu instid0(VALU_DEP_1) | instskip(SKIP_2) | instid1(VALU_DEP_1)
	v_rcp_iflag_f32_e32 v1, v1
	s_waitcnt_depctr 0xfff
	v_mul_f32_e32 v1, 0x4f7ffffe, v1
	v_cvt_u32_f32_e32 v1, v1
	s_delay_alu instid0(VALU_DEP_1) | instskip(NEXT) | instid1(VALU_DEP_1)
	v_mul_lo_u32 v2, s0, v1
	v_mul_hi_u32 v2, v1, v2
	s_delay_alu instid0(VALU_DEP_1) | instskip(NEXT) | instid1(VALU_DEP_1)
	v_add_nc_u32_e32 v1, v1, v2
	v_mul_hi_u32 v1, s2, v1
	s_delay_alu instid0(VALU_DEP_1) | instskip(NEXT) | instid1(VALU_DEP_1)
	v_mul_lo_u32 v1, v1, s12
	v_sub_nc_u32_e32 v1, s2, v1
	s_delay_alu instid0(VALU_DEP_1) | instskip(SKIP_1) | instid1(VALU_DEP_2)
	v_subrev_nc_u32_e32 v2, s12, v1
	v_cmp_le_u32_e32 vcc_lo, s12, v1
	v_cndmask_b32_e32 v1, v1, v2, vcc_lo
	s_delay_alu instid0(VALU_DEP_1) | instskip(SKIP_1) | instid1(VALU_DEP_2)
	v_subrev_nc_u32_e32 v2, s12, v1
	v_cmp_le_u32_e32 vcc_lo, s12, v1
	v_dual_cndmask_b32 v1, v1, v2 :: v_dual_mov_b32 v2, 0
.LBB55_57:
	s_delay_alu instid0(VALU_DEP_1)
	v_sub_co_u32 v7, vcc_lo, s2, v1
	s_add_u32 s0, s4, s14
	s_addc_u32 s1, s5, s15
	s_lshl_b64 s[4:5], s[16:17], 2
	v_sub_co_ci_u32_e32 v8, vcc_lo, s3, v2, vcc_lo
	v_mov_b32_e32 v1, 0
	s_add_u32 s4, s6, s4
	s_addc_u32 s5, s7, s5
	s_mul_i32 s2, s33, 3
	s_lshl_b32 s3, s33, 1
	s_mov_b32 s6, 0
	s_mov_b32 s7, 0x43600000
	s_branch .LBB55_63
.LBB55_58:                              ;   in Loop: Header=BB55_63 Depth=1
	s_or_b32 exec_lo, exec_lo, s16
.LBB55_59:                              ;   in Loop: Header=BB55_63 Depth=1
	s_delay_alu instid0(SALU_CYCLE_1)
	s_or_b32 exec_lo, exec_lo, s14
	v_lshlrev_b64 v[4:5], 2, v[0:1]
	v_lshlrev_b32_e32 v10, 16, v11
	v_lshlrev_b32_e32 v9, 8, v9
	s_add_i32 s14, s33, s33
	v_and_b32_e32 v6, 0xff, v6
	v_add3_u32 v0, s14, s33, v2
	v_perm_b32 v10, v3, v10, 0x4020c0c
	v_and_b32_e32 v9, 0xff00, v9
	v_add_co_u32 v2, vcc_lo, s0, v4
	v_add_co_ci_u32_e32 v3, vcc_lo, s1, v5, vcc_lo
	v_cmp_le_u32_e32 vcc_lo, s8, v0
	s_delay_alu instid0(VALU_DEP_4)
	v_or3_b32 v4, v10, v9, v6
	s_or_not1_b32 s14, vcc_lo, exec_lo
	global_store_b32 v[2:3], v4, off
.LBB55_60:                              ;   in Loop: Header=BB55_63 Depth=1
	s_or_b32 exec_lo, exec_lo, s13
	s_delay_alu instid0(SALU_CYCLE_1)
	s_or_not1_b32 s13, s14, exec_lo
.LBB55_61:                              ;   in Loop: Header=BB55_63 Depth=1
	s_or_b32 exec_lo, exec_lo, s12
	s_delay_alu instid0(SALU_CYCLE_1)
	s_or_not1_b32 s12, s13, exec_lo
.LBB55_62:                              ;   in Loop: Header=BB55_63 Depth=1
	s_or_b32 exec_lo, exec_lo, s9
	s_delay_alu instid0(SALU_CYCLE_1) | instskip(NEXT) | instid1(SALU_CYCLE_1)
	s_and_b32 s9, exec_lo, s12
	s_or_b32 s6, s9, s6
	s_delay_alu instid0(SALU_CYCLE_1)
	s_and_not1_b32 exec_lo, exec_lo, s6
	s_cbranch_execz .LBB55_193
.LBB55_63:                              ; =>This Inner Loop Header: Depth=1
	v_lshlrev_b64 v[2:3], 3, v[0:1]
	v_bfe_u32 v6, v0, 4, 26
	s_mov_b32 s9, exec_lo
	s_delay_alu instid0(VALU_DEP_1) | instskip(NEXT) | instid1(VALU_DEP_3)
	v_mad_u64_u32 v[4:5], null, v7, v6, 0
	v_add_co_u32 v9, vcc_lo, s28, v2
	s_delay_alu instid0(VALU_DEP_4)
	v_add_co_ci_u32_e32 v10, vcc_lo, s29, v3, vcc_lo
	v_add_co_u32 v14, vcc_lo, s30, v2
	v_add_co_ci_u32_e32 v15, vcc_lo, s31, v3, vcc_lo
	v_mad_u64_u32 v[11:12], null, v8, v6, v[5:6]
	global_load_b64 v[9:10], v[9:10], off
	global_load_b64 v[12:13], v[14:15], off
	v_add_co_u32 v2, vcc_lo, s10, v2
	v_add_co_ci_u32_e32 v3, vcc_lo, s11, v3, vcc_lo
	v_mov_b32_e32 v5, v11
	global_load_b64 v[2:3], v[2:3], off
	v_lshlrev_b64 v[4:5], 2, v[4:5]
	s_delay_alu instid0(VALU_DEP_1) | instskip(NEXT) | instid1(VALU_DEP_2)
	v_add_co_u32 v4, vcc_lo, s4, v4
	v_add_co_ci_u32_e32 v5, vcc_lo, s5, v5, vcc_lo
	global_load_b32 v4, v[4:5], off
	s_waitcnt vmcnt(3)
	v_cvt_f32_f16_e32 v5, v9
	s_waitcnt vmcnt(2)
	v_cvt_f32_f16_e32 v6, v12
	v_lshrrev_b32_e32 v9, 16, v9
	v_lshrrev_b32_e32 v12, 16, v12
	s_delay_alu instid0(VALU_DEP_3) | instskip(NEXT) | instid1(VALU_DEP_2)
	v_add_f32_e32 v5, v5, v6
	v_cvt_f32_f16_e32 v12, v12
	s_delay_alu instid0(VALU_DEP_2) | instskip(SKIP_1) | instid1(VALU_DEP_1)
	v_fma_mixlo_f16 v6, v28, v5, 0
	s_waitcnt vmcnt(1)
	v_mul_f16_e32 v6, v2, v6
	s_delay_alu instid0(VALU_DEP_1) | instskip(SKIP_1) | instid1(VALU_DEP_1)
	v_cvt_f32_f16_e32 v6, v6
	s_waitcnt vmcnt(0)
	v_div_scale_f32 v11, null, v4, v4, v6
	v_div_scale_f32 v18, vcc_lo, v6, v4, v6
	s_delay_alu instid0(VALU_DEP_2) | instskip(SKIP_2) | instid1(VALU_DEP_1)
	v_rcp_f32_e32 v16, v11
	s_waitcnt_depctr 0xfff
	v_fma_f32 v17, -v11, v16, 1.0
	v_fmac_f32_e32 v16, v17, v16
	s_delay_alu instid0(VALU_DEP_1) | instskip(NEXT) | instid1(VALU_DEP_1)
	v_mul_f32_e32 v17, v18, v16
	v_fma_f32 v19, -v11, v17, v18
	s_delay_alu instid0(VALU_DEP_1) | instskip(SKIP_2) | instid1(VALU_DEP_3)
	v_fmac_f32_e32 v17, v19, v16
	v_lshrrev_b32_e32 v19, 16, v10
	v_cvt_f32_f16_e32 v10, v10
	v_fma_f32 v11, -v11, v17, v18
	v_lshrrev_b32_e32 v18, 16, v13
	v_cvt_f32_f16_e32 v13, v13
	s_delay_alu instid0(VALU_DEP_3)
	v_div_fmas_f32 v11, v11, v16, v17
	v_cvt_f32_f16_e32 v16, v9
	v_cvt_f32_f16_e32 v9, v19
	;; [unrolled: 1-line block ×3, first 2 shown]
	v_add_f32_e32 v10, v10, v13
	v_div_fixup_f32 v6, v11, v4, v6
	v_add_f32_e32 v11, v16, v12
	s_delay_alu instid0(VALU_DEP_4) | instskip(NEXT) | instid1(VALU_DEP_4)
	v_add_f32_e32 v9, v9, v17
	v_cvt_f16_f32_e32 v16, v10
	s_delay_alu instid0(VALU_DEP_4)
	v_minmax_f32 v12, v6, s7, 0xc3600000
	v_cvt_f16_f32_e32 v6, v5
	v_cvt_f16_f32_e32 v18, v11
	;; [unrolled: 1-line block ×3, first 2 shown]
	v_mov_b32_e32 v5, 0x80
	v_and_b32_e32 v13, 0x7fffffff, v12
	s_delay_alu instid0(VALU_DEP_3)
	v_pack_b32_f16 v17, v16, v17
	v_pack_b32_f16 v16, v6, v18
	v_mov_b32_e32 v6, 0x80
	global_store_b64 v[14:15], v[16:17], off
	v_cmpx_gt_u32_e32 0x43800000, v13
	s_cbranch_execz .LBB55_69
; %bb.64:                               ;   in Loop: Header=BB55_63 Depth=1
	v_cmp_lt_u32_e32 vcc_lo, 0x3bffffff, v13
	s_mov_b32 s12, 0
                                        ; implicit-def: $vgpr13
	s_and_saveexec_b32 s13, vcc_lo
	s_delay_alu instid0(SALU_CYCLE_1)
	s_xor_b32 s13, exec_lo, s13
	s_cbranch_execnz .LBB55_160
; %bb.65:                               ;   in Loop: Header=BB55_63 Depth=1
	s_or_saveexec_b32 s13, s13
                                        ; implicit-def: $sgpr14
	s_delay_alu instid0(SALU_CYCLE_1)
	s_xor_b32 exec_lo, exec_lo, s13
	s_cbranch_execnz .LBB55_161
.LBB55_66:                              ;   in Loop: Header=BB55_63 Depth=1
	s_or_b32 exec_lo, exec_lo, s13
	v_mov_b32_e32 v6, s14
	s_and_saveexec_b32 s13, s12
.LBB55_67:                              ;   in Loop: Header=BB55_63 Depth=1
	v_lshrrev_b32_e32 v6, 24, v12
	s_delay_alu instid0(VALU_DEP_1)
	v_and_or_b32 v6, 0x80, v6, v13
.LBB55_68:                              ;   in Loop: Header=BB55_63 Depth=1
	s_or_b32 exec_lo, exec_lo, s13
.LBB55_69:                              ;   in Loop: Header=BB55_63 Depth=1
	s_delay_alu instid0(SALU_CYCLE_1) | instskip(SKIP_3) | instid1(VALU_DEP_1)
	s_or_b32 exec_lo, exec_lo, s9
	v_lshrrev_b32_e32 v2, 16, v2
	v_fma_mixlo_f16 v11, v28, v11, 0
	s_mov_b32 s9, exec_lo
	v_mul_f16_e32 v2, v2, v11
	s_delay_alu instid0(VALU_DEP_1) | instskip(NEXT) | instid1(VALU_DEP_1)
	v_cvt_f32_f16_e32 v2, v2
	v_div_scale_f32 v11, null, v4, v4, v2
	s_delay_alu instid0(VALU_DEP_1) | instskip(SKIP_2) | instid1(VALU_DEP_1)
	v_rcp_f32_e32 v12, v11
	s_waitcnt_depctr 0xfff
	v_fma_f32 v13, -v11, v12, 1.0
	v_fmac_f32_e32 v12, v13, v12
	v_div_scale_f32 v13, vcc_lo, v2, v4, v2
	s_delay_alu instid0(VALU_DEP_1) | instskip(NEXT) | instid1(VALU_DEP_1)
	v_mul_f32_e32 v14, v13, v12
	v_fma_f32 v15, -v11, v14, v13
	s_delay_alu instid0(VALU_DEP_1) | instskip(NEXT) | instid1(VALU_DEP_1)
	v_fmac_f32_e32 v14, v15, v12
	v_fma_f32 v11, -v11, v14, v13
	s_delay_alu instid0(VALU_DEP_1) | instskip(NEXT) | instid1(VALU_DEP_1)
	v_div_fmas_f32 v11, v11, v12, v14
	v_div_fixup_f32 v2, v11, v4, v2
	s_delay_alu instid0(VALU_DEP_1) | instskip(NEXT) | instid1(VALU_DEP_1)
	v_minmax_f32 v2, v2, s7, 0xc3600000
	v_and_b32_e32 v11, 0x7fffffff, v2
	s_delay_alu instid0(VALU_DEP_1)
	v_cmpx_gt_u32_e32 0x43800000, v11
	s_cbranch_execz .LBB55_75
; %bb.70:                               ;   in Loop: Header=BB55_63 Depth=1
	v_cmp_lt_u32_e32 vcc_lo, 0x3bffffff, v11
	s_mov_b32 s12, 0
                                        ; implicit-def: $vgpr11
	s_and_saveexec_b32 s13, vcc_lo
	s_delay_alu instid0(SALU_CYCLE_1)
	s_xor_b32 s13, exec_lo, s13
	s_cbranch_execnz .LBB55_162
; %bb.71:                               ;   in Loop: Header=BB55_63 Depth=1
	s_or_saveexec_b32 s13, s13
                                        ; implicit-def: $sgpr14
	s_delay_alu instid0(SALU_CYCLE_1)
	s_xor_b32 exec_lo, exec_lo, s13
	s_cbranch_execnz .LBB55_163
.LBB55_72:                              ;   in Loop: Header=BB55_63 Depth=1
	s_or_b32 exec_lo, exec_lo, s13
	v_mov_b32_e32 v5, s14
	s_and_saveexec_b32 s13, s12
.LBB55_73:                              ;   in Loop: Header=BB55_63 Depth=1
	v_lshrrev_b32_e32 v2, 24, v2
	s_delay_alu instid0(VALU_DEP_1)
	v_and_or_b32 v5, 0x80, v2, v11
.LBB55_74:                              ;   in Loop: Header=BB55_63 Depth=1
	s_or_b32 exec_lo, exec_lo, s13
.LBB55_75:                              ;   in Loop: Header=BB55_63 Depth=1
	s_delay_alu instid0(SALU_CYCLE_1) | instskip(SKIP_2) | instid1(VALU_DEP_1)
	s_or_b32 exec_lo, exec_lo, s9
	v_fma_mixlo_f16 v2, v28, v10, 0
	s_mov_b32 s9, exec_lo
	v_mul_f16_e32 v2, v3, v2
	s_delay_alu instid0(VALU_DEP_1) | instskip(NEXT) | instid1(VALU_DEP_1)
	v_cvt_f32_f16_e32 v2, v2
	v_div_scale_f32 v10, null, v4, v4, v2
	v_div_scale_f32 v13, vcc_lo, v2, v4, v2
	s_delay_alu instid0(VALU_DEP_2) | instskip(SKIP_2) | instid1(VALU_DEP_1)
	v_rcp_f32_e32 v11, v10
	s_waitcnt_depctr 0xfff
	v_fma_f32 v12, -v10, v11, 1.0
	v_fmac_f32_e32 v11, v12, v11
	s_delay_alu instid0(VALU_DEP_1) | instskip(NEXT) | instid1(VALU_DEP_1)
	v_mul_f32_e32 v12, v13, v11
	v_fma_f32 v14, -v10, v12, v13
	s_delay_alu instid0(VALU_DEP_1) | instskip(NEXT) | instid1(VALU_DEP_1)
	v_fmac_f32_e32 v12, v14, v11
	v_fma_f32 v10, -v10, v12, v13
	s_delay_alu instid0(VALU_DEP_1) | instskip(NEXT) | instid1(VALU_DEP_1)
	v_div_fmas_f32 v10, v10, v11, v12
	v_div_fixup_f32 v2, v10, v4, v2
	v_mov_b32_e32 v10, 0x80
	s_delay_alu instid0(VALU_DEP_2) | instskip(SKIP_1) | instid1(VALU_DEP_2)
	v_minmax_f32 v11, v2, s7, 0xc3600000
	v_mov_b32_e32 v2, 0x80
	v_and_b32_e32 v12, 0x7fffffff, v11
	s_delay_alu instid0(VALU_DEP_1)
	v_cmpx_gt_u32_e32 0x43800000, v12
	s_cbranch_execz .LBB55_81
; %bb.76:                               ;   in Loop: Header=BB55_63 Depth=1
	v_cmp_lt_u32_e32 vcc_lo, 0x3bffffff, v12
	s_mov_b32 s12, 0
                                        ; implicit-def: $vgpr12
	s_and_saveexec_b32 s13, vcc_lo
	s_delay_alu instid0(SALU_CYCLE_1)
	s_xor_b32 s13, exec_lo, s13
	s_cbranch_execnz .LBB55_164
; %bb.77:                               ;   in Loop: Header=BB55_63 Depth=1
	s_or_saveexec_b32 s13, s13
                                        ; implicit-def: $sgpr14
	s_delay_alu instid0(SALU_CYCLE_1)
	s_xor_b32 exec_lo, exec_lo, s13
	s_cbranch_execnz .LBB55_165
.LBB55_78:                              ;   in Loop: Header=BB55_63 Depth=1
	s_or_b32 exec_lo, exec_lo, s13
	v_mov_b32_e32 v10, s14
	s_and_saveexec_b32 s13, s12
.LBB55_79:                              ;   in Loop: Header=BB55_63 Depth=1
	v_lshrrev_b32_e32 v10, 24, v11
	s_delay_alu instid0(VALU_DEP_1)
	v_and_or_b32 v10, 0x80, v10, v12
.LBB55_80:                              ;   in Loop: Header=BB55_63 Depth=1
	s_or_b32 exec_lo, exec_lo, s13
.LBB55_81:                              ;   in Loop: Header=BB55_63 Depth=1
	s_delay_alu instid0(SALU_CYCLE_1) | instskip(SKIP_3) | instid1(VALU_DEP_1)
	s_or_b32 exec_lo, exec_lo, s9
	v_lshrrev_b32_e32 v3, 16, v3
	v_fma_mixlo_f16 v9, v28, v9, 0
	s_mov_b32 s9, exec_lo
	v_mul_f16_e32 v3, v3, v9
	s_delay_alu instid0(VALU_DEP_1) | instskip(NEXT) | instid1(VALU_DEP_1)
	v_cvt_f32_f16_e32 v3, v3
	v_div_scale_f32 v9, null, v4, v4, v3
	s_delay_alu instid0(VALU_DEP_1) | instskip(SKIP_2) | instid1(VALU_DEP_1)
	v_rcp_f32_e32 v11, v9
	s_waitcnt_depctr 0xfff
	v_fma_f32 v12, -v9, v11, 1.0
	v_fmac_f32_e32 v11, v12, v11
	v_div_scale_f32 v12, vcc_lo, v3, v4, v3
	s_delay_alu instid0(VALU_DEP_1) | instskip(NEXT) | instid1(VALU_DEP_1)
	v_mul_f32_e32 v13, v12, v11
	v_fma_f32 v14, -v9, v13, v12
	s_delay_alu instid0(VALU_DEP_1) | instskip(NEXT) | instid1(VALU_DEP_1)
	v_fmac_f32_e32 v13, v14, v11
	v_fma_f32 v9, -v9, v13, v12
	s_delay_alu instid0(VALU_DEP_1) | instskip(NEXT) | instid1(VALU_DEP_1)
	v_div_fmas_f32 v9, v9, v11, v13
	v_div_fixup_f32 v3, v9, v4, v3
	s_delay_alu instid0(VALU_DEP_1) | instskip(NEXT) | instid1(VALU_DEP_1)
	v_minmax_f32 v3, v3, s7, 0xc3600000
	v_and_b32_e32 v4, 0x7fffffff, v3
	s_delay_alu instid0(VALU_DEP_1)
	v_cmpx_gt_u32_e32 0x43800000, v4
	s_cbranch_execz .LBB55_87
; %bb.82:                               ;   in Loop: Header=BB55_63 Depth=1
	v_cmp_lt_u32_e32 vcc_lo, 0x3bffffff, v4
	s_mov_b32 s12, 0
                                        ; implicit-def: $vgpr4
	s_and_saveexec_b32 s13, vcc_lo
	s_delay_alu instid0(SALU_CYCLE_1)
	s_xor_b32 s13, exec_lo, s13
	s_cbranch_execnz .LBB55_166
; %bb.83:                               ;   in Loop: Header=BB55_63 Depth=1
	s_or_saveexec_b32 s13, s13
                                        ; implicit-def: $sgpr14
	s_delay_alu instid0(SALU_CYCLE_1)
	s_xor_b32 exec_lo, exec_lo, s13
	s_cbranch_execnz .LBB55_167
.LBB55_84:                              ;   in Loop: Header=BB55_63 Depth=1
	s_or_b32 exec_lo, exec_lo, s13
	v_mov_b32_e32 v2, s14
	s_and_saveexec_b32 s13, s12
.LBB55_85:                              ;   in Loop: Header=BB55_63 Depth=1
	v_lshrrev_b32_e32 v2, 24, v3
	s_delay_alu instid0(VALU_DEP_1)
	v_and_or_b32 v2, 0x80, v2, v4
.LBB55_86:                              ;   in Loop: Header=BB55_63 Depth=1
	s_or_b32 exec_lo, exec_lo, s13
.LBB55_87:                              ;   in Loop: Header=BB55_63 Depth=1
	s_delay_alu instid0(SALU_CYCLE_1)
	s_or_b32 exec_lo, exec_lo, s9
	v_lshlrev_b32_e32 v9, 16, v10
	v_lshlrev_b32_e32 v5, 8, v5
	v_lshlrev_b64 v[3:4], 2, v[0:1]
	v_and_b32_e32 v6, 0xff, v6
	s_mov_b32 s12, -1
	v_perm_b32 v9, v2, v9, 0x4020c0c
	v_and_b32_e32 v5, 0xff00, v5
	v_add_nc_u32_e32 v2, s33, v0
	v_add_co_u32 v3, vcc_lo, s0, v3
	v_add_co_ci_u32_e32 v4, vcc_lo, s1, v4, vcc_lo
	s_delay_alu instid0(VALU_DEP_4)
	v_or3_b32 v5, v9, v5, v6
	s_mov_b32 s9, exec_lo
	global_store_b32 v[3:4], v5, off
	v_cmpx_gt_u32_e64 s8, v2
	s_cbranch_execz .LBB55_62
; %bb.88:                               ;   in Loop: Header=BB55_63 Depth=1
	v_bfe_u32 v15, v2, 4, 26
	s_mov_b32 s12, exec_lo
	s_delay_alu instid0(VALU_DEP_1) | instskip(NEXT) | instid1(VALU_DEP_1)
	v_mad_u64_u32 v[9:10], null, v7, v15, 0
	v_dual_mov_b32 v3, v1 :: v_dual_mov_b32 v6, v10
	s_delay_alu instid0(VALU_DEP_1) | instskip(NEXT) | instid1(VALU_DEP_2)
	v_lshlrev_b64 v[4:5], 3, v[2:3]
	v_mad_u64_u32 v[13:14], null, v8, v15, v[6:7]
	s_delay_alu instid0(VALU_DEP_2) | instskip(NEXT) | instid1(VALU_DEP_3)
	v_add_co_u32 v11, vcc_lo, s28, v4
	v_add_co_ci_u32_e32 v12, vcc_lo, s29, v5, vcc_lo
	v_add_co_u32 v16, vcc_lo, s30, v4
	v_add_co_ci_u32_e32 v17, vcc_lo, s31, v5, vcc_lo
	global_load_b64 v[11:12], v[11:12], off
	global_load_b64 v[14:15], v[16:17], off
	v_mov_b32_e32 v10, v13
	v_add_co_u32 v4, vcc_lo, s10, v4
	v_add_co_ci_u32_e32 v5, vcc_lo, s11, v5, vcc_lo
	s_delay_alu instid0(VALU_DEP_3)
	v_lshlrev_b64 v[9:10], 2, v[9:10]
	global_load_b64 v[4:5], v[4:5], off
	v_add_co_u32 v9, vcc_lo, s4, v9
	v_add_co_ci_u32_e32 v10, vcc_lo, s5, v10, vcc_lo
	global_load_b32 v6, v[9:10], off
	s_waitcnt vmcnt(3)
	v_cvt_f32_f16_e32 v9, v11
	s_waitcnt vmcnt(2)
	v_cvt_f32_f16_e32 v10, v14
	v_lshrrev_b32_e32 v11, 16, v11
	v_lshrrev_b32_e32 v14, 16, v14
	s_delay_alu instid0(VALU_DEP_3) | instskip(NEXT) | instid1(VALU_DEP_2)
	v_add_f32_e32 v9, v9, v10
	v_cvt_f32_f16_e32 v14, v14
	s_delay_alu instid0(VALU_DEP_2) | instskip(SKIP_1) | instid1(VALU_DEP_1)
	v_fma_mixlo_f16 v10, v28, v9, 0
	s_waitcnt vmcnt(1)
	v_mul_f16_e32 v10, v4, v10
	s_delay_alu instid0(VALU_DEP_1) | instskip(SKIP_1) | instid1(VALU_DEP_1)
	v_cvt_f32_f16_e32 v10, v10
	s_waitcnt vmcnt(0)
	v_div_scale_f32 v13, null, v6, v6, v10
	v_div_scale_f32 v20, vcc_lo, v10, v6, v10
	s_delay_alu instid0(VALU_DEP_2) | instskip(SKIP_2) | instid1(VALU_DEP_1)
	v_rcp_f32_e32 v18, v13
	s_waitcnt_depctr 0xfff
	v_fma_f32 v19, -v13, v18, 1.0
	v_fmac_f32_e32 v18, v19, v18
	s_delay_alu instid0(VALU_DEP_1) | instskip(NEXT) | instid1(VALU_DEP_1)
	v_mul_f32_e32 v19, v20, v18
	v_fma_f32 v21, -v13, v19, v20
	s_delay_alu instid0(VALU_DEP_1) | instskip(SKIP_2) | instid1(VALU_DEP_3)
	v_fmac_f32_e32 v19, v21, v18
	v_lshrrev_b32_e32 v21, 16, v12
	v_cvt_f32_f16_e32 v12, v12
	v_fma_f32 v13, -v13, v19, v20
	v_lshrrev_b32_e32 v20, 16, v15
	v_cvt_f32_f16_e32 v15, v15
	s_delay_alu instid0(VALU_DEP_3)
	v_div_fmas_f32 v13, v13, v18, v19
	v_cvt_f32_f16_e32 v18, v11
	v_cvt_f32_f16_e32 v11, v21
	;; [unrolled: 1-line block ×3, first 2 shown]
	v_add_f32_e32 v12, v12, v15
	v_div_fixup_f32 v10, v13, v6, v10
	v_add_f32_e32 v13, v18, v14
	s_delay_alu instid0(VALU_DEP_4) | instskip(NEXT) | instid1(VALU_DEP_4)
	v_add_f32_e32 v11, v11, v19
	v_cvt_f16_f32_e32 v18, v12
	s_delay_alu instid0(VALU_DEP_4)
	v_minmax_f32 v14, v10, s7, 0xc3600000
	v_cvt_f16_f32_e32 v10, v9
	v_cvt_f16_f32_e32 v20, v13
	;; [unrolled: 1-line block ×3, first 2 shown]
	v_mov_b32_e32 v9, 0x80
	v_and_b32_e32 v15, 0x7fffffff, v14
	s_delay_alu instid0(VALU_DEP_3)
	v_pack_b32_f16 v19, v18, v19
	v_pack_b32_f16 v18, v10, v20
	v_mov_b32_e32 v10, 0x80
	global_store_b64 v[16:17], v[18:19], off
	v_cmpx_gt_u32_e32 0x43800000, v15
	s_cbranch_execz .LBB55_94
; %bb.89:                               ;   in Loop: Header=BB55_63 Depth=1
	v_cmp_lt_u32_e32 vcc_lo, 0x3bffffff, v15
	s_mov_b32 s13, 0
                                        ; implicit-def: $vgpr15
	s_and_saveexec_b32 s14, vcc_lo
	s_delay_alu instid0(SALU_CYCLE_1)
	s_xor_b32 s14, exec_lo, s14
	s_cbranch_execnz .LBB55_168
; %bb.90:                               ;   in Loop: Header=BB55_63 Depth=1
	s_or_saveexec_b32 s14, s14
                                        ; implicit-def: $sgpr15
	s_delay_alu instid0(SALU_CYCLE_1)
	s_xor_b32 exec_lo, exec_lo, s14
	s_cbranch_execnz .LBB55_169
.LBB55_91:                              ;   in Loop: Header=BB55_63 Depth=1
	s_or_b32 exec_lo, exec_lo, s14
	v_mov_b32_e32 v10, s15
	s_and_saveexec_b32 s14, s13
.LBB55_92:                              ;   in Loop: Header=BB55_63 Depth=1
	v_lshrrev_b32_e32 v10, 24, v14
	s_delay_alu instid0(VALU_DEP_1)
	v_and_or_b32 v10, 0x80, v10, v15
.LBB55_93:                              ;   in Loop: Header=BB55_63 Depth=1
	s_or_b32 exec_lo, exec_lo, s14
.LBB55_94:                              ;   in Loop: Header=BB55_63 Depth=1
	s_delay_alu instid0(SALU_CYCLE_1) | instskip(SKIP_3) | instid1(VALU_DEP_1)
	s_or_b32 exec_lo, exec_lo, s12
	v_lshrrev_b32_e32 v4, 16, v4
	v_fma_mixlo_f16 v13, v28, v13, 0
	s_mov_b32 s12, exec_lo
	v_mul_f16_e32 v4, v4, v13
	s_delay_alu instid0(VALU_DEP_1) | instskip(NEXT) | instid1(VALU_DEP_1)
	v_cvt_f32_f16_e32 v4, v4
	v_div_scale_f32 v13, null, v6, v6, v4
	s_delay_alu instid0(VALU_DEP_1) | instskip(SKIP_2) | instid1(VALU_DEP_1)
	v_rcp_f32_e32 v14, v13
	s_waitcnt_depctr 0xfff
	v_fma_f32 v15, -v13, v14, 1.0
	v_fmac_f32_e32 v14, v15, v14
	v_div_scale_f32 v15, vcc_lo, v4, v6, v4
	s_delay_alu instid0(VALU_DEP_1) | instskip(NEXT) | instid1(VALU_DEP_1)
	v_mul_f32_e32 v16, v15, v14
	v_fma_f32 v17, -v13, v16, v15
	s_delay_alu instid0(VALU_DEP_1) | instskip(NEXT) | instid1(VALU_DEP_1)
	v_fmac_f32_e32 v16, v17, v14
	v_fma_f32 v13, -v13, v16, v15
	s_delay_alu instid0(VALU_DEP_1) | instskip(NEXT) | instid1(VALU_DEP_1)
	v_div_fmas_f32 v13, v13, v14, v16
	v_div_fixup_f32 v4, v13, v6, v4
	s_delay_alu instid0(VALU_DEP_1) | instskip(NEXT) | instid1(VALU_DEP_1)
	v_minmax_f32 v4, v4, s7, 0xc3600000
	v_and_b32_e32 v13, 0x7fffffff, v4
	s_delay_alu instid0(VALU_DEP_1)
	v_cmpx_gt_u32_e32 0x43800000, v13
	s_cbranch_execz .LBB55_100
; %bb.95:                               ;   in Loop: Header=BB55_63 Depth=1
	v_cmp_lt_u32_e32 vcc_lo, 0x3bffffff, v13
	s_mov_b32 s13, 0
                                        ; implicit-def: $vgpr13
	s_and_saveexec_b32 s14, vcc_lo
	s_delay_alu instid0(SALU_CYCLE_1)
	s_xor_b32 s14, exec_lo, s14
	s_cbranch_execnz .LBB55_170
; %bb.96:                               ;   in Loop: Header=BB55_63 Depth=1
	s_or_saveexec_b32 s14, s14
                                        ; implicit-def: $sgpr15
	s_delay_alu instid0(SALU_CYCLE_1)
	s_xor_b32 exec_lo, exec_lo, s14
	s_cbranch_execnz .LBB55_171
.LBB55_97:                              ;   in Loop: Header=BB55_63 Depth=1
	s_or_b32 exec_lo, exec_lo, s14
	v_mov_b32_e32 v9, s15
	s_and_saveexec_b32 s14, s13
.LBB55_98:                              ;   in Loop: Header=BB55_63 Depth=1
	v_lshrrev_b32_e32 v4, 24, v4
	s_delay_alu instid0(VALU_DEP_1)
	v_and_or_b32 v9, 0x80, v4, v13
.LBB55_99:                              ;   in Loop: Header=BB55_63 Depth=1
	s_or_b32 exec_lo, exec_lo, s14
.LBB55_100:                             ;   in Loop: Header=BB55_63 Depth=1
	s_delay_alu instid0(SALU_CYCLE_1) | instskip(SKIP_2) | instid1(VALU_DEP_1)
	s_or_b32 exec_lo, exec_lo, s12
	v_fma_mixlo_f16 v4, v28, v12, 0
	s_mov_b32 s12, exec_lo
	v_mul_f16_e32 v4, v5, v4
	s_delay_alu instid0(VALU_DEP_1) | instskip(NEXT) | instid1(VALU_DEP_1)
	v_cvt_f32_f16_e32 v4, v4
	v_div_scale_f32 v12, null, v6, v6, v4
	v_div_scale_f32 v15, vcc_lo, v4, v6, v4
	s_delay_alu instid0(VALU_DEP_2) | instskip(SKIP_2) | instid1(VALU_DEP_1)
	v_rcp_f32_e32 v13, v12
	s_waitcnt_depctr 0xfff
	v_fma_f32 v14, -v12, v13, 1.0
	v_fmac_f32_e32 v13, v14, v13
	s_delay_alu instid0(VALU_DEP_1) | instskip(NEXT) | instid1(VALU_DEP_1)
	v_mul_f32_e32 v14, v15, v13
	v_fma_f32 v16, -v12, v14, v15
	s_delay_alu instid0(VALU_DEP_1) | instskip(NEXT) | instid1(VALU_DEP_1)
	v_fmac_f32_e32 v14, v16, v13
	v_fma_f32 v12, -v12, v14, v15
	s_delay_alu instid0(VALU_DEP_1) | instskip(NEXT) | instid1(VALU_DEP_1)
	v_div_fmas_f32 v12, v12, v13, v14
	v_div_fixup_f32 v4, v12, v6, v4
	v_mov_b32_e32 v12, 0x80
	s_delay_alu instid0(VALU_DEP_2) | instskip(SKIP_1) | instid1(VALU_DEP_2)
	v_minmax_f32 v13, v4, s7, 0xc3600000
	v_mov_b32_e32 v4, 0x80
	v_and_b32_e32 v14, 0x7fffffff, v13
	s_delay_alu instid0(VALU_DEP_1)
	v_cmpx_gt_u32_e32 0x43800000, v14
	s_cbranch_execz .LBB55_106
; %bb.101:                              ;   in Loop: Header=BB55_63 Depth=1
	v_cmp_lt_u32_e32 vcc_lo, 0x3bffffff, v14
	s_mov_b32 s13, 0
                                        ; implicit-def: $vgpr14
	s_and_saveexec_b32 s14, vcc_lo
	s_delay_alu instid0(SALU_CYCLE_1)
	s_xor_b32 s14, exec_lo, s14
	s_cbranch_execnz .LBB55_172
; %bb.102:                              ;   in Loop: Header=BB55_63 Depth=1
	s_or_saveexec_b32 s14, s14
                                        ; implicit-def: $sgpr15
	s_delay_alu instid0(SALU_CYCLE_1)
	s_xor_b32 exec_lo, exec_lo, s14
	s_cbranch_execnz .LBB55_173
.LBB55_103:                             ;   in Loop: Header=BB55_63 Depth=1
	s_or_b32 exec_lo, exec_lo, s14
	v_mov_b32_e32 v12, s15
	s_and_saveexec_b32 s14, s13
.LBB55_104:                             ;   in Loop: Header=BB55_63 Depth=1
	v_lshrrev_b32_e32 v12, 24, v13
	s_delay_alu instid0(VALU_DEP_1)
	v_and_or_b32 v12, 0x80, v12, v14
.LBB55_105:                             ;   in Loop: Header=BB55_63 Depth=1
	s_or_b32 exec_lo, exec_lo, s14
.LBB55_106:                             ;   in Loop: Header=BB55_63 Depth=1
	s_delay_alu instid0(SALU_CYCLE_1) | instskip(SKIP_3) | instid1(VALU_DEP_1)
	s_or_b32 exec_lo, exec_lo, s12
	v_lshrrev_b32_e32 v5, 16, v5
	v_fma_mixlo_f16 v11, v28, v11, 0
	s_mov_b32 s12, exec_lo
	v_mul_f16_e32 v5, v5, v11
	s_delay_alu instid0(VALU_DEP_1) | instskip(NEXT) | instid1(VALU_DEP_1)
	v_cvt_f32_f16_e32 v5, v5
	v_div_scale_f32 v11, null, v6, v6, v5
	s_delay_alu instid0(VALU_DEP_1) | instskip(SKIP_2) | instid1(VALU_DEP_1)
	v_rcp_f32_e32 v13, v11
	s_waitcnt_depctr 0xfff
	v_fma_f32 v14, -v11, v13, 1.0
	v_fmac_f32_e32 v13, v14, v13
	v_div_scale_f32 v14, vcc_lo, v5, v6, v5
	s_delay_alu instid0(VALU_DEP_1) | instskip(NEXT) | instid1(VALU_DEP_1)
	v_mul_f32_e32 v15, v14, v13
	v_fma_f32 v16, -v11, v15, v14
	s_delay_alu instid0(VALU_DEP_1) | instskip(NEXT) | instid1(VALU_DEP_1)
	v_fmac_f32_e32 v15, v16, v13
	v_fma_f32 v11, -v11, v15, v14
	s_delay_alu instid0(VALU_DEP_1) | instskip(NEXT) | instid1(VALU_DEP_1)
	v_div_fmas_f32 v11, v11, v13, v15
	v_div_fixup_f32 v5, v11, v6, v5
	s_delay_alu instid0(VALU_DEP_1) | instskip(NEXT) | instid1(VALU_DEP_1)
	v_minmax_f32 v5, v5, s7, 0xc3600000
	v_and_b32_e32 v6, 0x7fffffff, v5
	s_delay_alu instid0(VALU_DEP_1)
	v_cmpx_gt_u32_e32 0x43800000, v6
	s_cbranch_execz .LBB55_112
; %bb.107:                              ;   in Loop: Header=BB55_63 Depth=1
	v_cmp_lt_u32_e32 vcc_lo, 0x3bffffff, v6
	s_mov_b32 s13, 0
                                        ; implicit-def: $vgpr6
	s_and_saveexec_b32 s14, vcc_lo
	s_delay_alu instid0(SALU_CYCLE_1)
	s_xor_b32 s14, exec_lo, s14
	s_cbranch_execnz .LBB55_174
; %bb.108:                              ;   in Loop: Header=BB55_63 Depth=1
	s_or_saveexec_b32 s14, s14
                                        ; implicit-def: $sgpr15
	s_delay_alu instid0(SALU_CYCLE_1)
	s_xor_b32 exec_lo, exec_lo, s14
	s_cbranch_execnz .LBB55_175
.LBB55_109:                             ;   in Loop: Header=BB55_63 Depth=1
	s_or_b32 exec_lo, exec_lo, s14
	v_mov_b32_e32 v4, s15
	s_and_saveexec_b32 s14, s13
.LBB55_110:                             ;   in Loop: Header=BB55_63 Depth=1
	v_lshrrev_b32_e32 v4, 24, v5
	s_delay_alu instid0(VALU_DEP_1)
	v_and_or_b32 v4, 0x80, v4, v6
.LBB55_111:                             ;   in Loop: Header=BB55_63 Depth=1
	s_or_b32 exec_lo, exec_lo, s14
.LBB55_112:                             ;   in Loop: Header=BB55_63 Depth=1
	s_delay_alu instid0(SALU_CYCLE_1)
	s_or_b32 exec_lo, exec_lo, s12
	v_lshlrev_b32_e32 v11, 16, v12
	v_lshlrev_b32_e32 v9, 8, v9
	v_lshlrev_b64 v[5:6], 2, v[2:3]
	v_and_b32_e32 v10, 0xff, v10
	v_add_nc_u32_e32 v3, s3, v0
	v_perm_b32 v11, v4, v11, 0x4020c0c
	v_and_b32_e32 v9, 0xff00, v9
	s_mov_b32 s13, -1
	v_add_co_u32 v4, vcc_lo, s0, v5
	v_add_co_ci_u32_e32 v5, vcc_lo, s1, v6, vcc_lo
	s_delay_alu instid0(VALU_DEP_3)
	v_or3_b32 v6, v11, v9, v10
	s_mov_b32 s12, exec_lo
	global_store_b32 v[4:5], v6, off
	v_cmpx_gt_u32_e64 s8, v3
	s_cbranch_execz .LBB55_61
; %bb.113:                              ;   in Loop: Header=BB55_63 Depth=1
	v_mov_b32_e32 v4, v1
	v_bfe_u32 v15, v3, 4, 26
	s_mov_b32 s13, exec_lo
	s_delay_alu instid0(VALU_DEP_2) | instskip(NEXT) | instid1(VALU_DEP_2)
	v_lshlrev_b64 v[5:6], 3, v[3:4]
	v_mad_u64_u32 v[9:10], null, v7, v15, 0
	s_delay_alu instid0(VALU_DEP_2) | instskip(NEXT) | instid1(VALU_DEP_3)
	v_add_co_u32 v11, vcc_lo, s28, v5
	v_add_co_ci_u32_e32 v12, vcc_lo, s29, v6, vcc_lo
	v_add_co_u32 v17, vcc_lo, s30, v5
	v_add_co_ci_u32_e32 v18, vcc_lo, s31, v6, vcc_lo
	s_delay_alu instid0(VALU_DEP_4)
	v_mad_u64_u32 v[13:14], null, v8, v15, v[10:11]
	global_load_b64 v[11:12], v[11:12], off
	global_load_b64 v[14:15], v[17:18], off
	v_add_co_u32 v5, vcc_lo, s10, v5
	v_add_co_ci_u32_e32 v6, vcc_lo, s11, v6, vcc_lo
	v_mov_b32_e32 v10, v13
	global_load_b64 v[5:6], v[5:6], off
	v_lshlrev_b64 v[9:10], 2, v[9:10]
	s_delay_alu instid0(VALU_DEP_1) | instskip(NEXT) | instid1(VALU_DEP_2)
	v_add_co_u32 v9, vcc_lo, s4, v9
	v_add_co_ci_u32_e32 v10, vcc_lo, s5, v10, vcc_lo
	global_load_b32 v9, v[9:10], off
	s_waitcnt vmcnt(3)
	v_cvt_f32_f16_e32 v10, v11
	s_waitcnt vmcnt(2)
	v_cvt_f32_f16_e32 v13, v14
	v_lshrrev_b32_e32 v11, 16, v11
	v_lshrrev_b32_e32 v14, 16, v14
	s_delay_alu instid0(VALU_DEP_3) | instskip(NEXT) | instid1(VALU_DEP_3)
	v_add_f32_e32 v10, v10, v13
	v_cvt_f32_f16_e32 v11, v11
	s_delay_alu instid0(VALU_DEP_3) | instskip(NEXT) | instid1(VALU_DEP_3)
	v_cvt_f32_f16_e32 v14, v14
	v_fma_mixlo_f16 v13, v28, v10, 0
	s_delay_alu instid0(VALU_DEP_2) | instskip(SKIP_4) | instid1(VALU_DEP_1)
	v_add_f32_e32 v14, v11, v14
	v_cvt_f16_f32_e32 v11, v10
	v_mov_b32_e32 v10, 0x80
	s_waitcnt vmcnt(1)
	v_mul_f16_e32 v13, v5, v13
	v_cvt_f32_f16_e32 v13, v13
	s_waitcnt vmcnt(0)
	s_delay_alu instid0(VALU_DEP_1) | instskip(SKIP_1) | instid1(VALU_DEP_2)
	v_div_scale_f32 v16, null, v9, v9, v13
	v_div_scale_f32 v21, vcc_lo, v13, v9, v13
	v_rcp_f32_e32 v19, v16
	s_waitcnt_depctr 0xfff
	v_fma_f32 v20, -v16, v19, 1.0
	s_delay_alu instid0(VALU_DEP_1) | instskip(NEXT) | instid1(VALU_DEP_1)
	v_fmac_f32_e32 v19, v20, v19
	v_mul_f32_e32 v20, v21, v19
	s_delay_alu instid0(VALU_DEP_1) | instskip(NEXT) | instid1(VALU_DEP_1)
	v_fma_f32 v22, -v16, v20, v21
	v_fmac_f32_e32 v20, v22, v19
	v_lshrrev_b32_e32 v22, 16, v12
	v_cvt_f32_f16_e32 v12, v12
	s_delay_alu instid0(VALU_DEP_3) | instskip(SKIP_2) | instid1(VALU_DEP_3)
	v_fma_f32 v16, -v16, v20, v21
	v_lshrrev_b32_e32 v21, 16, v15
	v_cvt_f32_f16_e32 v15, v15
	v_div_fmas_f32 v16, v16, v19, v20
	v_cvt_f32_f16_e32 v19, v22
	s_delay_alu instid0(VALU_DEP_4) | instskip(SKIP_1) | instid1(VALU_DEP_4)
	v_cvt_f32_f16_e32 v20, v21
	v_cvt_f16_f32_e32 v21, v14
	v_div_fixup_f32 v16, v16, v9, v13
	s_delay_alu instid0(VALU_DEP_3) | instskip(NEXT) | instid1(VALU_DEP_2)
	v_dual_add_f32 v13, v12, v15 :: v_dual_add_f32 v12, v19, v20
	v_minmax_f32 v15, v16, s7, 0xc3600000
	s_delay_alu instid0(VALU_DEP_2) | instskip(NEXT) | instid1(VALU_DEP_3)
	v_cvt_f16_f32_e32 v19, v13
	v_cvt_f16_f32_e32 v20, v12
	s_delay_alu instid0(VALU_DEP_3) | instskip(NEXT) | instid1(VALU_DEP_2)
	v_and_b32_e32 v16, 0x7fffffff, v15
	v_pack_b32_f16 v20, v19, v20
	v_pack_b32_f16 v19, v11, v21
	v_mov_b32_e32 v11, 0x80
	global_store_b64 v[17:18], v[19:20], off
	v_cmpx_gt_u32_e32 0x43800000, v16
	s_cbranch_execz .LBB55_119
; %bb.114:                              ;   in Loop: Header=BB55_63 Depth=1
	v_cmp_lt_u32_e32 vcc_lo, 0x3bffffff, v16
	s_mov_b32 s14, 0
                                        ; implicit-def: $vgpr16
	s_and_saveexec_b32 s15, vcc_lo
	s_delay_alu instid0(SALU_CYCLE_1)
	s_xor_b32 s15, exec_lo, s15
	s_cbranch_execnz .LBB55_176
; %bb.115:                              ;   in Loop: Header=BB55_63 Depth=1
	s_or_saveexec_b32 s15, s15
                                        ; implicit-def: $sgpr16
	s_delay_alu instid0(SALU_CYCLE_1)
	s_xor_b32 exec_lo, exec_lo, s15
	s_cbranch_execnz .LBB55_177
.LBB55_116:                             ;   in Loop: Header=BB55_63 Depth=1
	s_or_b32 exec_lo, exec_lo, s15
	v_mov_b32_e32 v11, s16
	s_and_saveexec_b32 s15, s14
.LBB55_117:                             ;   in Loop: Header=BB55_63 Depth=1
	v_lshrrev_b32_e32 v11, 24, v15
	s_delay_alu instid0(VALU_DEP_1)
	v_and_or_b32 v11, 0x80, v11, v16
.LBB55_118:                             ;   in Loop: Header=BB55_63 Depth=1
	s_or_b32 exec_lo, exec_lo, s15
.LBB55_119:                             ;   in Loop: Header=BB55_63 Depth=1
	s_delay_alu instid0(SALU_CYCLE_1) | instskip(SKIP_3) | instid1(VALU_DEP_1)
	s_or_b32 exec_lo, exec_lo, s13
	v_lshrrev_b32_e32 v5, 16, v5
	v_fma_mixlo_f16 v14, v28, v14, 0
	s_mov_b32 s13, exec_lo
	v_mul_f16_e32 v5, v5, v14
	s_delay_alu instid0(VALU_DEP_1) | instskip(NEXT) | instid1(VALU_DEP_1)
	v_cvt_f32_f16_e32 v5, v5
	v_div_scale_f32 v14, null, v9, v9, v5
	s_delay_alu instid0(VALU_DEP_1) | instskip(SKIP_2) | instid1(VALU_DEP_1)
	v_rcp_f32_e32 v15, v14
	s_waitcnt_depctr 0xfff
	v_fma_f32 v16, -v14, v15, 1.0
	v_fmac_f32_e32 v15, v16, v15
	v_div_scale_f32 v16, vcc_lo, v5, v9, v5
	s_delay_alu instid0(VALU_DEP_1) | instskip(NEXT) | instid1(VALU_DEP_1)
	v_mul_f32_e32 v17, v16, v15
	v_fma_f32 v18, -v14, v17, v16
	s_delay_alu instid0(VALU_DEP_1) | instskip(NEXT) | instid1(VALU_DEP_1)
	v_fmac_f32_e32 v17, v18, v15
	v_fma_f32 v14, -v14, v17, v16
	s_delay_alu instid0(VALU_DEP_1) | instskip(NEXT) | instid1(VALU_DEP_1)
	v_div_fmas_f32 v14, v14, v15, v17
	v_div_fixup_f32 v5, v14, v9, v5
	s_delay_alu instid0(VALU_DEP_1) | instskip(NEXT) | instid1(VALU_DEP_1)
	v_minmax_f32 v5, v5, s7, 0xc3600000
	v_and_b32_e32 v14, 0x7fffffff, v5
	s_delay_alu instid0(VALU_DEP_1)
	v_cmpx_gt_u32_e32 0x43800000, v14
	s_cbranch_execz .LBB55_125
; %bb.120:                              ;   in Loop: Header=BB55_63 Depth=1
	v_cmp_lt_u32_e32 vcc_lo, 0x3bffffff, v14
	s_mov_b32 s14, 0
                                        ; implicit-def: $vgpr14
	s_and_saveexec_b32 s15, vcc_lo
	s_delay_alu instid0(SALU_CYCLE_1)
	s_xor_b32 s15, exec_lo, s15
	s_cbranch_execnz .LBB55_178
; %bb.121:                              ;   in Loop: Header=BB55_63 Depth=1
	s_or_saveexec_b32 s15, s15
                                        ; implicit-def: $sgpr16
	s_delay_alu instid0(SALU_CYCLE_1)
	s_xor_b32 exec_lo, exec_lo, s15
	s_cbranch_execnz .LBB55_179
.LBB55_122:                             ;   in Loop: Header=BB55_63 Depth=1
	s_or_b32 exec_lo, exec_lo, s15
	v_mov_b32_e32 v10, s16
	s_and_saveexec_b32 s15, s14
.LBB55_123:                             ;   in Loop: Header=BB55_63 Depth=1
	v_lshrrev_b32_e32 v5, 24, v5
	s_delay_alu instid0(VALU_DEP_1)
	v_and_or_b32 v10, 0x80, v5, v14
.LBB55_124:                             ;   in Loop: Header=BB55_63 Depth=1
	s_or_b32 exec_lo, exec_lo, s15
.LBB55_125:                             ;   in Loop: Header=BB55_63 Depth=1
	s_delay_alu instid0(SALU_CYCLE_1) | instskip(SKIP_2) | instid1(VALU_DEP_1)
	s_or_b32 exec_lo, exec_lo, s13
	v_fma_mixlo_f16 v5, v28, v13, 0
	s_mov_b32 s13, exec_lo
	v_mul_f16_e32 v5, v6, v5
	s_delay_alu instid0(VALU_DEP_1) | instskip(NEXT) | instid1(VALU_DEP_1)
	v_cvt_f32_f16_e32 v5, v5
	v_div_scale_f32 v13, null, v9, v9, v5
	v_div_scale_f32 v16, vcc_lo, v5, v9, v5
	s_delay_alu instid0(VALU_DEP_2) | instskip(SKIP_2) | instid1(VALU_DEP_1)
	v_rcp_f32_e32 v14, v13
	s_waitcnt_depctr 0xfff
	v_fma_f32 v15, -v13, v14, 1.0
	v_fmac_f32_e32 v14, v15, v14
	s_delay_alu instid0(VALU_DEP_1) | instskip(NEXT) | instid1(VALU_DEP_1)
	v_mul_f32_e32 v15, v16, v14
	v_fma_f32 v17, -v13, v15, v16
	s_delay_alu instid0(VALU_DEP_1) | instskip(NEXT) | instid1(VALU_DEP_1)
	v_fmac_f32_e32 v15, v17, v14
	v_fma_f32 v13, -v13, v15, v16
	s_delay_alu instid0(VALU_DEP_1) | instskip(NEXT) | instid1(VALU_DEP_1)
	v_div_fmas_f32 v13, v13, v14, v15
	v_div_fixup_f32 v5, v13, v9, v5
	v_mov_b32_e32 v13, 0x80
	s_delay_alu instid0(VALU_DEP_2) | instskip(SKIP_1) | instid1(VALU_DEP_2)
	v_minmax_f32 v14, v5, s7, 0xc3600000
	v_mov_b32_e32 v5, 0x80
	v_and_b32_e32 v15, 0x7fffffff, v14
	s_delay_alu instid0(VALU_DEP_1)
	v_cmpx_gt_u32_e32 0x43800000, v15
	s_cbranch_execz .LBB55_131
; %bb.126:                              ;   in Loop: Header=BB55_63 Depth=1
	v_cmp_lt_u32_e32 vcc_lo, 0x3bffffff, v15
	s_mov_b32 s14, 0
                                        ; implicit-def: $vgpr15
	s_and_saveexec_b32 s15, vcc_lo
	s_delay_alu instid0(SALU_CYCLE_1)
	s_xor_b32 s15, exec_lo, s15
	s_cbranch_execnz .LBB55_180
; %bb.127:                              ;   in Loop: Header=BB55_63 Depth=1
	s_or_saveexec_b32 s15, s15
                                        ; implicit-def: $sgpr16
	s_delay_alu instid0(SALU_CYCLE_1)
	s_xor_b32 exec_lo, exec_lo, s15
	s_cbranch_execnz .LBB55_181
.LBB55_128:                             ;   in Loop: Header=BB55_63 Depth=1
	s_or_b32 exec_lo, exec_lo, s15
	v_mov_b32_e32 v13, s16
	s_and_saveexec_b32 s15, s14
.LBB55_129:                             ;   in Loop: Header=BB55_63 Depth=1
	v_lshrrev_b32_e32 v13, 24, v14
	s_delay_alu instid0(VALU_DEP_1)
	v_and_or_b32 v13, 0x80, v13, v15
.LBB55_130:                             ;   in Loop: Header=BB55_63 Depth=1
	s_or_b32 exec_lo, exec_lo, s15
.LBB55_131:                             ;   in Loop: Header=BB55_63 Depth=1
	s_delay_alu instid0(SALU_CYCLE_1) | instskip(SKIP_3) | instid1(VALU_DEP_1)
	s_or_b32 exec_lo, exec_lo, s13
	v_lshrrev_b32_e32 v6, 16, v6
	v_fma_mixlo_f16 v12, v28, v12, 0
	s_mov_b32 s13, exec_lo
	v_mul_f16_e32 v6, v6, v12
	s_delay_alu instid0(VALU_DEP_1) | instskip(NEXT) | instid1(VALU_DEP_1)
	v_cvt_f32_f16_e32 v6, v6
	v_div_scale_f32 v12, null, v9, v9, v6
	s_delay_alu instid0(VALU_DEP_1) | instskip(SKIP_2) | instid1(VALU_DEP_1)
	v_rcp_f32_e32 v14, v12
	s_waitcnt_depctr 0xfff
	v_fma_f32 v15, -v12, v14, 1.0
	v_fmac_f32_e32 v14, v15, v14
	v_div_scale_f32 v15, vcc_lo, v6, v9, v6
	s_delay_alu instid0(VALU_DEP_1) | instskip(NEXT) | instid1(VALU_DEP_1)
	v_mul_f32_e32 v16, v15, v14
	v_fma_f32 v17, -v12, v16, v15
	s_delay_alu instid0(VALU_DEP_1) | instskip(NEXT) | instid1(VALU_DEP_1)
	v_fmac_f32_e32 v16, v17, v14
	v_fma_f32 v12, -v12, v16, v15
	s_delay_alu instid0(VALU_DEP_1) | instskip(NEXT) | instid1(VALU_DEP_1)
	v_div_fmas_f32 v12, v12, v14, v16
	v_div_fixup_f32 v6, v12, v9, v6
	s_delay_alu instid0(VALU_DEP_1) | instskip(NEXT) | instid1(VALU_DEP_1)
	v_minmax_f32 v6, v6, s7, 0xc3600000
	v_and_b32_e32 v9, 0x7fffffff, v6
	s_delay_alu instid0(VALU_DEP_1)
	v_cmpx_gt_u32_e32 0x43800000, v9
	s_cbranch_execz .LBB55_137
; %bb.132:                              ;   in Loop: Header=BB55_63 Depth=1
	v_cmp_lt_u32_e32 vcc_lo, 0x3bffffff, v9
	s_mov_b32 s14, 0
                                        ; implicit-def: $vgpr9
	s_and_saveexec_b32 s15, vcc_lo
	s_delay_alu instid0(SALU_CYCLE_1)
	s_xor_b32 s15, exec_lo, s15
	s_cbranch_execnz .LBB55_182
; %bb.133:                              ;   in Loop: Header=BB55_63 Depth=1
	s_or_saveexec_b32 s15, s15
                                        ; implicit-def: $sgpr16
	s_delay_alu instid0(SALU_CYCLE_1)
	s_xor_b32 exec_lo, exec_lo, s15
	s_cbranch_execnz .LBB55_183
.LBB55_134:                             ;   in Loop: Header=BB55_63 Depth=1
	s_or_b32 exec_lo, exec_lo, s15
	v_mov_b32_e32 v5, s16
	s_and_saveexec_b32 s15, s14
.LBB55_135:                             ;   in Loop: Header=BB55_63 Depth=1
	v_lshrrev_b32_e32 v5, 24, v6
	s_delay_alu instid0(VALU_DEP_1)
	v_and_or_b32 v5, 0x80, v5, v9
.LBB55_136:                             ;   in Loop: Header=BB55_63 Depth=1
	s_or_b32 exec_lo, exec_lo, s15
.LBB55_137:                             ;   in Loop: Header=BB55_63 Depth=1
	s_delay_alu instid0(SALU_CYCLE_1)
	s_or_b32 exec_lo, exec_lo, s13
	v_lshlrev_b32_e32 v6, 16, v13
	v_lshlrev_b32_e32 v9, 8, v10
	v_lshlrev_b64 v[3:4], 2, v[3:4]
	v_and_b32_e32 v10, 0xff, v11
	v_add_nc_u32_e32 v0, s2, v0
	v_perm_b32 v5, v5, v6, 0x4020c0c
	v_and_b32_e32 v6, 0xff00, v9
	s_mov_b32 s14, -1
	v_add_co_u32 v3, vcc_lo, s0, v3
	v_add_co_ci_u32_e32 v4, vcc_lo, s1, v4, vcc_lo
	s_delay_alu instid0(VALU_DEP_3)
	v_or3_b32 v5, v5, v6, v10
	s_mov_b32 s13, exec_lo
	global_store_b32 v[3:4], v5, off
	v_cmpx_gt_u32_e64 s8, v0
	s_cbranch_execz .LBB55_60
; %bb.138:                              ;   in Loop: Header=BB55_63 Depth=1
	v_lshlrev_b64 v[3:4], 3, v[0:1]
	v_bfe_u32 v13, v0, 4, 26
	s_mov_b32 s14, exec_lo
	s_delay_alu instid0(VALU_DEP_1) | instskip(NEXT) | instid1(VALU_DEP_3)
	v_mad_u64_u32 v[5:6], null, v7, v13, 0
	v_add_co_u32 v9, vcc_lo, s28, v3
	s_delay_alu instid0(VALU_DEP_4)
	v_add_co_ci_u32_e32 v10, vcc_lo, s29, v4, vcc_lo
	v_add_co_u32 v15, vcc_lo, s30, v3
	v_add_co_ci_u32_e32 v16, vcc_lo, s31, v4, vcc_lo
	v_mad_u64_u32 v[11:12], null, v8, v13, v[6:7]
	global_load_b64 v[9:10], v[9:10], off
	global_load_b64 v[12:13], v[15:16], off
	v_add_co_u32 v3, vcc_lo, s10, v3
	v_add_co_ci_u32_e32 v4, vcc_lo, s11, v4, vcc_lo
	v_mov_b32_e32 v6, v11
	global_load_b64 v[3:4], v[3:4], off
	v_lshlrev_b64 v[5:6], 2, v[5:6]
	s_delay_alu instid0(VALU_DEP_1) | instskip(NEXT) | instid1(VALU_DEP_2)
	v_add_co_u32 v5, vcc_lo, s4, v5
	v_add_co_ci_u32_e32 v6, vcc_lo, s5, v6, vcc_lo
	global_load_b32 v5, v[5:6], off
	s_waitcnt vmcnt(3)
	v_cvt_f32_f16_e32 v6, v9
	s_waitcnt vmcnt(2)
	v_cvt_f32_f16_e32 v11, v12
	v_lshrrev_b32_e32 v9, 16, v9
	v_lshrrev_b32_e32 v12, 16, v12
	s_delay_alu instid0(VALU_DEP_3) | instskip(NEXT) | instid1(VALU_DEP_3)
	v_add_f32_e32 v6, v6, v11
	v_cvt_f32_f16_e32 v9, v9
	s_delay_alu instid0(VALU_DEP_3) | instskip(NEXT) | instid1(VALU_DEP_1)
	v_cvt_f32_f16_e32 v12, v12
	v_dual_add_f32 v12, v9, v12 :: v_dual_mov_b32 v9, 0x80
	s_delay_alu instid0(VALU_DEP_4) | instskip(SKIP_2) | instid1(VALU_DEP_2)
	v_fma_mixlo_f16 v11, v28, v6, 0
	v_cvt_f16_f32_e32 v6, v6
	s_waitcnt vmcnt(1)
	v_mul_f16_e32 v11, v3, v11
	s_delay_alu instid0(VALU_DEP_1) | instskip(SKIP_1) | instid1(VALU_DEP_1)
	v_cvt_f32_f16_e32 v11, v11
	s_waitcnt vmcnt(0)
	v_div_scale_f32 v14, null, v5, v5, v11
	v_div_scale_f32 v19, vcc_lo, v11, v5, v11
	s_delay_alu instid0(VALU_DEP_2) | instskip(SKIP_2) | instid1(VALU_DEP_1)
	v_rcp_f32_e32 v17, v14
	s_waitcnt_depctr 0xfff
	v_fma_f32 v18, -v14, v17, 1.0
	v_fmac_f32_e32 v17, v18, v17
	s_delay_alu instid0(VALU_DEP_1) | instskip(NEXT) | instid1(VALU_DEP_1)
	v_mul_f32_e32 v18, v19, v17
	v_fma_f32 v20, -v14, v18, v19
	s_delay_alu instid0(VALU_DEP_1) | instskip(SKIP_2) | instid1(VALU_DEP_3)
	v_fmac_f32_e32 v18, v20, v17
	v_lshrrev_b32_e32 v20, 16, v10
	v_cvt_f32_f16_e32 v10, v10
	v_fma_f32 v14, -v14, v18, v19
	v_lshrrev_b32_e32 v19, 16, v13
	v_cvt_f32_f16_e32 v13, v13
	s_delay_alu instid0(VALU_DEP_3) | instskip(SKIP_1) | instid1(VALU_DEP_4)
	v_div_fmas_f32 v14, v14, v17, v18
	v_cvt_f32_f16_e32 v17, v20
	v_cvt_f32_f16_e32 v18, v19
	v_cvt_f16_f32_e32 v19, v12
	s_delay_alu instid0(VALU_DEP_4) | instskip(NEXT) | instid1(VALU_DEP_3)
	v_div_fixup_f32 v14, v14, v5, v11
	v_dual_add_f32 v11, v10, v13 :: v_dual_add_f32 v10, v17, v18
	s_delay_alu instid0(VALU_DEP_2) | instskip(NEXT) | instid1(VALU_DEP_2)
	v_minmax_f32 v13, v14, s7, 0xc3600000
	v_cvt_f16_f32_e32 v17, v11
	s_delay_alu instid0(VALU_DEP_3) | instskip(NEXT) | instid1(VALU_DEP_3)
	v_cvt_f16_f32_e32 v18, v10
	v_and_b32_e32 v14, 0x7fffffff, v13
	s_delay_alu instid0(VALU_DEP_2)
	v_pack_b32_f16 v18, v17, v18
	v_pack_b32_f16 v17, v6, v19
	v_mov_b32_e32 v6, 0x80
	global_store_b64 v[15:16], v[17:18], off
	v_cmpx_gt_u32_e32 0x43800000, v14
	s_cbranch_execz .LBB55_144
; %bb.139:                              ;   in Loop: Header=BB55_63 Depth=1
	v_cmp_lt_u32_e32 vcc_lo, 0x3bffffff, v14
	s_mov_b32 s15, 0
                                        ; implicit-def: $vgpr14
	s_and_saveexec_b32 s16, vcc_lo
	s_delay_alu instid0(SALU_CYCLE_1)
	s_xor_b32 s16, exec_lo, s16
	s_cbranch_execnz .LBB55_184
; %bb.140:                              ;   in Loop: Header=BB55_63 Depth=1
	s_or_saveexec_b32 s16, s16
                                        ; implicit-def: $sgpr17
	s_delay_alu instid0(SALU_CYCLE_1)
	s_xor_b32 exec_lo, exec_lo, s16
	s_cbranch_execnz .LBB55_185
.LBB55_141:                             ;   in Loop: Header=BB55_63 Depth=1
	s_or_b32 exec_lo, exec_lo, s16
	v_mov_b32_e32 v6, s17
	s_and_saveexec_b32 s16, s15
.LBB55_142:                             ;   in Loop: Header=BB55_63 Depth=1
	v_lshrrev_b32_e32 v6, 24, v13
	s_delay_alu instid0(VALU_DEP_1)
	v_and_or_b32 v6, 0x80, v6, v14
.LBB55_143:                             ;   in Loop: Header=BB55_63 Depth=1
	s_or_b32 exec_lo, exec_lo, s16
.LBB55_144:                             ;   in Loop: Header=BB55_63 Depth=1
	s_delay_alu instid0(SALU_CYCLE_1) | instskip(SKIP_3) | instid1(VALU_DEP_1)
	s_or_b32 exec_lo, exec_lo, s14
	v_lshrrev_b32_e32 v3, 16, v3
	v_fma_mixlo_f16 v12, v28, v12, 0
	s_mov_b32 s14, exec_lo
	v_mul_f16_e32 v3, v3, v12
	s_delay_alu instid0(VALU_DEP_1) | instskip(NEXT) | instid1(VALU_DEP_1)
	v_cvt_f32_f16_e32 v3, v3
	v_div_scale_f32 v12, null, v5, v5, v3
	s_delay_alu instid0(VALU_DEP_1) | instskip(SKIP_2) | instid1(VALU_DEP_1)
	v_rcp_f32_e32 v13, v12
	s_waitcnt_depctr 0xfff
	v_fma_f32 v14, -v12, v13, 1.0
	v_fmac_f32_e32 v13, v14, v13
	v_div_scale_f32 v14, vcc_lo, v3, v5, v3
	s_delay_alu instid0(VALU_DEP_1) | instskip(NEXT) | instid1(VALU_DEP_1)
	v_mul_f32_e32 v15, v14, v13
	v_fma_f32 v16, -v12, v15, v14
	s_delay_alu instid0(VALU_DEP_1) | instskip(NEXT) | instid1(VALU_DEP_1)
	v_fmac_f32_e32 v15, v16, v13
	v_fma_f32 v12, -v12, v15, v14
	s_delay_alu instid0(VALU_DEP_1) | instskip(NEXT) | instid1(VALU_DEP_1)
	v_div_fmas_f32 v12, v12, v13, v15
	v_div_fixup_f32 v3, v12, v5, v3
	s_delay_alu instid0(VALU_DEP_1) | instskip(NEXT) | instid1(VALU_DEP_1)
	v_minmax_f32 v3, v3, s7, 0xc3600000
	v_and_b32_e32 v12, 0x7fffffff, v3
	s_delay_alu instid0(VALU_DEP_1)
	v_cmpx_gt_u32_e32 0x43800000, v12
	s_cbranch_execz .LBB55_150
; %bb.145:                              ;   in Loop: Header=BB55_63 Depth=1
	v_cmp_lt_u32_e32 vcc_lo, 0x3bffffff, v12
	s_mov_b32 s15, 0
                                        ; implicit-def: $vgpr12
	s_and_saveexec_b32 s16, vcc_lo
	s_delay_alu instid0(SALU_CYCLE_1)
	s_xor_b32 s16, exec_lo, s16
	s_cbranch_execnz .LBB55_186
; %bb.146:                              ;   in Loop: Header=BB55_63 Depth=1
	s_or_saveexec_b32 s16, s16
                                        ; implicit-def: $sgpr17
	s_delay_alu instid0(SALU_CYCLE_1)
	s_xor_b32 exec_lo, exec_lo, s16
	s_cbranch_execnz .LBB55_187
.LBB55_147:                             ;   in Loop: Header=BB55_63 Depth=1
	s_or_b32 exec_lo, exec_lo, s16
	v_mov_b32_e32 v9, s17
	s_and_saveexec_b32 s16, s15
.LBB55_148:                             ;   in Loop: Header=BB55_63 Depth=1
	v_lshrrev_b32_e32 v3, 24, v3
	s_delay_alu instid0(VALU_DEP_1)
	v_and_or_b32 v9, 0x80, v3, v12
.LBB55_149:                             ;   in Loop: Header=BB55_63 Depth=1
	s_or_b32 exec_lo, exec_lo, s16
.LBB55_150:                             ;   in Loop: Header=BB55_63 Depth=1
	s_delay_alu instid0(SALU_CYCLE_1) | instskip(SKIP_2) | instid1(VALU_DEP_1)
	s_or_b32 exec_lo, exec_lo, s14
	v_fma_mixlo_f16 v3, v28, v11, 0
	s_mov_b32 s14, exec_lo
	v_mul_f16_e32 v3, v4, v3
	s_delay_alu instid0(VALU_DEP_1) | instskip(NEXT) | instid1(VALU_DEP_1)
	v_cvt_f32_f16_e32 v3, v3
	v_div_scale_f32 v11, null, v5, v5, v3
	v_div_scale_f32 v14, vcc_lo, v3, v5, v3
	s_delay_alu instid0(VALU_DEP_2) | instskip(SKIP_2) | instid1(VALU_DEP_1)
	v_rcp_f32_e32 v12, v11
	s_waitcnt_depctr 0xfff
	v_fma_f32 v13, -v11, v12, 1.0
	v_fmac_f32_e32 v12, v13, v12
	s_delay_alu instid0(VALU_DEP_1) | instskip(NEXT) | instid1(VALU_DEP_1)
	v_mul_f32_e32 v13, v14, v12
	v_fma_f32 v15, -v11, v13, v14
	s_delay_alu instid0(VALU_DEP_1) | instskip(NEXT) | instid1(VALU_DEP_1)
	v_fmac_f32_e32 v13, v15, v12
	v_fma_f32 v11, -v11, v13, v14
	s_delay_alu instid0(VALU_DEP_1) | instskip(NEXT) | instid1(VALU_DEP_1)
	v_div_fmas_f32 v11, v11, v12, v13
	v_div_fixup_f32 v3, v11, v5, v3
	v_mov_b32_e32 v11, 0x80
	s_delay_alu instid0(VALU_DEP_2) | instskip(SKIP_1) | instid1(VALU_DEP_2)
	v_minmax_f32 v12, v3, s7, 0xc3600000
	v_mov_b32_e32 v3, 0x80
	v_and_b32_e32 v13, 0x7fffffff, v12
	s_delay_alu instid0(VALU_DEP_1)
	v_cmpx_gt_u32_e32 0x43800000, v13
	s_cbranch_execz .LBB55_156
; %bb.151:                              ;   in Loop: Header=BB55_63 Depth=1
	v_cmp_lt_u32_e32 vcc_lo, 0x3bffffff, v13
	s_mov_b32 s15, 0
                                        ; implicit-def: $vgpr13
	s_and_saveexec_b32 s16, vcc_lo
	s_delay_alu instid0(SALU_CYCLE_1)
	s_xor_b32 s16, exec_lo, s16
	s_cbranch_execnz .LBB55_188
; %bb.152:                              ;   in Loop: Header=BB55_63 Depth=1
	s_or_saveexec_b32 s16, s16
                                        ; implicit-def: $sgpr17
	s_delay_alu instid0(SALU_CYCLE_1)
	s_xor_b32 exec_lo, exec_lo, s16
	s_cbranch_execnz .LBB55_189
.LBB55_153:                             ;   in Loop: Header=BB55_63 Depth=1
	s_or_b32 exec_lo, exec_lo, s16
	v_mov_b32_e32 v11, s17
	s_and_saveexec_b32 s16, s15
.LBB55_154:                             ;   in Loop: Header=BB55_63 Depth=1
	v_lshrrev_b32_e32 v11, 24, v12
	s_delay_alu instid0(VALU_DEP_1)
	v_and_or_b32 v11, 0x80, v11, v13
.LBB55_155:                             ;   in Loop: Header=BB55_63 Depth=1
	s_or_b32 exec_lo, exec_lo, s16
.LBB55_156:                             ;   in Loop: Header=BB55_63 Depth=1
	s_delay_alu instid0(SALU_CYCLE_1) | instskip(SKIP_3) | instid1(VALU_DEP_1)
	s_or_b32 exec_lo, exec_lo, s14
	v_lshrrev_b32_e32 v4, 16, v4
	v_fma_mixlo_f16 v10, v28, v10, 0
	s_mov_b32 s14, exec_lo
	v_mul_f16_e32 v4, v4, v10
	s_delay_alu instid0(VALU_DEP_1) | instskip(NEXT) | instid1(VALU_DEP_1)
	v_cvt_f32_f16_e32 v4, v4
	v_div_scale_f32 v10, null, v5, v5, v4
	s_delay_alu instid0(VALU_DEP_1) | instskip(SKIP_2) | instid1(VALU_DEP_1)
	v_rcp_f32_e32 v12, v10
	s_waitcnt_depctr 0xfff
	v_fma_f32 v13, -v10, v12, 1.0
	v_fmac_f32_e32 v12, v13, v12
	v_div_scale_f32 v13, vcc_lo, v4, v5, v4
	s_delay_alu instid0(VALU_DEP_1) | instskip(NEXT) | instid1(VALU_DEP_1)
	v_mul_f32_e32 v14, v13, v12
	v_fma_f32 v15, -v10, v14, v13
	s_delay_alu instid0(VALU_DEP_1) | instskip(NEXT) | instid1(VALU_DEP_1)
	v_fmac_f32_e32 v14, v15, v12
	v_fma_f32 v10, -v10, v14, v13
	s_delay_alu instid0(VALU_DEP_1) | instskip(NEXT) | instid1(VALU_DEP_1)
	v_div_fmas_f32 v10, v10, v12, v14
	v_div_fixup_f32 v4, v10, v5, v4
	s_delay_alu instid0(VALU_DEP_1) | instskip(NEXT) | instid1(VALU_DEP_1)
	v_minmax_f32 v4, v4, s7, 0xc3600000
	v_and_b32_e32 v5, 0x7fffffff, v4
	s_delay_alu instid0(VALU_DEP_1)
	v_cmpx_gt_u32_e32 0x43800000, v5
	s_cbranch_execz .LBB55_59
; %bb.157:                              ;   in Loop: Header=BB55_63 Depth=1
	v_cmp_lt_u32_e32 vcc_lo, 0x3bffffff, v5
	s_mov_b32 s15, 0
                                        ; implicit-def: $vgpr5
	s_and_saveexec_b32 s16, vcc_lo
	s_delay_alu instid0(SALU_CYCLE_1)
	s_xor_b32 s16, exec_lo, s16
	s_cbranch_execnz .LBB55_190
; %bb.158:                              ;   in Loop: Header=BB55_63 Depth=1
	s_or_saveexec_b32 s16, s16
                                        ; implicit-def: $sgpr17
	s_delay_alu instid0(SALU_CYCLE_1)
	s_xor_b32 exec_lo, exec_lo, s16
	s_cbranch_execnz .LBB55_191
.LBB55_159:                             ;   in Loop: Header=BB55_63 Depth=1
	s_or_b32 exec_lo, exec_lo, s16
	v_mov_b32_e32 v3, s17
	s_and_saveexec_b32 s16, s15
	s_cbranch_execz .LBB55_58
	s_branch .LBB55_192
.LBB55_160:                             ;   in Loop: Header=BB55_63 Depth=1
	v_bfe_u32 v6, v12, 20, 1
	s_mov_b32 s12, exec_lo
	s_delay_alu instid0(VALU_DEP_1) | instskip(NEXT) | instid1(VALU_DEP_1)
	v_add3_u32 v6, v12, v6, 0x487ffff
	v_lshrrev_b32_e32 v13, 20, v6
	s_or_saveexec_b32 s13, s13
                                        ; implicit-def: $sgpr14
	s_delay_alu instid0(SALU_CYCLE_1)
	s_xor_b32 exec_lo, exec_lo, s13
	s_cbranch_execz .LBB55_66
.LBB55_161:                             ;   in Loop: Header=BB55_63 Depth=1
	v_add_f32_e64 v6, 0x46000000, |v12|
	s_and_not1_b32 s12, s12, exec_lo
	s_mov_b32 s14, 0
	s_delay_alu instid0(VALU_DEP_1) | instskip(NEXT) | instid1(VALU_DEP_1)
	v_and_b32_e32 v13, 0xff, v6
	v_cmp_ne_u32_e32 vcc_lo, 0, v13
	s_and_b32 s15, vcc_lo, exec_lo
	s_delay_alu instid0(SALU_CYCLE_1)
	s_or_b32 s12, s12, s15
	s_or_b32 exec_lo, exec_lo, s13
	v_mov_b32_e32 v6, s14
	s_and_saveexec_b32 s13, s12
	s_cbranch_execnz .LBB55_67
	s_branch .LBB55_68
.LBB55_162:                             ;   in Loop: Header=BB55_63 Depth=1
	v_bfe_u32 v5, v2, 20, 1
	s_mov_b32 s12, exec_lo
	s_delay_alu instid0(VALU_DEP_1) | instskip(NEXT) | instid1(VALU_DEP_1)
	v_add3_u32 v5, v2, v5, 0x487ffff
	v_lshrrev_b32_e32 v11, 20, v5
	s_or_saveexec_b32 s13, s13
                                        ; implicit-def: $sgpr14
	s_delay_alu instid0(SALU_CYCLE_1)
	s_xor_b32 exec_lo, exec_lo, s13
	s_cbranch_execz .LBB55_72
.LBB55_163:                             ;   in Loop: Header=BB55_63 Depth=1
	v_add_f32_e64 v5, 0x46000000, |v2|
	s_and_not1_b32 s12, s12, exec_lo
	s_mov_b32 s14, 0
	s_delay_alu instid0(VALU_DEP_1) | instskip(NEXT) | instid1(VALU_DEP_1)
	v_and_b32_e32 v11, 0xff, v5
	v_cmp_ne_u32_e32 vcc_lo, 0, v11
	s_and_b32 s15, vcc_lo, exec_lo
	s_delay_alu instid0(SALU_CYCLE_1)
	s_or_b32 s12, s12, s15
	s_or_b32 exec_lo, exec_lo, s13
	v_mov_b32_e32 v5, s14
	s_and_saveexec_b32 s13, s12
	s_cbranch_execnz .LBB55_73
	s_branch .LBB55_74
.LBB55_164:                             ;   in Loop: Header=BB55_63 Depth=1
	v_bfe_u32 v10, v11, 20, 1
	s_mov_b32 s12, exec_lo
	s_delay_alu instid0(VALU_DEP_1) | instskip(NEXT) | instid1(VALU_DEP_1)
	v_add3_u32 v10, v11, v10, 0x487ffff
	v_lshrrev_b32_e32 v12, 20, v10
	s_or_saveexec_b32 s13, s13
                                        ; implicit-def: $sgpr14
	s_delay_alu instid0(SALU_CYCLE_1)
	s_xor_b32 exec_lo, exec_lo, s13
	s_cbranch_execz .LBB55_78
.LBB55_165:                             ;   in Loop: Header=BB55_63 Depth=1
	v_add_f32_e64 v10, 0x46000000, |v11|
	s_and_not1_b32 s12, s12, exec_lo
	s_mov_b32 s14, 0
	s_delay_alu instid0(VALU_DEP_1) | instskip(NEXT) | instid1(VALU_DEP_1)
	v_and_b32_e32 v12, 0xff, v10
	v_cmp_ne_u32_e32 vcc_lo, 0, v12
	s_and_b32 s15, vcc_lo, exec_lo
	s_delay_alu instid0(SALU_CYCLE_1)
	s_or_b32 s12, s12, s15
	s_or_b32 exec_lo, exec_lo, s13
	v_mov_b32_e32 v10, s14
	s_and_saveexec_b32 s13, s12
	s_cbranch_execnz .LBB55_79
	s_branch .LBB55_80
.LBB55_166:                             ;   in Loop: Header=BB55_63 Depth=1
	v_bfe_u32 v2, v3, 20, 1
	s_mov_b32 s12, exec_lo
	s_delay_alu instid0(VALU_DEP_1) | instskip(NEXT) | instid1(VALU_DEP_1)
	v_add3_u32 v2, v3, v2, 0x487ffff
	v_lshrrev_b32_e32 v4, 20, v2
	s_or_saveexec_b32 s13, s13
                                        ; implicit-def: $sgpr14
	s_delay_alu instid0(SALU_CYCLE_1)
	s_xor_b32 exec_lo, exec_lo, s13
	s_cbranch_execz .LBB55_84
.LBB55_167:                             ;   in Loop: Header=BB55_63 Depth=1
	v_add_f32_e64 v2, 0x46000000, |v3|
	s_and_not1_b32 s12, s12, exec_lo
	s_mov_b32 s14, 0
	s_delay_alu instid0(VALU_DEP_1) | instskip(NEXT) | instid1(VALU_DEP_1)
	v_and_b32_e32 v4, 0xff, v2
	v_cmp_ne_u32_e32 vcc_lo, 0, v4
	s_and_b32 s15, vcc_lo, exec_lo
	s_delay_alu instid0(SALU_CYCLE_1)
	s_or_b32 s12, s12, s15
	s_or_b32 exec_lo, exec_lo, s13
	v_mov_b32_e32 v2, s14
	s_and_saveexec_b32 s13, s12
	s_cbranch_execnz .LBB55_85
	s_branch .LBB55_86
.LBB55_168:                             ;   in Loop: Header=BB55_63 Depth=1
	v_bfe_u32 v10, v14, 20, 1
	s_mov_b32 s13, exec_lo
	s_delay_alu instid0(VALU_DEP_1) | instskip(NEXT) | instid1(VALU_DEP_1)
	v_add3_u32 v10, v14, v10, 0x487ffff
	v_lshrrev_b32_e32 v15, 20, v10
	s_or_saveexec_b32 s14, s14
                                        ; implicit-def: $sgpr15
	s_delay_alu instid0(SALU_CYCLE_1)
	s_xor_b32 exec_lo, exec_lo, s14
	s_cbranch_execz .LBB55_91
.LBB55_169:                             ;   in Loop: Header=BB55_63 Depth=1
	v_add_f32_e64 v10, 0x46000000, |v14|
	s_and_not1_b32 s13, s13, exec_lo
	s_mov_b32 s15, 0
	s_delay_alu instid0(VALU_DEP_1) | instskip(NEXT) | instid1(VALU_DEP_1)
	v_and_b32_e32 v15, 0xff, v10
	v_cmp_ne_u32_e32 vcc_lo, 0, v15
	s_and_b32 s16, vcc_lo, exec_lo
	s_delay_alu instid0(SALU_CYCLE_1)
	s_or_b32 s13, s13, s16
	s_or_b32 exec_lo, exec_lo, s14
	v_mov_b32_e32 v10, s15
	s_and_saveexec_b32 s14, s13
	s_cbranch_execnz .LBB55_92
	s_branch .LBB55_93
.LBB55_170:                             ;   in Loop: Header=BB55_63 Depth=1
	v_bfe_u32 v9, v4, 20, 1
	s_mov_b32 s13, exec_lo
	s_delay_alu instid0(VALU_DEP_1) | instskip(NEXT) | instid1(VALU_DEP_1)
	v_add3_u32 v9, v4, v9, 0x487ffff
	v_lshrrev_b32_e32 v13, 20, v9
	s_or_saveexec_b32 s14, s14
                                        ; implicit-def: $sgpr15
	s_delay_alu instid0(SALU_CYCLE_1)
	s_xor_b32 exec_lo, exec_lo, s14
	s_cbranch_execz .LBB55_97
.LBB55_171:                             ;   in Loop: Header=BB55_63 Depth=1
	v_add_f32_e64 v9, 0x46000000, |v4|
	s_and_not1_b32 s13, s13, exec_lo
	s_mov_b32 s15, 0
	s_delay_alu instid0(VALU_DEP_1) | instskip(NEXT) | instid1(VALU_DEP_1)
	v_and_b32_e32 v13, 0xff, v9
	v_cmp_ne_u32_e32 vcc_lo, 0, v13
	s_and_b32 s16, vcc_lo, exec_lo
	s_delay_alu instid0(SALU_CYCLE_1)
	s_or_b32 s13, s13, s16
	s_or_b32 exec_lo, exec_lo, s14
	v_mov_b32_e32 v9, s15
	s_and_saveexec_b32 s14, s13
	s_cbranch_execnz .LBB55_98
	s_branch .LBB55_99
.LBB55_172:                             ;   in Loop: Header=BB55_63 Depth=1
	v_bfe_u32 v12, v13, 20, 1
	s_mov_b32 s13, exec_lo
	s_delay_alu instid0(VALU_DEP_1) | instskip(NEXT) | instid1(VALU_DEP_1)
	v_add3_u32 v12, v13, v12, 0x487ffff
	v_lshrrev_b32_e32 v14, 20, v12
	s_or_saveexec_b32 s14, s14
                                        ; implicit-def: $sgpr15
	s_delay_alu instid0(SALU_CYCLE_1)
	s_xor_b32 exec_lo, exec_lo, s14
	s_cbranch_execz .LBB55_103
.LBB55_173:                             ;   in Loop: Header=BB55_63 Depth=1
	v_add_f32_e64 v12, 0x46000000, |v13|
	s_and_not1_b32 s13, s13, exec_lo
	s_mov_b32 s15, 0
	s_delay_alu instid0(VALU_DEP_1) | instskip(NEXT) | instid1(VALU_DEP_1)
	v_and_b32_e32 v14, 0xff, v12
	v_cmp_ne_u32_e32 vcc_lo, 0, v14
	s_and_b32 s16, vcc_lo, exec_lo
	s_delay_alu instid0(SALU_CYCLE_1)
	s_or_b32 s13, s13, s16
	s_or_b32 exec_lo, exec_lo, s14
	v_mov_b32_e32 v12, s15
	s_and_saveexec_b32 s14, s13
	s_cbranch_execnz .LBB55_104
	s_branch .LBB55_105
.LBB55_174:                             ;   in Loop: Header=BB55_63 Depth=1
	v_bfe_u32 v4, v5, 20, 1
	s_mov_b32 s13, exec_lo
	s_delay_alu instid0(VALU_DEP_1) | instskip(NEXT) | instid1(VALU_DEP_1)
	v_add3_u32 v4, v5, v4, 0x487ffff
	v_lshrrev_b32_e32 v6, 20, v4
	s_or_saveexec_b32 s14, s14
                                        ; implicit-def: $sgpr15
	s_delay_alu instid0(SALU_CYCLE_1)
	s_xor_b32 exec_lo, exec_lo, s14
	s_cbranch_execz .LBB55_109
.LBB55_175:                             ;   in Loop: Header=BB55_63 Depth=1
	v_add_f32_e64 v4, 0x46000000, |v5|
	s_and_not1_b32 s13, s13, exec_lo
	s_mov_b32 s15, 0
	s_delay_alu instid0(VALU_DEP_1) | instskip(NEXT) | instid1(VALU_DEP_1)
	v_and_b32_e32 v6, 0xff, v4
	v_cmp_ne_u32_e32 vcc_lo, 0, v6
	s_and_b32 s16, vcc_lo, exec_lo
	s_delay_alu instid0(SALU_CYCLE_1)
	s_or_b32 s13, s13, s16
	s_or_b32 exec_lo, exec_lo, s14
	v_mov_b32_e32 v4, s15
	s_and_saveexec_b32 s14, s13
	s_cbranch_execnz .LBB55_110
	s_branch .LBB55_111
.LBB55_176:                             ;   in Loop: Header=BB55_63 Depth=1
	v_bfe_u32 v11, v15, 20, 1
	s_mov_b32 s14, exec_lo
	s_delay_alu instid0(VALU_DEP_1) | instskip(NEXT) | instid1(VALU_DEP_1)
	v_add3_u32 v11, v15, v11, 0x487ffff
	v_lshrrev_b32_e32 v16, 20, v11
	s_or_saveexec_b32 s15, s15
                                        ; implicit-def: $sgpr16
	s_delay_alu instid0(SALU_CYCLE_1)
	s_xor_b32 exec_lo, exec_lo, s15
	s_cbranch_execz .LBB55_116
.LBB55_177:                             ;   in Loop: Header=BB55_63 Depth=1
	v_add_f32_e64 v11, 0x46000000, |v15|
	s_and_not1_b32 s14, s14, exec_lo
	s_mov_b32 s16, 0
	s_delay_alu instid0(VALU_DEP_1) | instskip(NEXT) | instid1(VALU_DEP_1)
	v_and_b32_e32 v16, 0xff, v11
	v_cmp_ne_u32_e32 vcc_lo, 0, v16
	s_and_b32 s17, vcc_lo, exec_lo
	s_delay_alu instid0(SALU_CYCLE_1)
	s_or_b32 s14, s14, s17
	s_or_b32 exec_lo, exec_lo, s15
	v_mov_b32_e32 v11, s16
	s_and_saveexec_b32 s15, s14
	s_cbranch_execnz .LBB55_117
	s_branch .LBB55_118
.LBB55_178:                             ;   in Loop: Header=BB55_63 Depth=1
	v_bfe_u32 v10, v5, 20, 1
	s_mov_b32 s14, exec_lo
	s_delay_alu instid0(VALU_DEP_1) | instskip(NEXT) | instid1(VALU_DEP_1)
	v_add3_u32 v10, v5, v10, 0x487ffff
	v_lshrrev_b32_e32 v14, 20, v10
	s_or_saveexec_b32 s15, s15
                                        ; implicit-def: $sgpr16
	s_delay_alu instid0(SALU_CYCLE_1)
	s_xor_b32 exec_lo, exec_lo, s15
	s_cbranch_execz .LBB55_122
.LBB55_179:                             ;   in Loop: Header=BB55_63 Depth=1
	v_add_f32_e64 v10, 0x46000000, |v5|
	s_and_not1_b32 s14, s14, exec_lo
	s_mov_b32 s16, 0
	s_delay_alu instid0(VALU_DEP_1) | instskip(NEXT) | instid1(VALU_DEP_1)
	v_and_b32_e32 v14, 0xff, v10
	v_cmp_ne_u32_e32 vcc_lo, 0, v14
	s_and_b32 s17, vcc_lo, exec_lo
	s_delay_alu instid0(SALU_CYCLE_1)
	s_or_b32 s14, s14, s17
	s_or_b32 exec_lo, exec_lo, s15
	v_mov_b32_e32 v10, s16
	s_and_saveexec_b32 s15, s14
	s_cbranch_execnz .LBB55_123
	s_branch .LBB55_124
.LBB55_180:                             ;   in Loop: Header=BB55_63 Depth=1
	v_bfe_u32 v13, v14, 20, 1
	s_mov_b32 s14, exec_lo
	s_delay_alu instid0(VALU_DEP_1) | instskip(NEXT) | instid1(VALU_DEP_1)
	v_add3_u32 v13, v14, v13, 0x487ffff
	v_lshrrev_b32_e32 v15, 20, v13
	s_or_saveexec_b32 s15, s15
                                        ; implicit-def: $sgpr16
	s_delay_alu instid0(SALU_CYCLE_1)
	s_xor_b32 exec_lo, exec_lo, s15
	s_cbranch_execz .LBB55_128
.LBB55_181:                             ;   in Loop: Header=BB55_63 Depth=1
	v_add_f32_e64 v13, 0x46000000, |v14|
	s_and_not1_b32 s14, s14, exec_lo
	s_mov_b32 s16, 0
	s_delay_alu instid0(VALU_DEP_1) | instskip(NEXT) | instid1(VALU_DEP_1)
	v_and_b32_e32 v15, 0xff, v13
	v_cmp_ne_u32_e32 vcc_lo, 0, v15
	s_and_b32 s17, vcc_lo, exec_lo
	s_delay_alu instid0(SALU_CYCLE_1)
	s_or_b32 s14, s14, s17
	s_or_b32 exec_lo, exec_lo, s15
	v_mov_b32_e32 v13, s16
	s_and_saveexec_b32 s15, s14
	s_cbranch_execnz .LBB55_129
	s_branch .LBB55_130
.LBB55_182:                             ;   in Loop: Header=BB55_63 Depth=1
	v_bfe_u32 v5, v6, 20, 1
	s_mov_b32 s14, exec_lo
	s_delay_alu instid0(VALU_DEP_1) | instskip(NEXT) | instid1(VALU_DEP_1)
	v_add3_u32 v5, v6, v5, 0x487ffff
	v_lshrrev_b32_e32 v9, 20, v5
	s_or_saveexec_b32 s15, s15
                                        ; implicit-def: $sgpr16
	s_delay_alu instid0(SALU_CYCLE_1)
	s_xor_b32 exec_lo, exec_lo, s15
	s_cbranch_execz .LBB55_134
.LBB55_183:                             ;   in Loop: Header=BB55_63 Depth=1
	v_add_f32_e64 v5, 0x46000000, |v6|
	s_and_not1_b32 s14, s14, exec_lo
	s_mov_b32 s16, 0
	s_delay_alu instid0(VALU_DEP_1) | instskip(NEXT) | instid1(VALU_DEP_1)
	v_and_b32_e32 v9, 0xff, v5
	v_cmp_ne_u32_e32 vcc_lo, 0, v9
	s_and_b32 s17, vcc_lo, exec_lo
	s_delay_alu instid0(SALU_CYCLE_1)
	s_or_b32 s14, s14, s17
	s_or_b32 exec_lo, exec_lo, s15
	v_mov_b32_e32 v5, s16
	s_and_saveexec_b32 s15, s14
	s_cbranch_execnz .LBB55_135
	s_branch .LBB55_136
.LBB55_184:                             ;   in Loop: Header=BB55_63 Depth=1
	v_bfe_u32 v6, v13, 20, 1
	s_mov_b32 s15, exec_lo
	s_delay_alu instid0(VALU_DEP_1) | instskip(NEXT) | instid1(VALU_DEP_1)
	v_add3_u32 v6, v13, v6, 0x487ffff
	v_lshrrev_b32_e32 v14, 20, v6
	s_or_saveexec_b32 s16, s16
                                        ; implicit-def: $sgpr17
	s_delay_alu instid0(SALU_CYCLE_1)
	s_xor_b32 exec_lo, exec_lo, s16
	s_cbranch_execz .LBB55_141
.LBB55_185:                             ;   in Loop: Header=BB55_63 Depth=1
	v_add_f32_e64 v6, 0x46000000, |v13|
	s_and_not1_b32 s15, s15, exec_lo
	s_mov_b32 s17, 0
	s_delay_alu instid0(VALU_DEP_1) | instskip(NEXT) | instid1(VALU_DEP_1)
	v_and_b32_e32 v14, 0xff, v6
	v_cmp_ne_u32_e32 vcc_lo, 0, v14
	s_and_b32 s18, vcc_lo, exec_lo
	s_delay_alu instid0(SALU_CYCLE_1)
	s_or_b32 s15, s15, s18
	s_or_b32 exec_lo, exec_lo, s16
	v_mov_b32_e32 v6, s17
	s_and_saveexec_b32 s16, s15
	s_cbranch_execnz .LBB55_142
	s_branch .LBB55_143
.LBB55_186:                             ;   in Loop: Header=BB55_63 Depth=1
	v_bfe_u32 v9, v3, 20, 1
	s_mov_b32 s15, exec_lo
	s_delay_alu instid0(VALU_DEP_1) | instskip(NEXT) | instid1(VALU_DEP_1)
	v_add3_u32 v9, v3, v9, 0x487ffff
	v_lshrrev_b32_e32 v12, 20, v9
	s_or_saveexec_b32 s16, s16
                                        ; implicit-def: $sgpr17
	s_delay_alu instid0(SALU_CYCLE_1)
	s_xor_b32 exec_lo, exec_lo, s16
	s_cbranch_execz .LBB55_147
.LBB55_187:                             ;   in Loop: Header=BB55_63 Depth=1
	v_add_f32_e64 v9, 0x46000000, |v3|
	s_and_not1_b32 s15, s15, exec_lo
	s_mov_b32 s17, 0
	s_delay_alu instid0(VALU_DEP_1) | instskip(NEXT) | instid1(VALU_DEP_1)
	v_and_b32_e32 v12, 0xff, v9
	v_cmp_ne_u32_e32 vcc_lo, 0, v12
	s_and_b32 s18, vcc_lo, exec_lo
	s_delay_alu instid0(SALU_CYCLE_1)
	s_or_b32 s15, s15, s18
	s_or_b32 exec_lo, exec_lo, s16
	v_mov_b32_e32 v9, s17
	s_and_saveexec_b32 s16, s15
	s_cbranch_execnz .LBB55_148
	s_branch .LBB55_149
.LBB55_188:                             ;   in Loop: Header=BB55_63 Depth=1
	v_bfe_u32 v11, v12, 20, 1
	s_mov_b32 s15, exec_lo
	s_delay_alu instid0(VALU_DEP_1) | instskip(NEXT) | instid1(VALU_DEP_1)
	v_add3_u32 v11, v12, v11, 0x487ffff
	v_lshrrev_b32_e32 v13, 20, v11
	s_or_saveexec_b32 s16, s16
                                        ; implicit-def: $sgpr17
	s_delay_alu instid0(SALU_CYCLE_1)
	s_xor_b32 exec_lo, exec_lo, s16
	s_cbranch_execz .LBB55_153
.LBB55_189:                             ;   in Loop: Header=BB55_63 Depth=1
	v_add_f32_e64 v11, 0x46000000, |v12|
	s_and_not1_b32 s15, s15, exec_lo
	s_mov_b32 s17, 0
	s_delay_alu instid0(VALU_DEP_1) | instskip(NEXT) | instid1(VALU_DEP_1)
	v_and_b32_e32 v13, 0xff, v11
	v_cmp_ne_u32_e32 vcc_lo, 0, v13
	s_and_b32 s18, vcc_lo, exec_lo
	s_delay_alu instid0(SALU_CYCLE_1)
	s_or_b32 s15, s15, s18
	s_or_b32 exec_lo, exec_lo, s16
	v_mov_b32_e32 v11, s17
	s_and_saveexec_b32 s16, s15
	s_cbranch_execnz .LBB55_154
	s_branch .LBB55_155
.LBB55_190:                             ;   in Loop: Header=BB55_63 Depth=1
	v_bfe_u32 v3, v4, 20, 1
	s_mov_b32 s15, exec_lo
	s_delay_alu instid0(VALU_DEP_1) | instskip(NEXT) | instid1(VALU_DEP_1)
	v_add3_u32 v3, v4, v3, 0x487ffff
	v_lshrrev_b32_e32 v5, 20, v3
	s_or_saveexec_b32 s16, s16
                                        ; implicit-def: $sgpr17
	s_delay_alu instid0(SALU_CYCLE_1)
	s_xor_b32 exec_lo, exec_lo, s16
	s_cbranch_execz .LBB55_159
.LBB55_191:                             ;   in Loop: Header=BB55_63 Depth=1
	v_add_f32_e64 v3, 0x46000000, |v4|
	s_and_not1_b32 s15, s15, exec_lo
	s_mov_b32 s17, 0
	s_delay_alu instid0(VALU_DEP_1) | instskip(NEXT) | instid1(VALU_DEP_1)
	v_and_b32_e32 v5, 0xff, v3
	v_cmp_ne_u32_e32 vcc_lo, 0, v5
	s_and_b32 s18, vcc_lo, exec_lo
	s_delay_alu instid0(SALU_CYCLE_1)
	s_or_b32 s15, s15, s18
	s_or_b32 exec_lo, exec_lo, s16
	v_mov_b32_e32 v3, s17
	s_and_saveexec_b32 s16, s15
	s_cbranch_execz .LBB55_58
.LBB55_192:                             ;   in Loop: Header=BB55_63 Depth=1
	v_lshrrev_b32_e32 v3, 24, v4
	s_delay_alu instid0(VALU_DEP_1)
	v_and_or_b32 v3, 0x80, v3, v5
	s_branch .LBB55_58
.LBB55_193:
	s_nop 0
	s_sendmsg sendmsg(MSG_DEALLOC_VGPRS)
	s_endpgm
.LBB55_194:
                                        ; implicit-def: $vgpr3_vgpr4
	s_branch .LBB55_51
.LBB55_195:
                                        ; implicit-def: $vgpr1_vgpr2
	s_branch .LBB55_56
	.section	.rodata,"a",@progbits
	.p2align	6, 0x0
	.amdhsa_kernel _ZN4vllm31rms_norm_per_block_quant_kernelIN3c104HalfENS1_15Float8_e4m3fnuzELb1ELb1ELi64EEEvPT0_PfPKT_S9_PKffiiPS7_l
		.amdhsa_group_segment_fixed_size 4228
		.amdhsa_private_segment_fixed_size 0
		.amdhsa_kernarg_size 328
		.amdhsa_user_sgpr_count 15
		.amdhsa_user_sgpr_dispatch_ptr 0
		.amdhsa_user_sgpr_queue_ptr 0
		.amdhsa_user_sgpr_kernarg_segment_ptr 1
		.amdhsa_user_sgpr_dispatch_id 0
		.amdhsa_user_sgpr_private_segment_size 0
		.amdhsa_wavefront_size32 1
		.amdhsa_uses_dynamic_stack 0
		.amdhsa_enable_private_segment 0
		.amdhsa_system_sgpr_workgroup_id_x 1
		.amdhsa_system_sgpr_workgroup_id_y 0
		.amdhsa_system_sgpr_workgroup_id_z 0
		.amdhsa_system_sgpr_workgroup_info 0
		.amdhsa_system_vgpr_workitem_id 0
		.amdhsa_next_free_vgpr 35
		.amdhsa_next_free_sgpr 42
		.amdhsa_reserve_vcc 1
		.amdhsa_float_round_mode_32 0
		.amdhsa_float_round_mode_16_64 0
		.amdhsa_float_denorm_mode_32 3
		.amdhsa_float_denorm_mode_16_64 3
		.amdhsa_dx10_clamp 1
		.amdhsa_ieee_mode 1
		.amdhsa_fp16_overflow 0
		.amdhsa_workgroup_processor_mode 1
		.amdhsa_memory_ordered 1
		.amdhsa_forward_progress 0
		.amdhsa_shared_vgpr_count 0
		.amdhsa_exception_fp_ieee_invalid_op 0
		.amdhsa_exception_fp_denorm_src 0
		.amdhsa_exception_fp_ieee_div_zero 0
		.amdhsa_exception_fp_ieee_overflow 0
		.amdhsa_exception_fp_ieee_underflow 0
		.amdhsa_exception_fp_ieee_inexact 0
		.amdhsa_exception_int_div_zero 0
	.end_amdhsa_kernel
	.section	.text._ZN4vllm31rms_norm_per_block_quant_kernelIN3c104HalfENS1_15Float8_e4m3fnuzELb1ELb1ELi64EEEvPT0_PfPKT_S9_PKffiiPS7_l,"axG",@progbits,_ZN4vllm31rms_norm_per_block_quant_kernelIN3c104HalfENS1_15Float8_e4m3fnuzELb1ELb1ELi64EEEvPT0_PfPKT_S9_PKffiiPS7_l,comdat
.Lfunc_end55:
	.size	_ZN4vllm31rms_norm_per_block_quant_kernelIN3c104HalfENS1_15Float8_e4m3fnuzELb1ELb1ELi64EEEvPT0_PfPKT_S9_PKffiiPS7_l, .Lfunc_end55-_ZN4vllm31rms_norm_per_block_quant_kernelIN3c104HalfENS1_15Float8_e4m3fnuzELb1ELb1ELi64EEEvPT0_PfPKT_S9_PKffiiPS7_l
                                        ; -- End function
	.section	.AMDGPU.csdata,"",@progbits
; Kernel info:
; codeLenInByte = 14256
; NumSgprs: 44
; NumVgprs: 35
; ScratchSize: 0
; MemoryBound: 0
; FloatMode: 240
; IeeeMode: 1
; LDSByteSize: 4228 bytes/workgroup (compile time only)
; SGPRBlocks: 5
; VGPRBlocks: 4
; NumSGPRsForWavesPerEU: 44
; NumVGPRsForWavesPerEU: 35
; Occupancy: 16
; WaveLimiterHint : 0
; COMPUTE_PGM_RSRC2:SCRATCH_EN: 0
; COMPUTE_PGM_RSRC2:USER_SGPR: 15
; COMPUTE_PGM_RSRC2:TRAP_HANDLER: 0
; COMPUTE_PGM_RSRC2:TGID_X_EN: 1
; COMPUTE_PGM_RSRC2:TGID_Y_EN: 0
; COMPUTE_PGM_RSRC2:TGID_Z_EN: 0
; COMPUTE_PGM_RSRC2:TIDIG_COMP_CNT: 0
	.section	.text._ZN4vllm31rms_norm_per_block_quant_kernelIN3c104HalfEaLb1ELb1ELi64EEEvPT0_PfPKT_S8_PKffiiPS6_l,"axG",@progbits,_ZN4vllm31rms_norm_per_block_quant_kernelIN3c104HalfEaLb1ELb1ELi64EEEvPT0_PfPKT_S8_PKffiiPS6_l,comdat
	.protected	_ZN4vllm31rms_norm_per_block_quant_kernelIN3c104HalfEaLb1ELb1ELi64EEEvPT0_PfPKT_S8_PKffiiPS6_l ; -- Begin function _ZN4vllm31rms_norm_per_block_quant_kernelIN3c104HalfEaLb1ELb1ELi64EEEvPT0_PfPKT_S8_PKffiiPS6_l
	.globl	_ZN4vllm31rms_norm_per_block_quant_kernelIN3c104HalfEaLb1ELb1ELi64EEEvPT0_PfPKT_S8_PKffiiPS6_l
	.p2align	8
	.type	_ZN4vllm31rms_norm_per_block_quant_kernelIN3c104HalfEaLb1ELb1ELi64EEEvPT0_PfPKT_S8_PKffiiPS6_l,@function
_ZN4vllm31rms_norm_per_block_quant_kernelIN3c104HalfEaLb1ELb1ELi64EEEvPT0_PfPKT_S8_PKffiiPS6_l: ; @_ZN4vllm31rms_norm_per_block_quant_kernelIN3c104HalfEaLb1ELb1ELi64EEEvPT0_PfPKT_S8_PKffiiPS6_l
; %bb.0:
	s_mov_b32 s16, s15
	s_clause 0x3
	s_load_b128 s[12:15], s[0:1], 0x28
	s_load_b256 s[4:11], s[0:1], 0x0
	s_load_b64 s[2:3], s[0:1], 0x38
	s_load_b32 s34, s[0:1], 0x48
	v_mov_b32_e32 v6, 0
	s_waitcnt lgkmcnt(0)
	s_ashr_i32 s15, s14, 31
	s_mul_hi_u32 s17, s14, s16
	s_mul_i32 s15, s15, s16
	s_ashr_i32 s19, s13, 31
	s_mul_i32 s20, s14, s16
	s_add_i32 s21, s17, s15
	s_mul_hi_u32 s18, s13, s16
	s_mul_i32 s15, s19, s16
	s_lshl_b64 s[20:21], s[20:21], 1
	s_mul_i32 s14, s13, s16
	s_add_i32 s15, s18, s15
	s_add_u32 s28, s8, s20
	s_addc_u32 s29, s9, s21
	s_lshl_b64 s[8:9], s[14:15], 1
	s_mov_b32 s17, 0
	s_add_u32 s30, s2, s8
	s_addc_u32 s31, s3, s9
	s_ashr_i32 s8, s13, 2
	s_add_u32 s20, s0, 0x48
	v_cmp_gt_u32_e64 s2, s8, v0
	s_mov_b32 s18, s13
	s_addc_u32 s21, s1, 0
	s_delay_alu instid0(VALU_DEP_1)
	s_and_saveexec_b32 s3, s2
	s_cbranch_execz .LBB56_10
; %bb.1:
	s_cmp_lt_u32 s16, s34
	v_mov_b32_e32 v2, 0
	s_cselect_b32 s9, 12, 18
                                        ; implicit-def: $sgpr13
	v_mov_b32_e32 v1, v0
	s_add_u32 s22, s20, s9
	s_addc_u32 s23, s21, 0
	s_mov_b32 s9, s17
	global_load_u16 v7, v2, s[22:23]
	s_waitcnt vmcnt(0)
	v_lshlrev_b32_e32 v9, 1, v7
	v_mul_lo_u32 v8, v7, 3
	v_add_nc_u32_e32 v10, v7, v7
	v_mov_b32_e32 v6, v2
	s_branch .LBB56_5
.LBB56_2:                               ;   in Loop: Header=BB56_5 Depth=1
	s_or_b32 exec_lo, exec_lo, s24
	s_delay_alu instid0(SALU_CYCLE_1)
	s_or_not1_b32 s24, s25, exec_lo
.LBB56_3:                               ;   in Loop: Header=BB56_5 Depth=1
	s_or_b32 exec_lo, exec_lo, s23
	s_delay_alu instid0(SALU_CYCLE_1) | instskip(SKIP_1) | instid1(SALU_CYCLE_1)
	s_and_not1_b32 s13, s13, exec_lo
	s_and_b32 s23, s24, exec_lo
	s_or_b32 s13, s13, s23
.LBB56_4:                               ;   in Loop: Header=BB56_5 Depth=1
	s_or_b32 exec_lo, exec_lo, s22
	s_delay_alu instid0(SALU_CYCLE_1) | instskip(NEXT) | instid1(SALU_CYCLE_1)
	s_and_b32 s22, exec_lo, s13
	s_or_b32 s9, s22, s9
	s_delay_alu instid0(SALU_CYCLE_1)
	s_and_not1_b32 exec_lo, exec_lo, s9
	s_cbranch_execz .LBB56_9
.LBB56_5:                               ; =>This Inner Loop Header: Depth=1
	v_lshlrev_b64 v[3:4], 3, v[1:2]
	s_or_b32 s13, s13, exec_lo
	s_mov_b32 s22, exec_lo
	s_delay_alu instid0(VALU_DEP_1) | instskip(NEXT) | instid1(VALU_DEP_2)
	v_add_co_u32 v11, vcc_lo, s28, v3
	v_add_co_ci_u32_e32 v12, vcc_lo, s29, v4, vcc_lo
	v_add_co_u32 v3, vcc_lo, s30, v3
	v_add_co_ci_u32_e32 v4, vcc_lo, s31, v4, vcc_lo
	global_load_b64 v[11:12], v[11:12], off
	global_load_b64 v[3:4], v[3:4], off
	s_waitcnt vmcnt(1)
	v_lshrrev_b32_e32 v5, 16, v11
	s_waitcnt vmcnt(0)
	v_lshrrev_b32_e32 v13, 16, v3
	v_cvt_f32_f16_e32 v11, v11
	v_cvt_f32_f16_e32 v3, v3
	v_lshrrev_b32_e32 v14, 16, v12
	v_cvt_f32_f16_e32 v5, v5
	v_cvt_f32_f16_e32 v13, v13
	s_delay_alu instid0(VALU_DEP_1) | instskip(SKIP_4) | instid1(VALU_DEP_4)
	v_add_f32_e32 v5, v5, v13
	v_add_f32_e32 v3, v11, v3
	v_cvt_f32_f16_e32 v11, v12
	v_lshrrev_b32_e32 v12, 16, v4
	v_cvt_f32_f16_e32 v4, v4
	v_fmac_f32_e32 v6, v3, v3
	v_cvt_f32_f16_e32 v3, v14
	s_delay_alu instid0(VALU_DEP_3) | instskip(SKIP_1) | instid1(VALU_DEP_1)
	v_add_f32_e32 v4, v11, v4
	v_cvt_f32_f16_e32 v11, v12
	v_dual_fmac_f32 v6, v5, v5 :: v_dual_add_f32 v5, v3, v11
	s_delay_alu instid0(VALU_DEP_1) | instskip(NEXT) | instid1(VALU_DEP_1)
	v_dual_fmac_f32 v6, v4, v4 :: v_dual_add_nc_u32 v3, v1, v7
	v_fmac_f32_e32 v6, v5, v5
	s_delay_alu instid0(VALU_DEP_2)
	v_cmpx_gt_u32_e64 s8, v3
	s_cbranch_execz .LBB56_4
; %bb.6:                                ;   in Loop: Header=BB56_5 Depth=1
	v_mov_b32_e32 v4, v2
	s_mov_b32 s24, -1
	s_mov_b32 s23, exec_lo
	s_delay_alu instid0(VALU_DEP_1) | instskip(NEXT) | instid1(VALU_DEP_1)
	v_lshlrev_b64 v[4:5], 3, v[3:4]
	v_add_co_u32 v11, vcc_lo, s28, v4
	s_delay_alu instid0(VALU_DEP_2)
	v_add_co_ci_u32_e32 v12, vcc_lo, s29, v5, vcc_lo
	v_add_co_u32 v4, vcc_lo, s30, v4
	v_add_co_ci_u32_e32 v5, vcc_lo, s31, v5, vcc_lo
	global_load_b64 v[11:12], v[11:12], off
	global_load_b64 v[4:5], v[4:5], off
	s_waitcnt vmcnt(1)
	v_lshrrev_b32_e32 v13, 16, v11
	v_cvt_f32_f16_e32 v11, v11
	s_waitcnt vmcnt(0)
	v_lshrrev_b32_e32 v14, 16, v4
	v_cvt_f32_f16_e32 v4, v4
	v_lshrrev_b32_e32 v15, 16, v12
	v_cvt_f32_f16_e32 v13, v13
	s_delay_alu instid0(VALU_DEP_4) | instskip(NEXT) | instid1(VALU_DEP_4)
	v_cvt_f32_f16_e32 v14, v14
	v_add_f32_e32 v4, v11, v4
	v_cvt_f32_f16_e32 v11, v12
	v_lshrrev_b32_e32 v12, 16, v5
	v_cvt_f32_f16_e32 v5, v5
	s_delay_alu instid0(VALU_DEP_4) | instskip(SKIP_1) | instid1(VALU_DEP_3)
	v_dual_add_f32 v13, v13, v14 :: v_dual_fmac_f32 v6, v4, v4
	v_cvt_f32_f16_e32 v4, v15
	v_add_f32_e32 v5, v11, v5
	v_cvt_f32_f16_e32 v11, v12
	s_delay_alu instid0(VALU_DEP_1) | instskip(NEXT) | instid1(VALU_DEP_1)
	v_dual_fmac_f32 v6, v13, v13 :: v_dual_add_f32 v11, v4, v11
	v_fmac_f32_e32 v6, v5, v5
	v_add_nc_u32_e32 v4, v9, v1
	s_delay_alu instid0(VALU_DEP_2) | instskip(NEXT) | instid1(VALU_DEP_2)
	v_fmac_f32_e32 v6, v11, v11
	v_cmpx_gt_u32_e64 s8, v4
	s_cbranch_execz .LBB56_3
; %bb.7:                                ;   in Loop: Header=BB56_5 Depth=1
	v_mov_b32_e32 v5, v2
	v_add_nc_u32_e32 v1, v8, v1
	s_mov_b32 s25, -1
	s_mov_b32 s24, exec_lo
	s_delay_alu instid0(VALU_DEP_2) | instskip(NEXT) | instid1(VALU_DEP_1)
	v_lshlrev_b64 v[4:5], 3, v[4:5]
	v_add_co_u32 v11, vcc_lo, s28, v4
	s_delay_alu instid0(VALU_DEP_2)
	v_add_co_ci_u32_e32 v12, vcc_lo, s29, v5, vcc_lo
	v_add_co_u32 v4, vcc_lo, s30, v4
	v_add_co_ci_u32_e32 v5, vcc_lo, s31, v5, vcc_lo
	global_load_b64 v[11:12], v[11:12], off
	global_load_b64 v[4:5], v[4:5], off
	s_waitcnt vmcnt(1)
	v_lshrrev_b32_e32 v13, 16, v11
	v_cvt_f32_f16_e32 v11, v11
	s_waitcnt vmcnt(0)
	v_lshrrev_b32_e32 v14, 16, v4
	v_cvt_f32_f16_e32 v4, v4
	v_lshrrev_b32_e32 v15, 16, v12
	v_cvt_f32_f16_e32 v13, v13
	s_delay_alu instid0(VALU_DEP_4) | instskip(NEXT) | instid1(VALU_DEP_4)
	v_cvt_f32_f16_e32 v14, v14
	v_add_f32_e32 v4, v11, v4
	v_cvt_f32_f16_e32 v11, v12
	v_lshrrev_b32_e32 v12, 16, v5
	v_cvt_f32_f16_e32 v5, v5
	s_delay_alu instid0(VALU_DEP_4) | instskip(SKIP_1) | instid1(VALU_DEP_3)
	v_dual_add_f32 v13, v13, v14 :: v_dual_fmac_f32 v6, v4, v4
	v_cvt_f32_f16_e32 v4, v15
	v_add_f32_e32 v5, v11, v5
	v_cvt_f32_f16_e32 v11, v12
	s_delay_alu instid0(VALU_DEP_4) | instskip(NEXT) | instid1(VALU_DEP_2)
	v_fmac_f32_e32 v6, v13, v13
	v_add_f32_e32 v4, v4, v11
	s_delay_alu instid0(VALU_DEP_2) | instskip(NEXT) | instid1(VALU_DEP_1)
	v_fmac_f32_e32 v6, v5, v5
	v_fmac_f32_e32 v6, v4, v4
	v_cmpx_gt_u32_e64 s8, v1
	s_xor_b32 s24, exec_lo, s24
	s_cbranch_execz .LBB56_2
; %bb.8:                                ;   in Loop: Header=BB56_5 Depth=1
	v_lshlrev_b64 v[4:5], 3, v[1:2]
	s_delay_alu instid0(VALU_DEP_1) | instskip(NEXT) | instid1(VALU_DEP_2)
	v_add_co_u32 v11, vcc_lo, s28, v4
	v_add_co_ci_u32_e32 v12, vcc_lo, s29, v5, vcc_lo
	v_add_co_u32 v4, vcc_lo, s30, v4
	v_add_co_ci_u32_e32 v5, vcc_lo, s31, v5, vcc_lo
	global_load_b64 v[11:12], v[11:12], off
	global_load_b64 v[4:5], v[4:5], off
	s_waitcnt vmcnt(1)
	v_lshrrev_b32_e32 v1, 16, v11
	v_cvt_f32_f16_e32 v11, v11
	s_waitcnt vmcnt(0)
	v_lshrrev_b32_e32 v13, 16, v4
	v_cvt_f32_f16_e32 v4, v4
	v_lshrrev_b32_e32 v14, 16, v12
	v_cvt_f32_f16_e32 v1, v1
	s_delay_alu instid0(VALU_DEP_4) | instskip(NEXT) | instid1(VALU_DEP_4)
	v_cvt_f32_f16_e32 v13, v13
	v_add_f32_e32 v4, v11, v4
	v_cvt_f32_f16_e32 v11, v12
	v_lshrrev_b32_e32 v12, 16, v5
	v_cvt_f32_f16_e32 v5, v5
	s_delay_alu instid0(VALU_DEP_4) | instskip(SKIP_1) | instid1(VALU_DEP_3)
	v_dual_add_f32 v1, v1, v13 :: v_dual_fmac_f32 v6, v4, v4
	v_cvt_f32_f16_e32 v4, v14
	v_add_f32_e32 v5, v11, v5
	v_cvt_f32_f16_e32 v11, v12
	s_delay_alu instid0(VALU_DEP_4) | instskip(SKIP_1) | instid1(VALU_DEP_2)
	v_fmac_f32_e32 v6, v1, v1
	v_add3_u32 v1, v10, v7, v3
	v_dual_add_f32 v3, v4, v11 :: v_dual_fmac_f32 v6, v5, v5
	s_delay_alu instid0(VALU_DEP_2) | instskip(NEXT) | instid1(VALU_DEP_2)
	v_cmp_le_u32_e32 vcc_lo, s8, v1
	v_fmac_f32_e32 v6, v3, v3
	s_or_not1_b32 s25, vcc_lo, exec_lo
	s_branch .LBB56_2
.LBB56_9:
	s_or_b32 exec_lo, exec_lo, s9
.LBB56_10:
	s_delay_alu instid0(SALU_CYCLE_1) | instskip(SKIP_4) | instid1(VALU_DEP_2)
	s_or_b32 exec_lo, exec_lo, s3
	v_mbcnt_lo_u32_b32 v1, -1, 0
	s_load_b32 s3, s[20:21], 0xc
	v_and_b32_e32 v7, 0x3e0, v0
	s_mov_b32 s9, exec_lo
	v_cmp_ne_u32_e32 vcc_lo, 31, v1
	v_add_nc_u32_e32 v3, 1, v1
	v_add_co_ci_u32_e32 v2, vcc_lo, 0, v1, vcc_lo
	v_cmp_gt_u32_e32 vcc_lo, 30, v1
	s_delay_alu instid0(VALU_DEP_2)
	v_lshlrev_b32_e32 v2, 2, v2
	v_cndmask_b32_e64 v5, 0, 1, vcc_lo
	ds_bpermute_b32 v4, v2, v6
	s_waitcnt lgkmcnt(0)
	s_and_b32 s3, s3, 0xffff
	v_lshlrev_b32_e32 v5, 1, v5
	v_sub_nc_u32_e64 v12, s3, v7 clamp
	s_delay_alu instid0(VALU_DEP_1) | instskip(SKIP_1) | instid1(VALU_DEP_4)
	v_cmp_lt_u32_e32 vcc_lo, v3, v12
	v_add_f32_e32 v7, v6, v4
	v_add_lshl_u32 v4, v5, v1, 2
	s_delay_alu instid0(VALU_DEP_2) | instskip(SKIP_2) | instid1(VALU_DEP_1)
	v_cndmask_b32_e32 v7, v6, v7, vcc_lo
	v_cmp_gt_u32_e32 vcc_lo, 28, v1
	v_cndmask_b32_e64 v5, 0, 1, vcc_lo
	v_lshlrev_b32_e32 v8, 2, v5
	ds_bpermute_b32 v6, v4, v7
	v_add_nc_u32_e32 v5, 2, v1
	s_delay_alu instid0(VALU_DEP_1) | instskip(SKIP_3) | instid1(VALU_DEP_2)
	v_cmp_lt_u32_e32 vcc_lo, v5, v12
	s_waitcnt lgkmcnt(0)
	v_add_f32_e32 v9, v7, v6
	v_add_lshl_u32 v6, v8, v1, 2
	v_cndmask_b32_e32 v9, v7, v9, vcc_lo
	v_cmp_gt_u32_e32 vcc_lo, 24, v1
	ds_bpermute_b32 v8, v6, v9
	v_cndmask_b32_e64 v7, 0, 1, vcc_lo
	s_delay_alu instid0(VALU_DEP_1) | instskip(SKIP_1) | instid1(VALU_DEP_1)
	v_lshlrev_b32_e32 v10, 3, v7
	v_add_nc_u32_e32 v7, 4, v1
	v_cmp_lt_u32_e32 vcc_lo, v7, v12
	s_waitcnt lgkmcnt(0)
	v_add_f32_e32 v11, v9, v8
	v_add_lshl_u32 v8, v10, v1, 2
	s_delay_alu instid0(VALU_DEP_2) | instskip(SKIP_3) | instid1(VALU_DEP_1)
	v_cndmask_b32_e32 v11, v9, v11, vcc_lo
	v_cmp_gt_u32_e32 vcc_lo, 16, v1
	ds_bpermute_b32 v10, v8, v11
	v_cndmask_b32_e64 v9, 0, 1, vcc_lo
	v_lshlrev_b32_e32 v13, 4, v9
	v_add_nc_u32_e32 v9, 8, v1
	s_delay_alu instid0(VALU_DEP_1) | instskip(SKIP_3) | instid1(VALU_DEP_2)
	v_cmp_lt_u32_e32 vcc_lo, v9, v12
	s_waitcnt lgkmcnt(0)
	v_add_f32_e32 v14, v11, v10
	v_add_lshl_u32 v10, v13, v1, 2
	v_cndmask_b32_e32 v13, v11, v14, vcc_lo
	v_add_nc_u32_e32 v11, 16, v1
	ds_bpermute_b32 v14, v10, v13
	v_cmp_lt_u32_e32 vcc_lo, v11, v12
	s_waitcnt lgkmcnt(0)
	v_add_f32_e32 v14, v13, v14
	s_delay_alu instid0(VALU_DEP_1)
	v_cndmask_b32_e32 v12, v13, v14, vcc_lo
	v_cmpx_eq_u32_e32 0, v1
	s_cbranch_execz .LBB56_12
; %bb.11:
	v_lshrrev_b32_e32 v13, 3, v0
	s_delay_alu instid0(VALU_DEP_1)
	v_and_b32_e32 v13, 0x7c, v13
	ds_store_b32 v13, v12 offset:4096
.LBB56_12:
	s_or_b32 exec_lo, exec_lo, s9
	s_delay_alu instid0(SALU_CYCLE_1)
	s_mov_b32 s9, exec_lo
	s_waitcnt lgkmcnt(0)
	s_barrier
	buffer_gl0_inv
	v_cmpx_gt_u32_e32 32, v0
	s_cbranch_execz .LBB56_14
; %bb.13:
	v_lshlrev_b32_e32 v1, 2, v1
	s_add_i32 s3, s3, 31
	s_delay_alu instid0(SALU_CYCLE_1) | instskip(NEXT) | instid1(SALU_CYCLE_1)
	s_lshr_b32 s3, s3, 5
	v_cmp_gt_u32_e32 vcc_lo, s3, v3
	ds_load_b32 v1, v1 offset:4096
	s_waitcnt lgkmcnt(0)
	ds_bpermute_b32 v2, v2, v1
	s_waitcnt lgkmcnt(0)
	v_add_f32_e32 v2, v1, v2
	s_delay_alu instid0(VALU_DEP_1) | instskip(SKIP_4) | instid1(VALU_DEP_1)
	v_cndmask_b32_e32 v1, v1, v2, vcc_lo
	v_cmp_gt_u32_e32 vcc_lo, s3, v5
	ds_bpermute_b32 v2, v4, v1
	s_waitcnt lgkmcnt(0)
	v_add_f32_e32 v2, v1, v2
	v_cndmask_b32_e32 v1, v1, v2, vcc_lo
	v_cmp_gt_u32_e32 vcc_lo, s3, v7
	ds_bpermute_b32 v2, v6, v1
	s_waitcnt lgkmcnt(0)
	v_add_f32_e32 v2, v1, v2
	s_delay_alu instid0(VALU_DEP_1) | instskip(SKIP_4) | instid1(VALU_DEP_1)
	v_cndmask_b32_e32 v1, v1, v2, vcc_lo
	v_cmp_gt_u32_e32 vcc_lo, s3, v9
	ds_bpermute_b32 v2, v8, v1
	s_waitcnt lgkmcnt(0)
	v_add_f32_e32 v2, v1, v2
	v_cndmask_b32_e32 v1, v1, v2, vcc_lo
	v_cmp_gt_u32_e32 vcc_lo, s3, v11
	ds_bpermute_b32 v2, v10, v1
	s_waitcnt lgkmcnt(0)
	v_add_f32_e32 v2, v1, v2
	s_delay_alu instid0(VALU_DEP_1)
	v_cndmask_b32_e32 v12, v1, v2, vcc_lo
.LBB56_14:
	s_or_b32 exec_lo, exec_lo, s9
	s_delay_alu instid0(SALU_CYCLE_1)
	s_mov_b32 s3, exec_lo
	v_cmpx_eq_u32_e32 0, v0
	s_cbranch_execz .LBB56_16
; %bb.15:
	v_cvt_f32_i32_e32 v1, s18
	s_delay_alu instid0(VALU_DEP_1) | instskip(SKIP_1) | instid1(VALU_DEP_2)
	v_div_scale_f32 v2, null, v1, v1, v12
	v_div_scale_f32 v5, vcc_lo, v12, v1, v12
	v_rcp_f32_e32 v3, v2
	s_waitcnt_depctr 0xfff
	v_fma_f32 v4, -v2, v3, 1.0
	s_delay_alu instid0(VALU_DEP_1) | instskip(NEXT) | instid1(VALU_DEP_1)
	v_fmac_f32_e32 v3, v4, v3
	v_mul_f32_e32 v4, v5, v3
	s_delay_alu instid0(VALU_DEP_1) | instskip(NEXT) | instid1(VALU_DEP_1)
	v_fma_f32 v6, -v2, v4, v5
	v_fmac_f32_e32 v4, v6, v3
	s_delay_alu instid0(VALU_DEP_1) | instskip(NEXT) | instid1(VALU_DEP_1)
	v_fma_f32 v2, -v2, v4, v5
	v_div_fmas_f32 v2, v2, v3, v4
	s_delay_alu instid0(VALU_DEP_1) | instskip(NEXT) | instid1(VALU_DEP_1)
	v_div_fixup_f32 v1, v2, v1, v12
	v_add_f32_e32 v1, s12, v1
	s_delay_alu instid0(VALU_DEP_1) | instskip(SKIP_1) | instid1(VALU_DEP_2)
	v_mul_f32_e32 v2, 0x4b800000, v1
	v_cmp_gt_f32_e32 vcc_lo, 0x800000, v1
	v_cndmask_b32_e32 v1, v1, v2, vcc_lo
	s_delay_alu instid0(VALU_DEP_1) | instskip(SKIP_2) | instid1(VALU_DEP_1)
	v_rsq_f32_e32 v1, v1
	s_waitcnt_depctr 0xfff
	v_mul_f32_e32 v2, 0x45800000, v1
	v_dual_cndmask_b32 v1, v1, v2 :: v_dual_mov_b32 v2, 0
	ds_store_b32 v2, v1 offset:4224
.LBB56_16:
	s_or_b32 exec_lo, exec_lo, s3
	s_ashr_i32 s3, s18, 31
	v_mov_b32_e32 v4, 0
	s_lshr_b32 s3, s3, 26
	s_waitcnt lgkmcnt(0)
	s_add_i32 s3, s18, s3
	s_barrier
	s_ashr_i32 s12, s3, 6
	s_cmp_lt_u32 s16, s34
	buffer_gl0_inv
	s_cselect_b32 s9, 12, 18
	ds_load_b32 v28, v4 offset:4224
	s_add_u32 s20, s20, s9
	s_addc_u32 s21, s21, 0
	s_abs_i32 s9, s12
	global_load_u16 v1, v4, s[20:21]
	v_cvt_f32_u32_e32 v2, s9
	s_sub_i32 s20, 0, s9
	s_ashr_i32 s3, s3, 31
	s_delay_alu instid0(VALU_DEP_1) | instskip(SKIP_2) | instid1(VALU_DEP_1)
	v_rcp_iflag_f32_e32 v2, v2
	s_waitcnt_depctr 0xfff
	v_mul_f32_e32 v2, 0x4f7ffffe, v2
	v_cvt_u32_f32_e32 v2, v2
	s_delay_alu instid0(VALU_DEP_1) | instskip(NEXT) | instid1(VALU_DEP_1)
	v_readfirstlane_b32 s13, v2
	s_mul_i32 s20, s20, s13
	s_delay_alu instid0(SALU_CYCLE_1) | instskip(NEXT) | instid1(SALU_CYCLE_1)
	s_mul_hi_u32 s20, s13, s20
	s_add_i32 s13, s13, s20
	s_waitcnt vmcnt(0)
	v_readfirstlane_b32 s33, v1
	s_delay_alu instid0(VALU_DEP_1) | instskip(NEXT) | instid1(SALU_CYCLE_1)
	s_mul_hi_u32 s13, s33, s13
	s_mul_i32 s20, s13, s9
	s_add_i32 s21, s13, 1
	s_sub_i32 s20, s33, s20
	s_delay_alu instid0(SALU_CYCLE_1)
	s_sub_i32 s22, s20, s9
	s_cmp_ge_u32 s20, s9
	s_cselect_b32 s13, s21, s13
	s_cselect_b32 s20, s22, s20
	s_add_i32 s21, s13, 1
	s_cmp_ge_u32 s20, s9
	s_cselect_b32 s9, s21, s13
	s_delay_alu instid0(SALU_CYCLE_1) | instskip(NEXT) | instid1(SALU_CYCLE_1)
	s_xor_b32 s9, s9, s3
	s_sub_i32 s20, s9, s3
	s_delay_alu instid0(SALU_CYCLE_1) | instskip(SKIP_3) | instid1(VALU_DEP_1)
	s_abs_i32 s3, s20
	s_ashr_i32 s21, s20, 31
	v_cvt_f32_u32_e32 v1, s3
	s_sub_i32 s9, 0, s3
	v_rcp_iflag_f32_e32 v1, v1
	s_waitcnt_depctr 0xfff
	v_mul_f32_e32 v1, 0x4f7ffffe, v1
	s_delay_alu instid0(VALU_DEP_1) | instskip(NEXT) | instid1(VALU_DEP_1)
	v_cvt_u32_f32_e32 v1, v1
	v_mul_lo_u32 v2, s9, v1
	s_ashr_i32 s9, s8, 31
	s_delay_alu instid0(VALU_DEP_1) | instskip(NEXT) | instid1(VALU_DEP_1)
	v_mul_hi_u32 v2, v1, v2
	v_add_nc_u32_e32 v1, v1, v2
	s_delay_alu instid0(VALU_DEP_1) | instskip(NEXT) | instid1(VALU_DEP_1)
	v_mul_hi_u32 v1, v0, v1
	v_mul_lo_u32 v2, v1, s3
	v_add_nc_u32_e32 v3, 1, v1
	s_delay_alu instid0(VALU_DEP_2) | instskip(NEXT) | instid1(VALU_DEP_1)
	v_sub_nc_u32_e32 v2, v0, v2
	v_subrev_nc_u32_e32 v5, s3, v2
	v_cmp_le_u32_e32 vcc_lo, s3, v2
	s_delay_alu instid0(VALU_DEP_2) | instskip(NEXT) | instid1(VALU_DEP_1)
	v_dual_cndmask_b32 v2, v2, v5 :: v_dual_cndmask_b32 v1, v1, v3
	v_cmp_le_u32_e32 vcc_lo, s3, v2
	s_delay_alu instid0(VALU_DEP_2) | instskip(NEXT) | instid1(VALU_DEP_1)
	v_add_nc_u32_e32 v3, 1, v1
	v_cndmask_b32_e32 v1, v1, v3, vcc_lo
	s_delay_alu instid0(VALU_DEP_1) | instskip(NEXT) | instid1(VALU_DEP_1)
	v_xor_b32_e32 v1, s21, v1
	v_subrev_nc_u32_e32 v1, s21, v1
	s_delay_alu instid0(VALU_DEP_1) | instskip(SKIP_1) | instid1(VALU_DEP_2)
	v_ashrrev_i32_e32 v2, 31, v1
	v_mul_lo_u32 v3, v1, s20
	v_lshlrev_b64 v[7:8], 4, v[1:2]
	s_delay_alu instid0(VALU_DEP_2) | instskip(NEXT) | instid1(VALU_DEP_2)
	v_sub_nc_u32_e32 v3, v0, v3
	v_add_co_u32 v5, vcc_lo, v7, 16
	s_delay_alu instid0(VALU_DEP_3) | instskip(NEXT) | instid1(VALU_DEP_1)
	v_add_co_ci_u32_e32 v6, vcc_lo, 0, v8, vcc_lo
	v_cmp_gt_i64_e32 vcc_lo, s[8:9], v[5:6]
	v_cndmask_b32_e32 v6, s9, v6, vcc_lo
	v_cndmask_b32_e32 v5, s8, v5, vcc_lo
	v_add_co_u32 v7, vcc_lo, v7, v3
	v_add_co_ci_u32_e32 v8, vcc_lo, 0, v8, vcc_lo
	s_delay_alu instid0(VALU_DEP_3) | instskip(SKIP_2) | instid1(VALU_DEP_1)
	v_ashrrev_i32_e32 v10, 31, v5
	v_mov_b32_e32 v9, v5
	s_mov_b32 s9, exec_lo
	v_cmpx_lt_i64_e64 v[7:8], v[9:10]
	s_cbranch_execz .LBB56_26
; %bb.17:
	v_lshlrev_b64 v[11:12], 7, v[1:2]
	v_lshlrev_b64 v[13:14], 3, v[3:4]
	v_mov_b32_e32 v4, 0
	s_lshl_b64 s[22:23], s[20:21], 5
	s_mul_hi_i32 s13, s20, 3
	s_mul_i32 s35, s20, 3
	s_lshl_b64 s[24:25], s[20:21], 1
	v_add_co_u32 v21, vcc_lo, v11, v13
	v_add_co_ci_u32_e32 v22, vcc_lo, v12, v14, vcc_lo
	v_dual_mov_b32 v12, v8 :: v_dual_mov_b32 v11, v7
	s_lshl_b64 s[26:27], s[20:21], 3
	s_mov_b32 s36, 0
                                        ; implicit-def: $sgpr37
	s_branch .LBB56_21
.LBB56_18:                              ;   in Loop: Header=BB56_21 Depth=1
	s_or_b32 exec_lo, exec_lo, s40
	s_delay_alu instid0(SALU_CYCLE_1)
	s_or_not1_b32 s3, s3, exec_lo
.LBB56_19:                              ;   in Loop: Header=BB56_21 Depth=1
	s_or_b32 exec_lo, exec_lo, s39
	s_delay_alu instid0(SALU_CYCLE_1) | instskip(SKIP_1) | instid1(SALU_CYCLE_1)
	s_and_not1_b32 s37, s37, exec_lo
	s_and_b32 s3, s3, exec_lo
	s_or_b32 s37, s37, s3
.LBB56_20:                              ;   in Loop: Header=BB56_21 Depth=1
	s_or_b32 exec_lo, exec_lo, s38
	s_delay_alu instid0(SALU_CYCLE_1) | instskip(NEXT) | instid1(SALU_CYCLE_1)
	s_and_b32 s3, exec_lo, s37
	s_or_b32 s36, s3, s36
	s_delay_alu instid0(SALU_CYCLE_1)
	s_and_not1_b32 exec_lo, exec_lo, s36
	s_cbranch_execz .LBB56_25
.LBB56_21:                              ; =>This Inner Loop Header: Depth=1
	v_add_co_u32 v15, vcc_lo, s28, v21
	v_add_co_ci_u32_e32 v16, vcc_lo, s29, v22, vcc_lo
	v_add_co_u32 v19, vcc_lo, s30, v21
	v_add_co_ci_u32_e32 v20, vcc_lo, s31, v22, vcc_lo
	v_add_co_u32 v17, vcc_lo, s10, v21
	global_load_b64 v[13:14], v[15:16], off
	global_load_b64 v[23:24], v[19:20], off
	v_add_co_ci_u32_e32 v18, vcc_lo, s11, v22, vcc_lo
	s_or_b32 s37, s37, exec_lo
	s_mov_b32 s38, exec_lo
	global_load_b64 v[25:26], v[17:18], off
	s_waitcnt vmcnt(2)
	v_lshrrev_b32_e32 v27, 16, v13
	s_waitcnt vmcnt(1)
	v_lshrrev_b32_e32 v30, 16, v23
	v_lshrrev_b32_e32 v29, 16, v14
	v_cvt_f32_f16_e32 v13, v13
	v_lshrrev_b32_e32 v31, 16, v24
	v_cvt_f32_f16_e32 v23, v23
	v_cvt_f32_f16_e32 v27, v27
	;; [unrolled: 1-line block ×6, first 2 shown]
	v_add_f32_e32 v13, v13, v23
	v_cvt_f32_f16_e32 v23, v31
	s_delay_alu instid0(VALU_DEP_4)
	v_dual_add_f32 v27, v27, v30 :: v_dual_add_f32 v14, v14, v24
	s_waitcnt vmcnt(0)
	v_lshrrev_b32_e32 v30, 16, v25
	s_waitcnt lgkmcnt(0)
	v_fma_mixlo_f16 v13, v28, v13, 0
	v_add_f32_e32 v23, v29, v23
	v_fma_mixlo_f16 v24, v28, v27, 0
	v_lshrrev_b32_e32 v27, 16, v26
	v_fma_mixlo_f16 v14, v28, v14, 0
	v_mul_f16_e32 v13, v25, v13
	v_fma_mixlo_f16 v23, v28, v23, 0
	v_mul_f16_e32 v24, v30, v24
	s_delay_alu instid0(VALU_DEP_4) | instskip(NEXT) | instid1(VALU_DEP_4)
	v_mul_f16_e32 v25, v26, v14
	v_cvt_f32_f16_e64 v26, |v13|
	s_delay_alu instid0(VALU_DEP_4) | instskip(NEXT) | instid1(VALU_DEP_4)
	v_mul_f16_e32 v23, v27, v23
	v_cvt_f32_f16_e64 v24, |v24|
	v_add_co_u32 v13, vcc_lo, v11, s20
	v_cvt_f32_f16_e64 v25, |v25|
	s_delay_alu instid0(VALU_DEP_4) | instskip(NEXT) | instid1(VALU_DEP_4)
	v_cvt_f32_f16_e64 v23, |v23|
	v_max3_f32 v4, v4, v26, v24
	v_add_co_ci_u32_e32 v14, vcc_lo, s21, v12, vcc_lo
	s_delay_alu instid0(VALU_DEP_2) | instskip(NEXT) | instid1(VALU_DEP_2)
	v_max3_f32 v4, v4, v25, v23
	v_cmpx_lt_i64_e64 v[13:14], v[9:10]
	s_cbranch_execz .LBB56_20
; %bb.22:                               ;   in Loop: Header=BB56_21 Depth=1
	v_add_co_u32 v15, vcc_lo, v15, s26
	v_add_co_ci_u32_e32 v16, vcc_lo, s27, v16, vcc_lo
	v_add_co_u32 v19, vcc_lo, v19, s26
	v_add_co_ci_u32_e32 v20, vcc_lo, s27, v20, vcc_lo
	v_add_co_u32 v17, vcc_lo, v17, s26
	global_load_b64 v[23:24], v[15:16], off
	global_load_b64 v[25:26], v[19:20], off
	v_add_co_ci_u32_e32 v18, vcc_lo, s27, v18, vcc_lo
	s_mov_b32 s3, -1
	s_mov_b32 s39, exec_lo
	global_load_b64 v[29:30], v[17:18], off
	s_waitcnt vmcnt(2)
	v_lshrrev_b32_e32 v27, 16, v23
	s_waitcnt vmcnt(1)
	v_lshrrev_b32_e32 v32, 16, v25
	v_lshrrev_b32_e32 v31, 16, v24
	v_cvt_f32_f16_e32 v23, v23
	v_lshrrev_b32_e32 v33, 16, v26
	v_cvt_f32_f16_e32 v25, v25
	v_cvt_f32_f16_e32 v27, v27
	;; [unrolled: 1-line block ×6, first 2 shown]
	v_add_f32_e32 v23, v23, v25
	v_cvt_f32_f16_e32 v25, v33
	s_delay_alu instid0(VALU_DEP_4)
	v_dual_add_f32 v27, v27, v32 :: v_dual_add_f32 v24, v24, v26
	s_waitcnt vmcnt(0)
	v_lshrrev_b32_e32 v32, 16, v29
	v_fma_mixlo_f16 v23, v28, v23, 0
	v_add_f32_e32 v25, v31, v25
	v_fma_mixlo_f16 v26, v28, v27, 0
	v_lshrrev_b32_e32 v27, 16, v30
	v_fma_mixlo_f16 v24, v28, v24, 0
	v_mul_f16_e32 v23, v29, v23
	v_fma_mixlo_f16 v25, v28, v25, 0
	v_mul_f16_e32 v26, v32, v26
	s_delay_alu instid0(VALU_DEP_4) | instskip(NEXT) | instid1(VALU_DEP_4)
	v_mul_f16_e32 v29, v30, v24
	v_cvt_f32_f16_e64 v30, |v23|
	s_delay_alu instid0(VALU_DEP_4) | instskip(NEXT) | instid1(VALU_DEP_4)
	v_mul_f16_e32 v25, v27, v25
	v_cvt_f32_f16_e64 v26, |v26|
	v_add_co_u32 v23, vcc_lo, s24, v11
	v_cvt_f32_f16_e64 v27, |v29|
	s_delay_alu instid0(VALU_DEP_4) | instskip(NEXT) | instid1(VALU_DEP_4)
	v_cvt_f32_f16_e64 v25, |v25|
	v_max3_f32 v4, v4, v30, v26
	v_add_co_ci_u32_e32 v24, vcc_lo, s25, v12, vcc_lo
	s_delay_alu instid0(VALU_DEP_2) | instskip(NEXT) | instid1(VALU_DEP_2)
	v_max3_f32 v4, v4, v27, v25
	v_cmpx_lt_i64_e64 v[23:24], v[9:10]
	s_cbranch_execz .LBB56_19
; %bb.23:                               ;   in Loop: Header=BB56_21 Depth=1
	v_add_co_u32 v15, vcc_lo, v15, s26
	v_add_co_ci_u32_e32 v16, vcc_lo, s27, v16, vcc_lo
	v_add_co_u32 v19, vcc_lo, v19, s26
	v_add_co_ci_u32_e32 v20, vcc_lo, s27, v20, vcc_lo
	v_add_co_u32 v17, vcc_lo, v17, s26
	global_load_b64 v[23:24], v[15:16], off
	global_load_b64 v[25:26], v[19:20], off
	v_add_co_ci_u32_e32 v18, vcc_lo, s27, v18, vcc_lo
	v_add_co_u32 v11, vcc_lo, s35, v11
	v_add_co_ci_u32_e32 v12, vcc_lo, s13, v12, vcc_lo
	global_load_b64 v[29:30], v[17:18], off
	v_cmp_lt_i64_e32 vcc_lo, v[11:12], v[9:10]
                                        ; implicit-def: $vgpr11_vgpr12
	s_waitcnt vmcnt(2)
	v_lshrrev_b32_e32 v27, 16, v23
	s_waitcnt vmcnt(1)
	v_lshrrev_b32_e32 v32, 16, v25
	v_lshrrev_b32_e32 v31, 16, v24
	v_cvt_f32_f16_e32 v23, v23
	v_lshrrev_b32_e32 v33, 16, v26
	v_cvt_f32_f16_e32 v25, v25
	v_cvt_f32_f16_e32 v27, v27
	;; [unrolled: 1-line block ×6, first 2 shown]
	v_add_f32_e32 v23, v23, v25
	v_cvt_f32_f16_e32 v25, v33
	s_delay_alu instid0(VALU_DEP_4)
	v_dual_add_f32 v27, v27, v32 :: v_dual_add_f32 v24, v24, v26
	s_waitcnt vmcnt(0)
	v_lshrrev_b32_e32 v32, 16, v29
	v_fma_mixlo_f16 v23, v28, v23, 0
	v_add_f32_e32 v25, v31, v25
	v_fma_mixlo_f16 v26, v28, v27, 0
	v_lshrrev_b32_e32 v27, 16, v30
	v_fma_mixlo_f16 v24, v28, v24, 0
	v_mul_f16_e32 v23, v29, v23
	v_fma_mixlo_f16 v25, v28, v25, 0
	v_mul_f16_e32 v26, v32, v26
	s_delay_alu instid0(VALU_DEP_4) | instskip(NEXT) | instid1(VALU_DEP_4)
	v_mul_f16_e32 v24, v30, v24
	v_cvt_f32_f16_e64 v23, |v23|
	s_delay_alu instid0(VALU_DEP_4) | instskip(NEXT) | instid1(VALU_DEP_4)
	v_mul_f16_e32 v25, v27, v25
	v_cvt_f32_f16_e64 v26, |v26|
	s_delay_alu instid0(VALU_DEP_4) | instskip(NEXT) | instid1(VALU_DEP_2)
	v_cvt_f32_f16_e64 v24, |v24|
	v_max3_f32 v4, v4, v23, v26
	s_delay_alu instid0(VALU_DEP_4) | instskip(NEXT) | instid1(VALU_DEP_1)
	v_cvt_f32_f16_e64 v23, |v25|
	v_max3_f32 v4, v4, v24, v23
	s_and_saveexec_b32 s40, vcc_lo
	s_delay_alu instid0(SALU_CYCLE_1)
	s_xor_b32 s40, exec_lo, s40
	s_cbranch_execz .LBB56_18
; %bb.24:                               ;   in Loop: Header=BB56_21 Depth=1
	v_add_co_u32 v11, vcc_lo, v15, s26
	v_add_co_ci_u32_e32 v12, vcc_lo, s27, v16, vcc_lo
	v_add_co_u32 v15, vcc_lo, v19, s26
	v_add_co_ci_u32_e32 v16, vcc_lo, s27, v20, vcc_lo
	v_add_co_u32 v17, vcc_lo, v17, s26
	global_load_b64 v[11:12], v[11:12], off
	global_load_b64 v[15:16], v[15:16], off
	v_add_co_ci_u32_e32 v18, vcc_lo, s27, v18, vcc_lo
	s_add_u32 s3, s20, s20
	s_addc_u32 s41, s21, s21
	s_add_u32 s3, s3, s20
	global_load_b64 v[17:18], v[17:18], off
	s_addc_u32 s41, s41, s21
	s_waitcnt vmcnt(2)
	v_lshrrev_b32_e32 v19, 16, v11
	s_waitcnt vmcnt(1)
	v_lshrrev_b32_e32 v23, 16, v15
	v_lshrrev_b32_e32 v20, 16, v12
	v_cvt_f32_f16_e32 v11, v11
	v_lshrrev_b32_e32 v24, 16, v16
	v_cvt_f32_f16_e32 v15, v15
	v_cvt_f32_f16_e32 v19, v19
	;; [unrolled: 1-line block ×6, first 2 shown]
	v_add_f32_e32 v11, v11, v15
	v_cvt_f32_f16_e32 v15, v24
	s_delay_alu instid0(VALU_DEP_4)
	v_dual_add_f32 v19, v19, v23 :: v_dual_add_f32 v12, v12, v16
	s_waitcnt vmcnt(0)
	v_lshrrev_b32_e32 v23, 16, v17
	v_fma_mixlo_f16 v11, v28, v11, 0
	v_add_f32_e32 v15, v20, v15
	v_fma_mixlo_f16 v16, v28, v19, 0
	v_lshrrev_b32_e32 v19, 16, v18
	v_fma_mixlo_f16 v12, v28, v12, 0
	v_mul_f16_e32 v11, v17, v11
	v_fma_mixlo_f16 v15, v28, v15, 0
	v_mul_f16_e32 v16, v23, v16
	s_delay_alu instid0(VALU_DEP_4) | instskip(NEXT) | instid1(VALU_DEP_4)
	v_mul_f16_e32 v17, v18, v12
	v_cvt_f32_f16_e64 v18, |v11|
	s_delay_alu instid0(VALU_DEP_4) | instskip(NEXT) | instid1(VALU_DEP_4)
	v_mul_f16_e32 v15, v19, v15
	v_cvt_f32_f16_e64 v16, |v16|
	v_add_co_u32 v11, vcc_lo, s3, v13
	v_add_co_ci_u32_e32 v12, vcc_lo, s41, v14, vcc_lo
	v_cvt_f32_f16_e64 v13, |v17|
	v_cvt_f32_f16_e64 v14, |v15|
	v_max3_f32 v4, v4, v18, v16
	s_delay_alu instid0(VALU_DEP_4) | instskip(SKIP_1) | instid1(VALU_DEP_1)
	v_cmp_ge_i64_e32 vcc_lo, v[11:12], v[9:10]
	v_add_co_u32 v21, s3, v21, s22
	v_add_co_ci_u32_e64 v22, s3, s23, v22, s3
	s_delay_alu instid0(VALU_DEP_4)
	v_max3_f32 v4, v4, v13, v14
	s_or_not1_b32 s3, vcc_lo, exec_lo
	s_branch .LBB56_18
.LBB56_25:
	s_or_b32 exec_lo, exec_lo, s36
.LBB56_26:
	s_delay_alu instid0(SALU_CYCLE_1)
	s_or_b32 exec_lo, exec_lo, s9
	s_lshr_b32 s9, s33, 5
	v_lshlrev_b32_e32 v29, 2, v0
	v_cvt_f32_u32_e32 v9, s9
	s_sub_i32 s13, 0, s9
	s_add_i32 s22, s12, s9
	s_delay_alu instid0(SALU_CYCLE_1) | instskip(NEXT) | instid1(VALU_DEP_1)
	s_add_i32 s22, s22, -1
	v_rcp_iflag_f32_e32 v9, v9
	s_abs_i32 s23, s22
	s_ashr_i32 s22, s22, 31
	ds_store_b32 v29, v4
	s_waitcnt lgkmcnt(0)
	s_barrier
	buffer_gl0_inv
	v_mul_f32_e32 v9, 0x4f7ffffe, v9
	s_delay_alu instid0(VALU_DEP_1) | instskip(NEXT) | instid1(VALU_DEP_1)
	v_cvt_u32_f32_e32 v9, v9
	v_readfirstlane_b32 s3, v9
	s_delay_alu instid0(VALU_DEP_1) | instskip(NEXT) | instid1(SALU_CYCLE_1)
	s_mul_i32 s13, s13, s3
	s_mul_hi_u32 s13, s3, s13
	s_delay_alu instid0(SALU_CYCLE_1) | instskip(NEXT) | instid1(SALU_CYCLE_1)
	s_add_i32 s3, s3, s13
	s_mul_hi_u32 s3, s23, s3
	s_delay_alu instid0(SALU_CYCLE_1) | instskip(NEXT) | instid1(SALU_CYCLE_1)
	s_mul_i32 s13, s3, s9
	s_sub_i32 s13, s23, s13
	s_add_i32 s23, s3, 1
	s_sub_i32 s24, s13, s9
	s_cmp_ge_u32 s13, s9
	s_cselect_b32 s3, s23, s3
	s_cselect_b32 s13, s24, s13
	s_add_i32 s23, s3, 1
	s_cmp_ge_u32 s13, s9
	s_cselect_b32 s3, s23, s3
	s_delay_alu instid0(SALU_CYCLE_1) | instskip(NEXT) | instid1(SALU_CYCLE_1)
	s_xor_b32 s3, s3, s22
	s_sub_i32 s22, s3, s22
	s_delay_alu instid0(SALU_CYCLE_1) | instskip(NEXT) | instid1(SALU_CYCLE_1)
	s_ashr_i32 s23, s22, 31
	v_cmp_lt_i64_e64 s3, s[22:23], 1
	s_delay_alu instid0(VALU_DEP_1)
	s_and_b32 vcc_lo, exec_lo, s3
	s_cbranch_vccnz .LBB56_46
; %bb.27:
	v_lshrrev_b32_e32 v9, 5, v0
	v_and_b32_e32 v4, 31, v0
	s_ashr_i32 s13, s12, 31
	s_mov_b64 s[24:25], 0
	s_mov_b64 s[26:27], src_shared_base
	v_mul_lo_u32 v19, s20, v9
	v_add_co_u32 v11, s3, v4, 16
	s_delay_alu instid0(VALU_DEP_1) | instskip(SKIP_1) | instid1(VALU_DEP_1)
	v_add_co_ci_u32_e64 v12, null, 0, 0, s3
	v_add_co_u32 v13, s3, v4, 8
	v_add_co_ci_u32_e64 v14, null, 0, 0, s3
	v_add_co_u32 v15, s3, v4, 4
	v_dual_mov_b32 v10, 0 :: v_dual_lshlrev_b32 v21, 2, v19
	v_lshlrev_b32_e32 v22, 2, v4
	v_add_co_ci_u32_e64 v16, null, 0, 0, s3
	v_add_co_u32 v17, s3, v4, 2
	s_delay_alu instid0(VALU_DEP_1) | instskip(SKIP_1) | instid1(VALU_DEP_1)
	v_add_co_ci_u32_e64 v18, null, 0, 0, s3
	v_add_co_u32 v19, s3, v4, 1
	v_add_co_ci_u32_e64 v20, null, 0, 0, s3
	v_add3_u32 v30, v21, v22, 0x80
	s_mul_i32 s3, s20, s9
	s_delay_alu instid0(SALU_CYCLE_1)
	s_lshl_b32 s35, s3, 2
	s_branch .LBB56_30
.LBB56_28:                              ;   in Loop: Header=BB56_30 Depth=1
	s_or_b32 exec_lo, exec_lo, s3
	v_mov_b32_e32 v22, s27
	flat_load_b32 v21, v[21:22] glc dlc
	s_waitcnt vmcnt(0)
.LBB56_29:                              ;   in Loop: Header=BB56_30 Depth=1
	s_or_b32 exec_lo, exec_lo, s26
	s_add_u32 s24, s24, 1
	v_add_nc_u32_e32 v30, s35, v30
	s_addc_u32 s25, s25, 0
	s_delay_alu instid0(SALU_CYCLE_1)
	s_cmp_eq_u64 s[24:25], s[22:23]
	s_cbranch_scc1 .LBB56_46
.LBB56_30:                              ; =>This Loop Header: Depth=1
                                        ;     Child Loop BB56_33 Depth 2
	s_waitcnt lgkmcnt(0)
	v_mad_u64_u32 v[21:22], null, s24, s9, v[9:10]
	s_mov_b32 s26, exec_lo
	s_delay_alu instid0(VALU_DEP_1) | instskip(NEXT) | instid1(VALU_DEP_1)
	v_mad_u64_u32 v[23:24], null, s25, s9, v[22:23]
	v_mov_b32_e32 v22, v23
	s_delay_alu instid0(VALU_DEP_1)
	v_cmpx_gt_i64_e64 s[12:13], v[21:22]
	s_cbranch_execz .LBB56_29
; %bb.31:                               ;   in Loop: Header=BB56_30 Depth=1
	v_mul_lo_u32 v24, v22, s20
	v_mul_lo_u32 v25, v21, s21
	v_mad_u64_u32 v[22:23], null, v21, s20, 0
	s_delay_alu instid0(VALU_DEP_1) | instskip(NEXT) | instid1(VALU_DEP_2)
	v_add3_u32 v23, v23, v25, v24
	v_add_co_u32 v24, vcc_lo, v22, s20
	v_add_co_u32 v31, s3, v22, v4
	s_delay_alu instid0(VALU_DEP_3) | instskip(SKIP_2) | instid1(VALU_DEP_2)
	v_add_co_ci_u32_e32 v25, vcc_lo, s21, v23, vcc_lo
	v_add_co_ci_u32_e64 v21, s3, 0, v23, s3
	s_mov_b32 s3, exec_lo
	v_cmp_gt_i64_e32 vcc_lo, s[18:19], v[24:25]
	v_cndmask_b32_e32 v25, s19, v25, vcc_lo
	v_cndmask_b32_e32 v24, s18, v24, vcc_lo
	v_add_co_u32 v26, vcc_lo, v31, 32
	v_add_co_ci_u32_e32 v27, vcc_lo, 0, v21, vcc_lo
	v_lshlrev_b32_e32 v21, 2, v31
	s_delay_alu instid0(VALU_DEP_2)
	v_cmpx_lt_i64_e64 v[26:27], v[24:25]
	s_cbranch_execz .LBB56_34
; %bb.32:                               ;   in Loop: Header=BB56_30 Depth=1
	ds_load_b32 v33, v21
	v_mov_b32_e32 v32, v30
	s_mov_b32 s36, 0
.LBB56_33:                              ;   Parent Loop BB56_30 Depth=1
                                        ; =>  This Inner Loop Header: Depth=2
	ds_load_b32 v34, v32
	v_add_co_u32 v26, vcc_lo, v26, 32
	v_add_co_ci_u32_e32 v27, vcc_lo, 0, v27, vcc_lo
	s_waitcnt lgkmcnt(1)
	v_dual_max_f32 v33, v33, v33 :: v_dual_add_nc_u32 v32, 0x80, v32
	s_delay_alu instid0(VALU_DEP_2) | instskip(SKIP_3) | instid1(VALU_DEP_1)
	v_cmp_ge_i64_e32 vcc_lo, v[26:27], v[24:25]
	s_or_b32 s36, vcc_lo, s36
	s_waitcnt lgkmcnt(0)
	v_max_f32_e32 v34, v34, v34
	v_max_f32_e32 v33, v33, v34
	ds_store_b32 v21, v33
	s_and_not1_b32 exec_lo, exec_lo, s36
	s_cbranch_execnz .LBB56_33
.LBB56_34:                              ;   in Loop: Header=BB56_30 Depth=1
	s_or_b32 exec_lo, exec_lo, s3
	v_sub_co_u32 v22, vcc_lo, v24, v22
	v_sub_co_ci_u32_e32 v23, vcc_lo, v25, v23, vcc_lo
	s_mov_b32 s3, exec_lo
	s_delay_alu instid0(VALU_DEP_1) | instskip(SKIP_1) | instid1(VALU_DEP_1)
	v_cmp_gt_i64_e32 vcc_lo, 32, v[22:23]
	v_dual_cndmask_b32 v24, 0, v23 :: v_dual_cndmask_b32 v23, 32, v22
	v_cmpx_lt_i64_e64 v[11:12], v[23:24]
	s_cbranch_execz .LBB56_36
; %bb.35:                               ;   in Loop: Header=BB56_30 Depth=1
	v_dual_mov_b32 v22, s27 :: v_dual_add_nc_u32 v25, 64, v21
	v_mov_b32_e32 v26, s27
	flat_load_b32 v27, v[21:22] glc dlc
	s_waitcnt vmcnt(0)
	flat_load_b32 v25, v[25:26] glc dlc
	s_waitcnt vmcnt(0) lgkmcnt(0)
	v_dual_max_f32 v26, v27, v27 :: v_dual_max_f32 v25, v25, v25
	s_delay_alu instid0(VALU_DEP_1)
	v_max_f32_e32 v25, v26, v25
	flat_store_b32 v[21:22], v25 dlc
	s_waitcnt_vscnt null, 0x0
.LBB56_36:                              ;   in Loop: Header=BB56_30 Depth=1
	s_or_b32 exec_lo, exec_lo, s3
	s_delay_alu instid0(SALU_CYCLE_1)
	s_mov_b32 s3, exec_lo
	v_cmpx_lt_i64_e64 v[13:14], v[23:24]
	s_cbranch_execz .LBB56_38
; %bb.37:                               ;   in Loop: Header=BB56_30 Depth=1
	v_dual_mov_b32 v22, s27 :: v_dual_add_nc_u32 v25, 32, v21
	v_mov_b32_e32 v26, s27
	flat_load_b32 v27, v[21:22] glc dlc
	s_waitcnt vmcnt(0)
	flat_load_b32 v25, v[25:26] glc dlc
	s_waitcnt vmcnt(0) lgkmcnt(0)
	v_dual_max_f32 v26, v27, v27 :: v_dual_max_f32 v25, v25, v25
	s_delay_alu instid0(VALU_DEP_1)
	v_max_f32_e32 v25, v26, v25
	flat_store_b32 v[21:22], v25 dlc
	s_waitcnt_vscnt null, 0x0
.LBB56_38:                              ;   in Loop: Header=BB56_30 Depth=1
	s_or_b32 exec_lo, exec_lo, s3
	s_delay_alu instid0(SALU_CYCLE_1)
	s_mov_b32 s3, exec_lo
	v_cmpx_ge_i64_e64 v[15:16], v[23:24]
	s_xor_b32 s3, exec_lo, s3
; %bb.39:                               ;   in Loop: Header=BB56_30 Depth=1
                                        ; implicit-def: $vgpr21
; %bb.40:                               ;   in Loop: Header=BB56_30 Depth=1
	s_delay_alu instid0(SALU_CYCLE_1)
	s_and_not1_saveexec_b32 s3, s3
	s_cbranch_execz .LBB56_42
; %bb.41:                               ;   in Loop: Header=BB56_30 Depth=1
	v_dual_mov_b32 v22, s27 :: v_dual_add_nc_u32 v25, 16, v21
	v_mov_b32_e32 v26, s27
	flat_load_b32 v27, v[21:22] glc dlc
	s_waitcnt vmcnt(0)
	flat_load_b32 v25, v[25:26] glc dlc
	s_waitcnt vmcnt(0) lgkmcnt(0)
	v_dual_max_f32 v26, v27, v27 :: v_dual_max_f32 v25, v25, v25
	s_delay_alu instid0(VALU_DEP_1)
	v_max_f32_e32 v25, v26, v25
	flat_store_b32 v[21:22], v25 dlc
	s_waitcnt_vscnt null, 0x0
.LBB56_42:                              ;   in Loop: Header=BB56_30 Depth=1
	s_or_b32 exec_lo, exec_lo, s3
	v_lshlrev_b32_e32 v21, 2, v31
	s_mov_b32 s3, exec_lo
	v_cmpx_lt_i64_e64 v[17:18], v[23:24]
	s_cbranch_execz .LBB56_44
; %bb.43:                               ;   in Loop: Header=BB56_30 Depth=1
	s_delay_alu instid0(VALU_DEP_2)
	v_dual_mov_b32 v22, s27 :: v_dual_add_nc_u32 v25, 8, v21
	v_mov_b32_e32 v26, s27
	flat_load_b32 v27, v[21:22] glc dlc
	s_waitcnt vmcnt(0)
	flat_load_b32 v25, v[25:26] glc dlc
	s_waitcnt vmcnt(0) lgkmcnt(0)
	v_dual_max_f32 v26, v27, v27 :: v_dual_max_f32 v25, v25, v25
	s_delay_alu instid0(VALU_DEP_1)
	v_max_f32_e32 v25, v26, v25
	flat_store_b32 v[21:22], v25 dlc
	s_waitcnt_vscnt null, 0x0
.LBB56_44:                              ;   in Loop: Header=BB56_30 Depth=1
	s_or_b32 exec_lo, exec_lo, s3
	s_delay_alu instid0(SALU_CYCLE_1)
	s_mov_b32 s3, exec_lo
	v_cmpx_lt_i64_e64 v[19:20], v[23:24]
	s_cbranch_execz .LBB56_28
; %bb.45:                               ;   in Loop: Header=BB56_30 Depth=1
	v_dual_mov_b32 v22, s27 :: v_dual_add_nc_u32 v23, 4, v21
	v_mov_b32_e32 v24, s27
	flat_load_b32 v25, v[21:22] glc dlc
	s_waitcnt vmcnt(0)
	flat_load_b32 v23, v[23:24] glc dlc
	s_waitcnt vmcnt(0) lgkmcnt(0)
	v_dual_max_f32 v24, v25, v25 :: v_dual_max_f32 v23, v23, v23
	s_delay_alu instid0(VALU_DEP_1)
	v_max_f32_e32 v23, v24, v23
	flat_store_b32 v[21:22], v23 dlc
	s_waitcnt_vscnt null, 0x0
	s_branch .LBB56_28
.LBB56_46:
	s_load_b64 s[12:13], s[0:1], 0x40
	v_cmp_lt_i64_e32 vcc_lo, v[7:8], v[5:6]
	v_cmp_eq_u32_e64 s3, 0, v3
	s_waitcnt lgkmcnt(0)
	s_barrier
	buffer_gl0_inv
	s_and_b32 s9, s3, vcc_lo
	s_delay_alu instid0(SALU_CYCLE_1)
	s_and_saveexec_b32 s3, s9
	s_cbranch_execz .LBB56_53
; %bb.47:
	s_load_b64 s[0:1], s[0:1], 0x20
	ds_load_b32 v5, v29
	s_waitcnt lgkmcnt(0)
	s_cmp_eq_u64 s[0:1], 0
	s_cbranch_scc1 .LBB56_49
; %bb.48:
	s_load_b32 s0, s[0:1], 0x0
	v_max_f32_e32 v3, v5, v5
	s_waitcnt lgkmcnt(0)
	v_max_f32_e64 v4, s0, s0
	s_delay_alu instid0(VALU_DEP_1)
	v_min_f32_e32 v5, v3, v4
.LBB56_49:
	s_add_u32 s0, s12, s34
	s_addc_u32 s1, s13, 0
	s_add_u32 s18, s0, -1
	s_addc_u32 s19, s1, -1
	s_delay_alu instid0(SALU_CYCLE_1) | instskip(SKIP_1) | instid1(SALU_CYCLE_1)
	s_or_b64 s[20:21], s[18:19], s[12:13]
	s_mov_b32 s20, 0
	s_cmp_lg_u64 s[20:21], 0
	s_cbranch_scc0 .LBB56_66
; %bb.50:
	s_ashr_i32 s0, s13, 31
	s_delay_alu instid0(SALU_CYCLE_1) | instskip(SKIP_2) | instid1(SALU_CYCLE_1)
	s_add_u32 s22, s12, s0
	s_mov_b32 s1, s0
	s_addc_u32 s23, s13, s0
	s_xor_b64 s[0:1], s[22:23], s[0:1]
	s_delay_alu instid0(SALU_CYCLE_1) | instskip(SKIP_3) | instid1(VALU_DEP_1)
	v_cvt_f32_u32_e32 v3, s0
	v_cvt_f32_u32_e32 v4, s1
	s_sub_u32 s22, 0, s0
	s_subb_u32 s23, 0, s1
	v_fmamk_f32 v3, v4, 0x4f800000, v3
	s_delay_alu instid0(VALU_DEP_1) | instskip(SKIP_2) | instid1(VALU_DEP_1)
	v_rcp_f32_e32 v3, v3
	s_waitcnt_depctr 0xfff
	v_mul_f32_e32 v3, 0x5f7ffffc, v3
	v_mul_f32_e32 v4, 0x2f800000, v3
	s_delay_alu instid0(VALU_DEP_1) | instskip(NEXT) | instid1(VALU_DEP_1)
	v_trunc_f32_e32 v4, v4
	v_fmamk_f32 v3, v4, 0xcf800000, v3
	v_cvt_u32_f32_e32 v4, v4
	s_delay_alu instid0(VALU_DEP_2) | instskip(NEXT) | instid1(VALU_DEP_2)
	v_cvt_u32_f32_e32 v3, v3
	v_readfirstlane_b32 s9, v4
	s_delay_alu instid0(VALU_DEP_2) | instskip(NEXT) | instid1(VALU_DEP_2)
	v_readfirstlane_b32 s21, v3
	s_mul_i32 s24, s22, s9
	s_delay_alu instid0(VALU_DEP_1)
	s_mul_hi_u32 s26, s22, s21
	s_mul_i32 s25, s23, s21
	s_add_i32 s24, s26, s24
	s_mul_i32 s27, s22, s21
	s_add_i32 s24, s24, s25
	s_mul_hi_u32 s26, s21, s27
	s_mul_hi_u32 s35, s9, s27
	s_mul_i32 s25, s9, s27
	s_mul_hi_u32 s27, s21, s24
	s_mul_i32 s21, s21, s24
	s_mul_hi_u32 s36, s9, s24
	s_add_u32 s21, s26, s21
	s_addc_u32 s26, 0, s27
	s_add_u32 s21, s21, s25
	s_mul_i32 s24, s9, s24
	s_addc_u32 s21, s26, s35
	s_addc_u32 s25, s36, 0
	s_add_u32 s21, s21, s24
	s_addc_u32 s24, 0, s25
	v_add_co_u32 v3, s21, v3, s21
	s_delay_alu instid0(VALU_DEP_1) | instskip(SKIP_1) | instid1(VALU_DEP_1)
	s_cmp_lg_u32 s21, 0
	s_addc_u32 s9, s9, s24
	v_readfirstlane_b32 s21, v3
	s_mul_i32 s24, s22, s9
	s_delay_alu instid0(VALU_DEP_1)
	s_mul_hi_u32 s25, s22, s21
	s_mul_i32 s23, s23, s21
	s_add_i32 s24, s25, s24
	s_mul_i32 s22, s22, s21
	s_add_i32 s24, s24, s23
	s_mul_hi_u32 s25, s9, s22
	s_mul_i32 s26, s9, s22
	s_mul_hi_u32 s22, s21, s22
	s_mul_hi_u32 s27, s21, s24
	s_mul_i32 s21, s21, s24
	s_mul_hi_u32 s23, s9, s24
	s_add_u32 s21, s22, s21
	s_addc_u32 s22, 0, s27
	s_add_u32 s21, s21, s26
	s_mul_i32 s24, s9, s24
	s_addc_u32 s21, s22, s25
	s_addc_u32 s22, s23, 0
	s_add_u32 s21, s21, s24
	s_addc_u32 s22, 0, s22
	v_add_co_u32 v3, s21, v3, s21
	s_delay_alu instid0(VALU_DEP_1) | instskip(SKIP_2) | instid1(VALU_DEP_1)
	s_cmp_lg_u32 s21, 0
	s_addc_u32 s9, s9, s22
	s_ashr_i32 s22, s19, 31
	v_readfirstlane_b32 s21, v3
	s_add_u32 s24, s18, s22
	s_mov_b32 s23, s22
	s_addc_u32 s25, s19, s22
	s_delay_alu instid0(SALU_CYCLE_1) | instskip(NEXT) | instid1(SALU_CYCLE_1)
	s_xor_b64 s[24:25], s[24:25], s[22:23]
	s_mul_i32 s26, s24, s9
	s_mul_hi_u32 s27, s24, s21
	s_mul_hi_u32 s23, s24, s9
	s_mul_hi_u32 s36, s25, s21
	s_mul_i32 s21, s25, s21
	s_add_u32 s26, s27, s26
	s_addc_u32 s23, 0, s23
	s_mul_hi_u32 s35, s25, s9
	s_add_u32 s21, s26, s21
	s_mul_i32 s9, s25, s9
	s_addc_u32 s21, s23, s36
	s_addc_u32 s23, s35, 0
	s_add_u32 s9, s21, s9
	s_addc_u32 s21, 0, s23
	s_mul_hi_u32 s23, s0, s9
	s_mul_i32 s21, s0, s21
	s_mul_i32 s26, s1, s9
	;; [unrolled: 1-line block ×3, first 2 shown]
	s_add_i32 s21, s23, s21
	v_sub_co_u32 v3, s9, s24, s9
	s_add_i32 s21, s21, s26
	s_delay_alu instid0(SALU_CYCLE_1) | instskip(SKIP_1) | instid1(VALU_DEP_1)
	s_sub_i32 s23, s25, s21
	s_cmp_lg_u32 s9, 0
	v_sub_co_u32 v4, s24, v3, s0
	s_subb_u32 s23, s23, s1
	s_cmp_lg_u32 s24, 0
	s_subb_u32 s26, s23, 0
	s_delay_alu instid0(VALU_DEP_1)
	v_cmp_le_u32_e32 vcc_lo, s0, v4
	s_cmp_ge_u32 s26, s1
	s_cselect_b32 s27, -1, 0
	s_cmp_eq_u32 s26, s1
	v_cndmask_b32_e64 v6, 0, -1, vcc_lo
	s_cselect_b32 vcc_lo, -1, 0
	s_cmp_lg_u32 s24, 0
	v_sub_co_u32 v7, s24, v4, s0
	s_subb_u32 s23, s23, s1
	s_cmp_lg_u32 s24, 0
	v_cndmask_b32_e32 v6, s27, v6, vcc_lo
	s_subb_u32 s23, s23, 0
	s_cmp_lg_u32 s9, 0
	v_cmp_le_u32_e32 vcc_lo, s0, v3
	s_subb_u32 s9, s25, s21
	s_delay_alu instid0(SALU_CYCLE_1)
	s_cmp_ge_u32 s9, s1
	v_cndmask_b32_e64 v8, 0, -1, vcc_lo
	s_cselect_b32 s21, -1, 0
	s_cmp_eq_u32 s9, s1
	v_cmp_ne_u32_e32 vcc_lo, 0, v6
	v_mov_b32_e32 v6, s23
	s_cselect_b32 s0, -1, 0
	s_delay_alu instid0(SALU_CYCLE_1) | instskip(SKIP_1) | instid1(VALU_DEP_3)
	v_cndmask_b32_e64 v8, s21, v8, s0
	v_cndmask_b32_e32 v4, v4, v7, vcc_lo
	v_cndmask_b32_e32 v6, s26, v6, vcc_lo
	s_delay_alu instid0(VALU_DEP_3) | instskip(NEXT) | instid1(VALU_DEP_3)
	v_cmp_ne_u32_e32 vcc_lo, 0, v8
	v_cndmask_b32_e32 v3, v3, v4, vcc_lo
	s_delay_alu instid0(VALU_DEP_3) | instskip(NEXT) | instid1(VALU_DEP_2)
	v_cndmask_b32_e32 v6, s9, v6, vcc_lo
	v_xor_b32_e32 v3, s22, v3
	s_delay_alu instid0(VALU_DEP_2) | instskip(NEXT) | instid1(VALU_DEP_2)
	v_xor_b32_e32 v4, s22, v6
	v_sub_co_u32 v3, vcc_lo, v3, s22
	s_delay_alu instid0(VALU_DEP_2)
	v_subrev_co_ci_u32_e32 v4, vcc_lo, s22, v4, vcc_lo
	s_and_not1_b32 vcc_lo, exec_lo, s20
	s_cbranch_vccnz .LBB56_52
.LBB56_51:
	v_cvt_f32_u32_e32 v3, s12
	s_sub_i32 s0, 0, s12
	s_delay_alu instid0(VALU_DEP_1) | instskip(SKIP_2) | instid1(VALU_DEP_1)
	v_rcp_iflag_f32_e32 v3, v3
	s_waitcnt_depctr 0xfff
	v_mul_f32_e32 v3, 0x4f7ffffe, v3
	v_cvt_u32_f32_e32 v3, v3
	s_delay_alu instid0(VALU_DEP_1) | instskip(NEXT) | instid1(VALU_DEP_1)
	v_mul_lo_u32 v4, s0, v3
	v_mul_hi_u32 v4, v3, v4
	s_delay_alu instid0(VALU_DEP_1) | instskip(NEXT) | instid1(VALU_DEP_1)
	v_add_nc_u32_e32 v3, v3, v4
	v_mul_hi_u32 v3, s18, v3
	s_delay_alu instid0(VALU_DEP_1) | instskip(NEXT) | instid1(VALU_DEP_1)
	v_mul_lo_u32 v3, v3, s12
	v_sub_nc_u32_e32 v3, s18, v3
	s_delay_alu instid0(VALU_DEP_1) | instskip(SKIP_1) | instid1(VALU_DEP_2)
	v_subrev_nc_u32_e32 v4, s12, v3
	v_cmp_le_u32_e32 vcc_lo, s12, v3
	v_cndmask_b32_e32 v3, v3, v4, vcc_lo
	s_delay_alu instid0(VALU_DEP_1) | instskip(SKIP_1) | instid1(VALU_DEP_2)
	v_subrev_nc_u32_e32 v4, s12, v3
	v_cmp_le_u32_e32 vcc_lo, s12, v3
	v_dual_cndmask_b32 v3, v3, v4 :: v_dual_mov_b32 v4, 0
.LBB56_52:
	v_div_scale_f32 v6, null, 0x42fe0000, 0x42fe0000, v5
	v_div_scale_f32 v9, vcc_lo, v5, 0x42fe0000, v5
	s_delay_alu instid0(VALU_DEP_3) | instskip(NEXT) | instid1(VALU_DEP_3)
	v_sub_co_u32 v10, s0, s18, v3
	v_rcp_f32_e32 v7, v6
	v_sub_co_ci_u32_e64 v3, s0, s19, v4, s0
	s_lshl_b64 s[0:1], s[16:17], 2
	s_delay_alu instid0(SALU_CYCLE_1) | instskip(NEXT) | instid1(VALU_DEP_1)
	s_add_u32 s0, s0, s6
	v_mul_lo_u32 v11, v3, v1
	s_addc_u32 s1, s1, s7
	s_waitcnt_depctr 0xfff
	v_fma_f32 v8, -v6, v7, 1.0
	s_delay_alu instid0(VALU_DEP_1) | instskip(NEXT) | instid1(VALU_DEP_1)
	v_fmac_f32_e32 v7, v8, v7
	v_mul_f32_e32 v8, v9, v7
	s_delay_alu instid0(VALU_DEP_1) | instskip(NEXT) | instid1(VALU_DEP_1)
	v_fma_f32 v4, -v6, v8, v9
	v_fmac_f32_e32 v8, v4, v7
	v_mul_lo_u32 v4, v10, v2
	v_mad_u64_u32 v[2:3], null, v10, v1, 0
	s_delay_alu instid0(VALU_DEP_3) | instskip(NEXT) | instid1(VALU_DEP_2)
	v_fma_f32 v1, -v6, v8, v9
	v_add3_u32 v3, v3, v4, v11
	s_delay_alu instid0(VALU_DEP_2) | instskip(NEXT) | instid1(VALU_DEP_1)
	v_div_fmas_f32 v1, v1, v7, v8
	v_div_fixup_f32 v4, v1, 0x42fe0000, v5
	s_delay_alu instid0(VALU_DEP_3) | instskip(NEXT) | instid1(VALU_DEP_2)
	v_lshlrev_b64 v[1:2], 2, v[2:3]
	v_max_f32_e32 v3, 0x34000000, v4
	s_delay_alu instid0(VALU_DEP_2) | instskip(NEXT) | instid1(VALU_DEP_3)
	v_add_co_u32 v1, vcc_lo, s0, v1
	v_add_co_ci_u32_e32 v2, vcc_lo, s1, v2, vcc_lo
	global_store_b32 v[1:2], v3, off
.LBB56_53:
	s_or_b32 exec_lo, exec_lo, s3
	s_waitcnt_vscnt null, 0x0
	s_barrier
	buffer_gl0_inv
	s_and_saveexec_b32 s0, s2
	s_cbranch_execz .LBB56_65
; %bb.54:
	s_add_u32 s0, s12, s34
	s_addc_u32 s1, s13, 0
	s_add_u32 s2, s0, -1
	s_addc_u32 s3, s1, -1
	s_delay_alu instid0(SALU_CYCLE_1) | instskip(SKIP_1) | instid1(SALU_CYCLE_1)
	s_or_b64 s[18:19], s[2:3], s[12:13]
	s_mov_b32 s18, 0
	s_cmp_lg_u64 s[18:19], 0
	s_cbranch_scc0 .LBB56_67
; %bb.55:
	s_ashr_i32 s0, s13, 31
	s_delay_alu instid0(SALU_CYCLE_1) | instskip(SKIP_2) | instid1(SALU_CYCLE_1)
	s_add_u32 s20, s12, s0
	s_mov_b32 s1, s0
	s_addc_u32 s21, s13, s0
	s_xor_b64 s[0:1], s[20:21], s[0:1]
	s_delay_alu instid0(SALU_CYCLE_1) | instskip(SKIP_3) | instid1(VALU_DEP_1)
	v_cvt_f32_u32_e32 v1, s0
	v_cvt_f32_u32_e32 v2, s1
	s_sub_u32 s19, 0, s0
	s_subb_u32 s20, 0, s1
	v_fmamk_f32 v1, v2, 0x4f800000, v1
	s_delay_alu instid0(VALU_DEP_1) | instskip(SKIP_2) | instid1(VALU_DEP_1)
	v_rcp_f32_e32 v1, v1
	s_waitcnt_depctr 0xfff
	v_mul_f32_e32 v1, 0x5f7ffffc, v1
	v_mul_f32_e32 v2, 0x2f800000, v1
	s_delay_alu instid0(VALU_DEP_1) | instskip(NEXT) | instid1(VALU_DEP_1)
	v_trunc_f32_e32 v2, v2
	v_fmamk_f32 v1, v2, 0xcf800000, v1
	v_cvt_u32_f32_e32 v2, v2
	s_delay_alu instid0(VALU_DEP_2) | instskip(NEXT) | instid1(VALU_DEP_2)
	v_cvt_u32_f32_e32 v1, v1
	v_readfirstlane_b32 s9, v2
	s_delay_alu instid0(VALU_DEP_2) | instskip(NEXT) | instid1(VALU_DEP_2)
	v_readfirstlane_b32 s13, v1
	s_mul_i32 s21, s19, s9
	s_delay_alu instid0(VALU_DEP_1)
	s_mul_hi_u32 s23, s19, s13
	s_mul_i32 s22, s20, s13
	s_add_i32 s21, s23, s21
	s_mul_i32 s24, s19, s13
	s_add_i32 s21, s21, s22
	s_mul_hi_u32 s23, s13, s24
	s_mul_hi_u32 s25, s9, s24
	s_mul_i32 s22, s9, s24
	s_mul_hi_u32 s24, s13, s21
	s_mul_i32 s13, s13, s21
	s_mul_hi_u32 s26, s9, s21
	s_add_u32 s13, s23, s13
	s_addc_u32 s23, 0, s24
	s_add_u32 s13, s13, s22
	s_mul_i32 s21, s9, s21
	s_addc_u32 s13, s23, s25
	s_addc_u32 s22, s26, 0
	s_add_u32 s13, s13, s21
	s_addc_u32 s21, 0, s22
	v_add_co_u32 v1, s13, v1, s13
	s_delay_alu instid0(VALU_DEP_1) | instskip(SKIP_1) | instid1(VALU_DEP_1)
	s_cmp_lg_u32 s13, 0
	s_addc_u32 s9, s9, s21
	v_readfirstlane_b32 s13, v1
	s_mul_i32 s21, s19, s9
	s_delay_alu instid0(VALU_DEP_1)
	s_mul_hi_u32 s22, s19, s13
	s_mul_i32 s20, s20, s13
	s_add_i32 s21, s22, s21
	s_mul_i32 s19, s19, s13
	s_add_i32 s21, s21, s20
	s_mul_hi_u32 s22, s9, s19
	s_mul_i32 s23, s9, s19
	s_mul_hi_u32 s19, s13, s19
	s_mul_hi_u32 s24, s13, s21
	s_mul_i32 s13, s13, s21
	s_mul_hi_u32 s20, s9, s21
	s_add_u32 s13, s19, s13
	s_addc_u32 s19, 0, s24
	s_add_u32 s13, s13, s23
	s_mul_i32 s21, s9, s21
	s_addc_u32 s13, s19, s22
	s_addc_u32 s19, s20, 0
	s_add_u32 s13, s13, s21
	s_addc_u32 s19, 0, s19
	v_add_co_u32 v1, s13, v1, s13
	s_delay_alu instid0(VALU_DEP_1) | instskip(SKIP_2) | instid1(VALU_DEP_1)
	s_cmp_lg_u32 s13, 0
	s_addc_u32 s9, s9, s19
	s_ashr_i32 s20, s3, 31
	v_readfirstlane_b32 s13, v1
	s_add_u32 s22, s2, s20
	s_mov_b32 s21, s20
	s_addc_u32 s23, s3, s20
	s_delay_alu instid0(SALU_CYCLE_1) | instskip(NEXT) | instid1(SALU_CYCLE_1)
	s_xor_b64 s[22:23], s[22:23], s[20:21]
	s_mul_i32 s21, s22, s9
	s_mul_hi_u32 s24, s22, s13
	s_mul_hi_u32 s19, s22, s9
	;; [unrolled: 1-line block ×3, first 2 shown]
	s_mul_i32 s13, s23, s13
	s_add_u32 s21, s24, s21
	s_addc_u32 s19, 0, s19
	s_mul_hi_u32 s25, s23, s9
	s_add_u32 s13, s21, s13
	s_mul_i32 s9, s23, s9
	s_addc_u32 s13, s19, s26
	s_addc_u32 s19, s25, 0
	s_add_u32 s9, s13, s9
	s_addc_u32 s13, 0, s19
	s_mul_hi_u32 s19, s0, s9
	s_mul_i32 s13, s0, s13
	s_mul_i32 s21, s1, s9
	;; [unrolled: 1-line block ×3, first 2 shown]
	s_add_i32 s13, s19, s13
	v_sub_co_u32 v1, s9, s22, s9
	s_add_i32 s13, s13, s21
	s_delay_alu instid0(SALU_CYCLE_1) | instskip(SKIP_1) | instid1(VALU_DEP_1)
	s_sub_i32 s19, s23, s13
	s_cmp_lg_u32 s9, 0
	v_sub_co_u32 v2, s21, v1, s0
	s_subb_u32 s19, s19, s1
	s_cmp_lg_u32 s21, 0
	s_subb_u32 s22, s19, 0
	s_delay_alu instid0(VALU_DEP_1)
	v_cmp_le_u32_e32 vcc_lo, s0, v2
	s_cmp_ge_u32 s22, s1
	s_cselect_b32 s24, -1, 0
	s_cmp_eq_u32 s22, s1
	v_cndmask_b32_e64 v3, 0, -1, vcc_lo
	s_cselect_b32 vcc_lo, -1, 0
	s_cmp_lg_u32 s21, 0
	v_sub_co_u32 v4, s21, v2, s0
	s_subb_u32 s19, s19, s1
	s_cmp_lg_u32 s21, 0
	v_cndmask_b32_e32 v3, s24, v3, vcc_lo
	s_subb_u32 s19, s19, 0
	s_cmp_lg_u32 s9, 0
	v_cmp_le_u32_e32 vcc_lo, s0, v1
	s_subb_u32 s9, s23, s13
	s_delay_alu instid0(SALU_CYCLE_1)
	s_cmp_ge_u32 s9, s1
	v_cndmask_b32_e64 v5, 0, -1, vcc_lo
	s_cselect_b32 s13, -1, 0
	s_cmp_eq_u32 s9, s1
	v_cmp_ne_u32_e32 vcc_lo, 0, v3
	v_mov_b32_e32 v3, s19
	s_cselect_b32 s0, -1, 0
	s_delay_alu instid0(SALU_CYCLE_1) | instskip(SKIP_1) | instid1(VALU_DEP_3)
	v_cndmask_b32_e64 v5, s13, v5, s0
	v_cndmask_b32_e32 v2, v2, v4, vcc_lo
	v_cndmask_b32_e32 v3, s22, v3, vcc_lo
	s_delay_alu instid0(VALU_DEP_3) | instskip(NEXT) | instid1(VALU_DEP_3)
	v_cmp_ne_u32_e32 vcc_lo, 0, v5
	v_cndmask_b32_e32 v1, v1, v2, vcc_lo
	s_delay_alu instid0(VALU_DEP_3) | instskip(NEXT) | instid1(VALU_DEP_2)
	v_cndmask_b32_e32 v3, s9, v3, vcc_lo
	v_xor_b32_e32 v1, s20, v1
	s_delay_alu instid0(VALU_DEP_2) | instskip(NEXT) | instid1(VALU_DEP_2)
	v_xor_b32_e32 v2, s20, v3
	v_sub_co_u32 v1, vcc_lo, v1, s20
	s_delay_alu instid0(VALU_DEP_2)
	v_subrev_co_ci_u32_e32 v2, vcc_lo, s20, v2, vcc_lo
	s_and_not1_b32 vcc_lo, exec_lo, s18
	s_cbranch_vccnz .LBB56_57
.LBB56_56:
	v_cvt_f32_u32_e32 v1, s12
	s_sub_i32 s0, 0, s12
	s_delay_alu instid0(VALU_DEP_1) | instskip(SKIP_2) | instid1(VALU_DEP_1)
	v_rcp_iflag_f32_e32 v1, v1
	s_waitcnt_depctr 0xfff
	v_mul_f32_e32 v1, 0x4f7ffffe, v1
	v_cvt_u32_f32_e32 v1, v1
	s_delay_alu instid0(VALU_DEP_1) | instskip(NEXT) | instid1(VALU_DEP_1)
	v_mul_lo_u32 v2, s0, v1
	v_mul_hi_u32 v2, v1, v2
	s_delay_alu instid0(VALU_DEP_1) | instskip(NEXT) | instid1(VALU_DEP_1)
	v_add_nc_u32_e32 v1, v1, v2
	v_mul_hi_u32 v1, s2, v1
	s_delay_alu instid0(VALU_DEP_1) | instskip(NEXT) | instid1(VALU_DEP_1)
	v_mul_lo_u32 v1, v1, s12
	v_sub_nc_u32_e32 v1, s2, v1
	s_delay_alu instid0(VALU_DEP_1) | instskip(SKIP_1) | instid1(VALU_DEP_2)
	v_subrev_nc_u32_e32 v2, s12, v1
	v_cmp_le_u32_e32 vcc_lo, s12, v1
	v_cndmask_b32_e32 v1, v1, v2, vcc_lo
	s_delay_alu instid0(VALU_DEP_1) | instskip(SKIP_1) | instid1(VALU_DEP_2)
	v_subrev_nc_u32_e32 v2, s12, v1
	v_cmp_le_u32_e32 vcc_lo, s12, v1
	v_dual_cndmask_b32 v1, v1, v2 :: v_dual_mov_b32 v2, 0
.LBB56_57:
	s_delay_alu instid0(VALU_DEP_1)
	v_sub_co_u32 v5, vcc_lo, s2, v1
	s_add_u32 s0, s4, s14
	s_addc_u32 s1, s5, s15
	s_lshl_b64 s[4:5], s[16:17], 2
	v_sub_co_ci_u32_e32 v6, vcc_lo, s3, v2, vcc_lo
	v_mov_b32_e32 v1, 0
	s_add_u32 s4, s6, s4
	s_addc_u32 s5, s7, s5
	s_mul_i32 s2, s33, 3
	s_lshl_b32 s3, s33, 1
	s_mov_b32 s6, 0
	s_add_i32 s7, s33, s33
                                        ; implicit-def: $sgpr9
	s_branch .LBB56_61
.LBB56_58:                              ;   in Loop: Header=BB56_61 Depth=1
	s_or_b32 exec_lo, exec_lo, s14
	s_delay_alu instid0(SALU_CYCLE_1)
	s_or_not1_b32 s14, s15, exec_lo
.LBB56_59:                              ;   in Loop: Header=BB56_61 Depth=1
	s_or_b32 exec_lo, exec_lo, s13
	s_delay_alu instid0(SALU_CYCLE_1) | instskip(SKIP_1) | instid1(SALU_CYCLE_1)
	s_and_not1_b32 s9, s9, exec_lo
	s_and_b32 s13, s14, exec_lo
	s_or_b32 s9, s9, s13
.LBB56_60:                              ;   in Loop: Header=BB56_61 Depth=1
	s_or_b32 exec_lo, exec_lo, s12
	s_delay_alu instid0(SALU_CYCLE_1) | instskip(NEXT) | instid1(SALU_CYCLE_1)
	s_and_b32 s12, exec_lo, s9
	s_or_b32 s6, s12, s6
	s_delay_alu instid0(SALU_CYCLE_1)
	s_and_not1_b32 exec_lo, exec_lo, s6
	s_cbranch_execz .LBB56_65
.LBB56_61:                              ; =>This Inner Loop Header: Depth=1
	v_bfe_u32 v4, v0, 4, 26
	v_lshlrev_b64 v[13:14], 2, v[0:1]
	s_or_b32 s9, s9, exec_lo
	s_mov_b32 s12, exec_lo
	s_delay_alu instid0(VALU_DEP_2) | instskip(NEXT) | instid1(VALU_DEP_1)
	v_mad_u64_u32 v[2:3], null, v5, v4, 0
	v_mad_u64_u32 v[7:8], null, v6, v4, v[3:4]
	s_delay_alu instid0(VALU_DEP_1) | instskip(SKIP_1) | instid1(VALU_DEP_2)
	v_mov_b32_e32 v3, v7
	v_lshlrev_b64 v[7:8], 3, v[0:1]
	v_lshlrev_b64 v[2:3], 2, v[2:3]
	s_delay_alu instid0(VALU_DEP_1) | instskip(NEXT) | instid1(VALU_DEP_2)
	v_add_co_u32 v2, vcc_lo, s4, v2
	v_add_co_ci_u32_e32 v3, vcc_lo, s5, v3, vcc_lo
	global_load_b32 v4, v[2:3], off
	v_add_co_u32 v2, vcc_lo, s28, v7
	v_add_co_ci_u32_e32 v3, vcc_lo, s29, v8, vcc_lo
	v_add_co_u32 v9, vcc_lo, s10, v7
	v_add_co_ci_u32_e32 v10, vcc_lo, s11, v8, vcc_lo
	;; [unrolled: 2-line block ×3, first 2 shown]
	global_load_b64 v[9:10], v[9:10], off
	global_load_b64 v[2:3], v[2:3], off
	;; [unrolled: 1-line block ×3, first 2 shown]
	s_waitcnt vmcnt(3)
	v_div_scale_f32 v15, null, v4, v4, 1.0
	v_div_scale_f32 v22, vcc_lo, 1.0, v4, 1.0
	s_delay_alu instid0(VALU_DEP_2)
	v_rcp_f32_e32 v16, v15
	s_waitcnt vmcnt(2)
	v_lshrrev_b32_e32 v17, 16, v9
	s_waitcnt vmcnt(1)
	v_cvt_f32_f16_e32 v19, v2
	s_waitcnt vmcnt(0)
	v_cvt_f32_f16_e32 v21, v11
	s_waitcnt_depctr 0xfff
	v_fma_f32 v20, -v15, v16, 1.0
	v_cvt_f32_f16_e32 v23, v12
	v_lshrrev_b32_e32 v12, 16, v12
	v_lshrrev_b32_e32 v2, 16, v2
	;; [unrolled: 1-line block ×3, first 2 shown]
	v_fmac_f32_e32 v16, v20, v16
	v_cvt_f32_f16_e32 v20, v3
	v_lshrrev_b32_e32 v3, 16, v3
	v_cvt_f32_f16_e32 v12, v12
	v_cvt_f32_f16_e32 v2, v2
	v_dual_mul_f32 v24, v22, v16 :: v_dual_add_f32 v19, v19, v21
	s_delay_alu instid0(VALU_DEP_4) | instskip(SKIP_2) | instid1(VALU_DEP_4)
	v_cvt_f32_f16_e32 v3, v3
	v_add_f32_e32 v20, v20, v23
	v_cvt_f32_f16_e32 v11, v11
	v_fma_f32 v25, -v15, v24, v22
	v_lshrrev_b32_e32 v18, 16, v10
	v_add_f32_e32 v3, v3, v12
	v_fma_mixlo_f16 v12, v28, v19, 0
	s_delay_alu instid0(VALU_DEP_4) | instskip(NEXT) | instid1(VALU_DEP_2)
	v_fmac_f32_e32 v24, v25, v16
	v_mul_f16_e32 v9, v9, v12
	s_delay_alu instid0(VALU_DEP_2) | instskip(NEXT) | instid1(VALU_DEP_2)
	v_fma_f32 v15, -v15, v24, v22
	v_cvt_f32_f16_e32 v9, v9
	s_delay_alu instid0(VALU_DEP_2) | instskip(SKIP_1) | instid1(VALU_DEP_2)
	v_div_fmas_f32 v15, v15, v16, v24
	v_cvt_f16_f32_e32 v16, v20
	v_div_fixup_f32 v4, v15, v4, 1.0
	v_add_f32_e32 v2, v2, v11
	v_fma_mixlo_f16 v11, v28, v20, 0
	v_cvt_f16_f32_e32 v15, v19
	s_delay_alu instid0(VALU_DEP_4) | instskip(NEXT) | instid1(VALU_DEP_4)
	v_mul_f32_e32 v9, v4, v9
	v_fma_mixlo_f16 v21, v28, v2, 0
	s_delay_alu instid0(VALU_DEP_4)
	v_mul_f16_e32 v10, v10, v11
	v_fma_mixlo_f16 v11, v28, v3, 0
	v_cvt_f16_f32_e32 v2, v2
	v_rndne_f32_e32 v9, v9
	v_mul_f16_e32 v12, v17, v21
	v_cvt_f32_f16_e32 v10, v10
	v_mul_f16_e32 v11, v18, v11
	v_cvt_f16_f32_e32 v3, v3
	s_delay_alu instid0(VALU_DEP_4) | instskip(NEXT) | instid1(VALU_DEP_4)
	v_cvt_f32_f16_e32 v12, v12
	v_mul_f32_e32 v10, v4, v10
	s_delay_alu instid0(VALU_DEP_4) | instskip(NEXT) | instid1(VALU_DEP_3)
	v_cvt_f32_f16_e32 v11, v11
	v_mul_f32_e32 v12, v4, v12
	s_delay_alu instid0(VALU_DEP_3) | instskip(NEXT) | instid1(VALU_DEP_3)
	v_rndne_f32_e32 v10, v10
	v_mul_f32_e32 v4, v4, v11
	s_delay_alu instid0(VALU_DEP_3) | instskip(NEXT) | instid1(VALU_DEP_3)
	v_rndne_f32_e32 v11, v12
	v_cmp_nlt_f32_e32 vcc_lo, 0x42fe0000, v10
	s_delay_alu instid0(VALU_DEP_3)
	v_rndne_f32_e32 v4, v4
	v_cndmask_b32_e32 v12, 0x42fe0000, v10, vcc_lo
	v_cmp_nlt_f32_e32 vcc_lo, 0x42fe0000, v9
	v_cndmask_b32_e32 v17, 0x42fe0000, v9, vcc_lo
	v_cmp_nlt_f32_e32 vcc_lo, 0x42fe0000, v11
	v_cndmask_b32_e32 v18, 0x42fe0000, v11, vcc_lo
	v_cmp_ngt_f32_e32 vcc_lo, 0xc3000000, v10
	v_cndmask_b32_e32 v10, 0xc3000000, v12, vcc_lo
	v_cmp_nlt_f32_e32 vcc_lo, 0x42fe0000, v4
	s_delay_alu instid0(VALU_DEP_2) | instskip(SKIP_2) | instid1(VALU_DEP_3)
	v_cvt_i32_f32_e32 v10, v10
	v_cndmask_b32_e32 v12, 0x42fe0000, v4, vcc_lo
	v_cmp_ngt_f32_e32 vcc_lo, 0xc3000000, v11
	v_and_b32_e32 v10, 0xff, v10
	v_cndmask_b32_e32 v11, 0xc3000000, v18, vcc_lo
	v_cmp_ngt_f32_e32 vcc_lo, 0xc3000000, v9
	s_delay_alu instid0(VALU_DEP_3) | instskip(NEXT) | instid1(VALU_DEP_3)
	v_lshlrev_b32_e32 v10, 16, v10
	v_cvt_i32_f32_e32 v11, v11
	v_cndmask_b32_e32 v9, 0xc3000000, v17, vcc_lo
	v_cmp_ngt_f32_e32 vcc_lo, 0xc3000000, v4
	s_delay_alu instid0(VALU_DEP_3) | instskip(NEXT) | instid1(VALU_DEP_3)
	v_and_b32_e32 v11, 0xff, v11
	v_cvt_i32_f32_e32 v9, v9
	s_delay_alu instid0(VALU_DEP_2) | instskip(NEXT) | instid1(VALU_DEP_1)
	v_dual_cndmask_b32 v4, 0xc3000000, v12 :: v_dual_lshlrev_b32 v11, 8, v11
	v_cvt_i32_f32_e32 v12, v4
	v_pack_b32_f16 v4, v16, v3
	v_pack_b32_f16 v3, v15, v2
	v_and_b32_e32 v15, 0xff, v9
	v_add_co_u32 v9, vcc_lo, s0, v13
	v_lshl_or_b32 v12, v12, 24, v10
	v_add_nc_u32_e32 v2, s33, v0
	v_add_co_ci_u32_e32 v10, vcc_lo, s1, v14, vcc_lo
	global_store_b64 v[7:8], v[3:4], off
	v_or3_b32 v11, v12, v11, v15
	global_store_b32 v[9:10], v11, off
	v_cmpx_gt_u32_e64 s8, v2
	s_cbranch_execz .LBB56_60
; %bb.62:                               ;   in Loop: Header=BB56_61 Depth=1
	v_bfe_u32 v9, v2, 4, 26
	s_mov_b32 s14, -1
	s_mov_b32 s13, exec_lo
	s_delay_alu instid0(VALU_DEP_1) | instskip(NEXT) | instid1(VALU_DEP_1)
	v_mad_u64_u32 v[3:4], null, v5, v9, 0
	v_mad_u64_u32 v[7:8], null, v6, v9, v[4:5]
	s_delay_alu instid0(VALU_DEP_1) | instskip(NEXT) | instid1(VALU_DEP_1)
	v_mov_b32_e32 v4, v7
	v_lshlrev_b64 v[7:8], 2, v[3:4]
	v_mov_b32_e32 v3, v1
	s_delay_alu instid0(VALU_DEP_1) | instskip(NEXT) | instid1(VALU_DEP_3)
	v_lshlrev_b64 v[9:10], 3, v[2:3]
	v_add_co_u32 v7, vcc_lo, s4, v7
	s_delay_alu instid0(VALU_DEP_4)
	v_add_co_ci_u32_e32 v8, vcc_lo, s5, v8, vcc_lo
	v_lshlrev_b64 v[15:16], 2, v[2:3]
	global_load_b32 v4, v[7:8], off
	v_add_co_u32 v7, vcc_lo, s28, v9
	v_add_co_ci_u32_e32 v8, vcc_lo, s29, v10, vcc_lo
	v_add_co_u32 v11, vcc_lo, s10, v9
	v_add_co_ci_u32_e32 v12, vcc_lo, s11, v10, vcc_lo
	;; [unrolled: 2-line block ×3, first 2 shown]
	global_load_b64 v[11:12], v[11:12], off
	global_load_b64 v[7:8], v[7:8], off
	;; [unrolled: 1-line block ×3, first 2 shown]
	s_waitcnt vmcnt(3)
	v_div_scale_f32 v17, null, v4, v4, 1.0
	v_div_scale_f32 v23, vcc_lo, 1.0, v4, 1.0
	s_delay_alu instid0(VALU_DEP_2)
	v_rcp_f32_e32 v18, v17
	s_waitcnt vmcnt(2)
	v_lshrrev_b32_e32 v19, 16, v12
	s_waitcnt vmcnt(1)
	v_cvt_f32_f16_e32 v20, v7
	v_lshrrev_b32_e32 v7, 16, v7
	s_waitcnt_depctr 0xfff
	v_fma_f32 v21, -v17, v18, 1.0
	s_waitcnt vmcnt(0)
	v_cvt_f32_f16_e32 v22, v13
	v_lshrrev_b32_e32 v13, 16, v13
	v_cvt_f32_f16_e32 v24, v14
	v_cvt_f32_f16_e32 v7, v7
	v_lshrrev_b32_e32 v14, 16, v14
	v_lshrrev_b32_e32 v3, 16, v11
	v_cvt_f32_f16_e32 v13, v13
	v_fmac_f32_e32 v18, v21, v18
	v_cvt_f32_f16_e32 v21, v8
	v_lshrrev_b32_e32 v8, 16, v8
	v_cvt_f32_f16_e32 v14, v14
	v_dual_add_f32 v7, v7, v13 :: v_dual_add_f32 v20, v20, v22
	s_delay_alu instid0(VALU_DEP_4) | instskip(NEXT) | instid1(VALU_DEP_4)
	v_add_f32_e32 v21, v21, v24
	v_cvt_f32_f16_e32 v8, v8
	s_delay_alu instid0(VALU_DEP_3) | instskip(SKIP_1) | instid1(VALU_DEP_4)
	v_fma_mixlo_f16 v22, v28, v7, 0
	v_cvt_f16_f32_e32 v7, v7
	v_fma_mixlo_f16 v13, v28, v21, 0
	s_delay_alu instid0(VALU_DEP_4) | instskip(SKIP_2) | instid1(VALU_DEP_4)
	v_add_f32_e32 v8, v8, v14
	v_fma_mixlo_f16 v14, v28, v20, 0
	v_mul_f16_e32 v3, v3, v22
	v_mul_f16_e32 v12, v12, v13
	s_delay_alu instid0(VALU_DEP_4) | instskip(NEXT) | instid1(VALU_DEP_4)
	v_fma_mixlo_f16 v13, v28, v8, 0
	v_mul_f16_e32 v11, v11, v14
	s_delay_alu instid0(VALU_DEP_4)
	v_cvt_f32_f16_e32 v3, v3
	v_cvt_f16_f32_e32 v14, v20
	v_cvt_f32_f16_e32 v12, v12
	v_mul_f32_e32 v25, v23, v18
	v_mul_f16_e32 v13, v19, v13
	v_cvt_f32_f16_e32 v11, v11
	v_pack_b32_f16 v7, v14, v7
	s_delay_alu instid0(VALU_DEP_4) | instskip(NEXT) | instid1(VALU_DEP_4)
	v_fma_f32 v26, -v17, v25, v23
	v_cvt_f32_f16_e32 v13, v13
	s_delay_alu instid0(VALU_DEP_2) | instskip(NEXT) | instid1(VALU_DEP_1)
	v_fmac_f32_e32 v25, v26, v18
	v_fma_f32 v17, -v17, v25, v23
	s_delay_alu instid0(VALU_DEP_1) | instskip(NEXT) | instid1(VALU_DEP_1)
	v_div_fmas_f32 v17, v17, v18, v25
	v_div_fixup_f32 v4, v17, v4, 1.0
	v_cvt_f16_f32_e32 v17, v21
	s_delay_alu instid0(VALU_DEP_2) | instskip(SKIP_3) | instid1(VALU_DEP_4)
	v_mul_f32_e32 v12, v4, v12
	v_mul_f32_e32 v11, v4, v11
	;; [unrolled: 1-line block ×4, first 2 shown]
	v_rndne_f32_e32 v12, v12
	s_delay_alu instid0(VALU_DEP_4) | instskip(NEXT) | instid1(VALU_DEP_4)
	v_rndne_f32_e32 v11, v11
	v_rndne_f32_e32 v3, v3
	s_delay_alu instid0(VALU_DEP_4) | instskip(NEXT) | instid1(VALU_DEP_4)
	v_rndne_f32_e32 v4, v4
	v_cmp_nlt_f32_e32 vcc_lo, 0x42fe0000, v12
	v_cndmask_b32_e32 v13, 0x42fe0000, v12, vcc_lo
	v_cmp_nlt_f32_e32 vcc_lo, 0x42fe0000, v11
	v_cvt_f16_f32_e32 v8, v8
	v_cndmask_b32_e32 v18, 0x42fe0000, v11, vcc_lo
	v_cmp_nlt_f32_e32 vcc_lo, 0x42fe0000, v3
	s_delay_alu instid0(VALU_DEP_3)
	v_pack_b32_f16 v8, v17, v8
	v_cndmask_b32_e32 v19, 0x42fe0000, v3, vcc_lo
	v_cmp_ngt_f32_e32 vcc_lo, 0xc3000000, v12
	global_store_b64 v[9:10], v[7:8], off
	v_cndmask_b32_e32 v12, 0xc3000000, v13, vcc_lo
	v_cmp_nlt_f32_e32 vcc_lo, 0x42fe0000, v4
	s_delay_alu instid0(VALU_DEP_2) | instskip(SKIP_2) | instid1(VALU_DEP_3)
	v_cvt_i32_f32_e32 v12, v12
	v_cndmask_b32_e32 v13, 0x42fe0000, v4, vcc_lo
	v_cmp_ngt_f32_e32 vcc_lo, 0xc3000000, v3
	v_and_b32_e32 v12, 0xff, v12
	s_delay_alu instid0(VALU_DEP_1) | instskip(SKIP_1) | instid1(VALU_DEP_2)
	v_dual_cndmask_b32 v3, 0xc3000000, v19 :: v_dual_lshlrev_b32 v12, 16, v12
	v_cmp_ngt_f32_e32 vcc_lo, 0xc3000000, v11
	v_cvt_i32_f32_e32 v3, v3
	v_cndmask_b32_e32 v11, 0xc3000000, v18, vcc_lo
	v_cmp_ngt_f32_e32 vcc_lo, 0xc3000000, v4
	s_delay_alu instid0(VALU_DEP_3) | instskip(NEXT) | instid1(VALU_DEP_3)
	v_and_b32_e32 v3, 0xff, v3
	v_cvt_i32_f32_e32 v11, v11
	s_delay_alu instid0(VALU_DEP_2) | instskip(SKIP_1) | instid1(VALU_DEP_3)
	v_lshlrev_b32_e32 v14, 8, v3
	v_cndmask_b32_e32 v4, 0xc3000000, v13, vcc_lo
	v_and_b32_e32 v13, 0xff, v11
	v_add_co_u32 v11, vcc_lo, s0, v15
	v_add_nc_u32_e32 v3, s3, v0
	s_delay_alu instid0(VALU_DEP_4) | instskip(NEXT) | instid1(VALU_DEP_1)
	v_cvt_i32_f32_e32 v4, v4
	v_lshl_or_b32 v4, v4, 24, v12
	v_add_co_ci_u32_e32 v12, vcc_lo, s1, v16, vcc_lo
	s_delay_alu instid0(VALU_DEP_2)
	v_or3_b32 v4, v4, v14, v13
	global_store_b32 v[11:12], v4, off
	v_cmpx_gt_u32_e64 s8, v3
	s_cbranch_execz .LBB56_59
; %bb.63:                               ;   in Loop: Header=BB56_61 Depth=1
	v_bfe_u32 v10, v3, 4, 26
	v_add_nc_u32_e32 v0, s2, v0
	s_mov_b32 s15, -1
	s_mov_b32 s14, exec_lo
	s_delay_alu instid0(VALU_DEP_2) | instskip(NEXT) | instid1(VALU_DEP_1)
	v_mad_u64_u32 v[7:8], null, v5, v10, 0
	v_mov_b32_e32 v4, v8
	s_delay_alu instid0(VALU_DEP_1) | instskip(NEXT) | instid1(VALU_DEP_1)
	v_mad_u64_u32 v[8:9], null, v6, v10, v[4:5]
	v_lshlrev_b64 v[7:8], 2, v[7:8]
	s_delay_alu instid0(VALU_DEP_1) | instskip(NEXT) | instid1(VALU_DEP_2)
	v_add_co_u32 v7, vcc_lo, s4, v7
	v_add_co_ci_u32_e32 v8, vcc_lo, s5, v8, vcc_lo
	global_load_b32 v15, v[7:8], off
	s_waitcnt vmcnt(0)
	v_div_scale_f32 v16, null, v15, v15, 1.0
	s_delay_alu instid0(VALU_DEP_1) | instskip(SKIP_2) | instid1(VALU_DEP_1)
	v_rcp_f32_e32 v17, v16
	s_waitcnt_depctr 0xfff
	v_fma_f32 v21, -v16, v17, 1.0
	v_fmac_f32_e32 v17, v21, v17
	v_mov_b32_e32 v4, v1
	s_delay_alu instid0(VALU_DEP_1) | instskip(NEXT) | instid1(VALU_DEP_1)
	v_lshlrev_b64 v[9:10], 3, v[3:4]
	v_add_co_u32 v7, vcc_lo, s28, v9
	s_delay_alu instid0(VALU_DEP_2)
	v_add_co_ci_u32_e32 v8, vcc_lo, s29, v10, vcc_lo
	v_add_co_u32 v11, vcc_lo, s10, v9
	v_add_co_ci_u32_e32 v12, vcc_lo, s11, v10, vcc_lo
	v_add_co_u32 v9, vcc_lo, s30, v9
	v_add_co_ci_u32_e32 v10, vcc_lo, s31, v10, vcc_lo
	global_load_b64 v[11:12], v[11:12], off
	global_load_b64 v[7:8], v[7:8], off
	;; [unrolled: 1-line block ×3, first 2 shown]
	v_div_scale_f32 v23, vcc_lo, 1.0, v15, 1.0
	s_delay_alu instid0(VALU_DEP_1) | instskip(SKIP_1) | instid1(VALU_DEP_2)
	v_mul_f32_e32 v25, v23, v17
	v_lshlrev_b64 v[3:4], 2, v[3:4]
	v_fma_f32 v26, -v16, v25, v23
	s_waitcnt vmcnt(2)
	v_lshrrev_b32_e32 v19, 16, v12
	s_waitcnt vmcnt(1)
	v_cvt_f32_f16_e32 v20, v7
	v_lshrrev_b32_e32 v7, 16, v7
	s_waitcnt vmcnt(0)
	v_cvt_f32_f16_e32 v22, v13
	v_lshrrev_b32_e32 v13, 16, v13
	v_cvt_f32_f16_e32 v21, v8
	v_cvt_f32_f16_e32 v24, v14
	v_lshrrev_b32_e32 v8, 16, v8
	v_lshrrev_b32_e32 v14, 16, v14
	v_cvt_f32_f16_e32 v7, v7
	v_cvt_f32_f16_e32 v13, v13
	v_dual_add_f32 v21, v21, v24 :: v_dual_add_f32 v20, v20, v22
	v_cvt_f32_f16_e32 v8, v8
	v_cvt_f32_f16_e32 v14, v14
	s_delay_alu instid0(VALU_DEP_4) | instskip(NEXT) | instid1(VALU_DEP_4)
	v_add_f32_e32 v7, v7, v13
	v_fma_mixlo_f16 v13, v28, v21, 0
	v_lshrrev_b32_e32 v18, 16, v11
	s_delay_alu instid0(VALU_DEP_4) | instskip(SKIP_1) | instid1(VALU_DEP_4)
	v_add_f32_e32 v8, v8, v14
	v_fma_mixlo_f16 v14, v28, v20, 0
	v_mul_f16_e32 v12, v12, v13
	v_fma_mixlo_f16 v22, v28, v7, 0
	v_cvt_f16_f32_e32 v7, v7
	v_fma_mixlo_f16 v13, v28, v8, 0
	v_mul_f16_e32 v11, v11, v14
	v_cvt_f32_f16_e32 v12, v12
	v_fmac_f32_e32 v25, v26, v17
	v_mul_f16_e32 v14, v18, v22
	v_mul_f16_e32 v13, v19, v13
	v_cvt_f32_f16_e32 v11, v11
	v_cvt_f16_f32_e32 v8, v8
	v_fma_f32 v16, -v16, v25, v23
	v_cvt_f32_f16_e32 v14, v14
	v_cvt_f32_f16_e32 v13, v13
	s_delay_alu instid0(VALU_DEP_3) | instskip(SKIP_1) | instid1(VALU_DEP_2)
	v_div_fmas_f32 v16, v16, v17, v25
	v_cvt_f16_f32_e32 v17, v21
	v_div_fixup_f32 v15, v16, v15, 1.0
	v_cvt_f16_f32_e32 v16, v20
	s_delay_alu instid0(VALU_DEP_3) | instskip(NEXT) | instid1(VALU_DEP_3)
	v_pack_b32_f16 v8, v17, v8
	v_mul_f32_e32 v12, v15, v12
	v_mul_f32_e32 v11, v15, v11
	s_delay_alu instid0(VALU_DEP_4) | instskip(NEXT) | instid1(VALU_DEP_3)
	v_pack_b32_f16 v7, v16, v7
	v_rndne_f32_e32 v12, v12
	s_delay_alu instid0(VALU_DEP_3) | instskip(SKIP_4) | instid1(VALU_DEP_1)
	v_rndne_f32_e32 v11, v11
	v_mul_f32_e32 v13, v15, v13
	global_store_b64 v[9:10], v[7:8], off
	v_cmp_nlt_f32_e32 vcc_lo, 0x42fe0000, v12
	v_dual_mul_f32 v14, v15, v14 :: v_dual_cndmask_b32 v15, 0x42fe0000, v12
	v_rndne_f32_e32 v14, v14
	v_cmp_nlt_f32_e32 vcc_lo, 0x42fe0000, v11
	v_cndmask_b32_e32 v18, 0x42fe0000, v11, vcc_lo
	s_delay_alu instid0(VALU_DEP_3) | instskip(SKIP_4) | instid1(VALU_DEP_4)
	v_cmp_nlt_f32_e32 vcc_lo, 0x42fe0000, v14
	v_rndne_f32_e32 v13, v13
	v_cndmask_b32_e32 v19, 0x42fe0000, v14, vcc_lo
	v_cmp_ngt_f32_e32 vcc_lo, 0xc3000000, v12
	v_cndmask_b32_e32 v12, 0xc3000000, v15, vcc_lo
	v_cmp_nlt_f32_e32 vcc_lo, 0x42fe0000, v13
	s_delay_alu instid0(VALU_DEP_2) | instskip(SKIP_2) | instid1(VALU_DEP_3)
	v_cvt_i32_f32_e32 v12, v12
	v_cndmask_b32_e32 v15, 0x42fe0000, v13, vcc_lo
	v_cmp_ngt_f32_e32 vcc_lo, 0xc3000000, v14
	v_and_b32_e32 v12, 0xff, v12
	s_delay_alu instid0(VALU_DEP_1) | instskip(SKIP_2) | instid1(VALU_DEP_2)
	v_lshlrev_b32_e32 v12, 16, v12
	v_cndmask_b32_e32 v14, 0xc3000000, v19, vcc_lo
	v_cmp_ngt_f32_e32 vcc_lo, 0xc3000000, v11
	v_cvt_i32_f32_e32 v14, v14
	v_cndmask_b32_e32 v11, 0xc3000000, v18, vcc_lo
	v_cmp_ngt_f32_e32 vcc_lo, 0xc3000000, v13
	s_delay_alu instid0(VALU_DEP_3) | instskip(NEXT) | instid1(VALU_DEP_3)
	v_and_b32_e32 v14, 0xff, v14
	v_cvt_i32_f32_e32 v11, v11
	s_delay_alu instid0(VALU_DEP_2) | instskip(NEXT) | instid1(VALU_DEP_2)
	v_dual_cndmask_b32 v13, 0xc3000000, v15 :: v_dual_lshlrev_b32 v14, 8, v14
	v_and_b32_e32 v11, 0xff, v11
	v_add_co_u32 v3, vcc_lo, s0, v3
	v_add_co_ci_u32_e32 v4, vcc_lo, s1, v4, vcc_lo
	s_delay_alu instid0(VALU_DEP_4) | instskip(NEXT) | instid1(VALU_DEP_1)
	v_cvt_i32_f32_e32 v13, v13
	v_lshl_or_b32 v12, v13, 24, v12
	s_delay_alu instid0(VALU_DEP_1)
	v_or3_b32 v11, v12, v14, v11
	global_store_b32 v[3:4], v11, off
	v_cmpx_gt_u32_e64 s8, v0
	s_cbranch_execz .LBB56_58
; %bb.64:                               ;   in Loop: Header=BB56_61 Depth=1
	v_bfe_u32 v9, v0, 4, 26
	v_lshlrev_b64 v[13:14], 2, v[0:1]
	s_delay_alu instid0(VALU_DEP_2) | instskip(NEXT) | instid1(VALU_DEP_1)
	v_mad_u64_u32 v[3:4], null, v5, v9, 0
	v_mad_u64_u32 v[7:8], null, v6, v9, v[4:5]
	s_delay_alu instid0(VALU_DEP_1) | instskip(SKIP_2) | instid1(VALU_DEP_3)
	v_mov_b32_e32 v4, v7
	v_lshlrev_b64 v[7:8], 3, v[0:1]
	v_add3_u32 v0, s7, s33, v2
	v_lshlrev_b64 v[3:4], 2, v[3:4]
	s_delay_alu instid0(VALU_DEP_1) | instskip(NEXT) | instid1(VALU_DEP_2)
	v_add_co_u32 v3, vcc_lo, s4, v3
	v_add_co_ci_u32_e32 v4, vcc_lo, s5, v4, vcc_lo
	global_load_b32 v15, v[3:4], off
	v_add_co_u32 v3, vcc_lo, s28, v7
	v_add_co_ci_u32_e32 v4, vcc_lo, s29, v8, vcc_lo
	v_add_co_u32 v9, vcc_lo, s10, v7
	v_add_co_ci_u32_e32 v10, vcc_lo, s11, v8, vcc_lo
	;; [unrolled: 2-line block ×3, first 2 shown]
	global_load_b64 v[9:10], v[9:10], off
	global_load_b64 v[3:4], v[3:4], off
	;; [unrolled: 1-line block ×3, first 2 shown]
	s_waitcnt vmcnt(3)
	v_div_scale_f32 v16, null, v15, v15, 1.0
	v_div_scale_f32 v22, vcc_lo, 1.0, v15, 1.0
	s_delay_alu instid0(VALU_DEP_2)
	v_rcp_f32_e32 v17, v16
	s_waitcnt vmcnt(2)
	v_lshrrev_b32_e32 v18, 16, v10
	s_waitcnt vmcnt(1)
	v_cvt_f32_f16_e32 v19, v3
	v_lshrrev_b32_e32 v3, 16, v3
	s_waitcnt_depctr 0xfff
	v_fma_f32 v20, -v16, v17, 1.0
	s_waitcnt vmcnt(0)
	v_cvt_f32_f16_e32 v21, v11
	v_lshrrev_b32_e32 v11, 16, v11
	v_cvt_f32_f16_e32 v23, v12
	v_lshrrev_b32_e32 v12, 16, v12
	v_fmac_f32_e32 v17, v20, v17
	v_cvt_f32_f16_e32 v20, v4
	v_lshrrev_b32_e32 v4, 16, v4
	v_cvt_f32_f16_e32 v3, v3
	v_cvt_f32_f16_e32 v11, v11
	v_cvt_f32_f16_e32 v12, v12
	v_dual_add_f32 v20, v20, v23 :: v_dual_add_f32 v19, v19, v21
	v_cvt_f32_f16_e32 v4, v4
	s_delay_alu instid0(VALU_DEP_4) | instskip(NEXT) | instid1(VALU_DEP_3)
	v_dual_mul_f32 v24, v22, v17 :: v_dual_add_f32 v3, v3, v11
	v_fma_mixlo_f16 v11, v28, v20, 0
	v_lshrrev_b32_e32 v2, 16, v9
	s_delay_alu instid0(VALU_DEP_4) | instskip(NEXT) | instid1(VALU_DEP_4)
	v_add_f32_e32 v4, v4, v12
	v_fma_f32 v25, -v16, v24, v22
	v_fma_mixlo_f16 v21, v28, v3, 0
	v_mul_f16_e32 v10, v10, v11
	v_fma_mixlo_f16 v12, v28, v19, 0
	v_fma_mixlo_f16 v11, v28, v4, 0
	s_delay_alu instid0(VALU_DEP_4) | instskip(NEXT) | instid1(VALU_DEP_4)
	v_mul_f16_e32 v2, v2, v21
	v_cvt_f32_f16_e32 v10, v10
	s_delay_alu instid0(VALU_DEP_4) | instskip(NEXT) | instid1(VALU_DEP_4)
	v_mul_f16_e32 v9, v9, v12
	v_mul_f16_e32 v11, v18, v11
	s_delay_alu instid0(VALU_DEP_4) | instskip(NEXT) | instid1(VALU_DEP_3)
	v_cvt_f32_f16_e32 v2, v2
	v_cvt_f32_f16_e32 v9, v9
	s_delay_alu instid0(VALU_DEP_3) | instskip(SKIP_1) | instid1(VALU_DEP_1)
	v_cvt_f32_f16_e32 v11, v11
	v_fmac_f32_e32 v24, v25, v17
	v_fma_f32 v16, -v16, v24, v22
	s_delay_alu instid0(VALU_DEP_1) | instskip(NEXT) | instid1(VALU_DEP_1)
	v_div_fmas_f32 v16, v16, v17, v24
	v_div_fixup_f32 v12, v16, v15, 1.0
	v_cvt_f16_f32_e32 v16, v20
	v_cvt_f16_f32_e32 v15, v19
	s_delay_alu instid0(VALU_DEP_3) | instskip(SKIP_2) | instid1(VALU_DEP_2)
	v_mul_f32_e32 v11, v12, v11
	v_mul_f32_e32 v10, v12, v10
	;; [unrolled: 1-line block ×3, first 2 shown]
	v_rndne_f32_e32 v10, v10
	s_delay_alu instid0(VALU_DEP_2) | instskip(SKIP_2) | instid1(VALU_DEP_4)
	v_rndne_f32_e32 v2, v2
	v_mul_f32_e32 v9, v12, v9
	v_cvt_f16_f32_e32 v12, v3
	v_cmp_nlt_f32_e32 vcc_lo, 0x42fe0000, v10
	s_delay_alu instid0(VALU_DEP_3) | instskip(SKIP_3) | instid1(VALU_DEP_4)
	v_rndne_f32_e32 v3, v9
	v_rndne_f32_e32 v9, v11
	v_cndmask_b32_e32 v11, 0x42fe0000, v10, vcc_lo
	v_cvt_f16_f32_e32 v4, v4
	v_cmp_nlt_f32_e32 vcc_lo, 0x42fe0000, v3
	v_cndmask_b32_e32 v17, 0x42fe0000, v3, vcc_lo
	v_cmp_nlt_f32_e32 vcc_lo, 0x42fe0000, v2
	v_cndmask_b32_e32 v18, 0x42fe0000, v2, vcc_lo
	v_cmp_ngt_f32_e32 vcc_lo, 0xc3000000, v10
	v_cndmask_b32_e32 v10, 0xc3000000, v11, vcc_lo
	v_cmp_nlt_f32_e32 vcc_lo, 0x42fe0000, v9
	v_cndmask_b32_e32 v11, 0x42fe0000, v9, vcc_lo
	v_cmp_ngt_f32_e32 vcc_lo, 0xc3000000, v2
	v_cndmask_b32_e32 v2, 0xc3000000, v18, vcc_lo
	v_cmp_ngt_f32_e32 vcc_lo, 0xc3000000, v3
	s_delay_alu instid0(VALU_DEP_2) | instskip(SKIP_2) | instid1(VALU_DEP_3)
	v_cvt_i32_f32_e32 v2, v2
	v_cndmask_b32_e32 v3, 0xc3000000, v17, vcc_lo
	v_cmp_ngt_f32_e32 vcc_lo, 0xc3000000, v9
	v_and_b32_e32 v17, 0xff, v2
	v_pack_b32_f16 v2, v15, v12
	v_cndmask_b32_e32 v9, 0xc3000000, v11, vcc_lo
	v_cvt_i32_f32_e32 v11, v3
	v_pack_b32_f16 v3, v16, v4
	s_delay_alu instid0(VALU_DEP_3) | instskip(NEXT) | instid1(VALU_DEP_3)
	v_cvt_i32_f32_e32 v9, v9
	v_and_b32_e32 v4, 0xff, v11
	v_lshlrev_b32_e32 v11, 8, v17
	v_cvt_i32_f32_e32 v10, v10
	global_store_b64 v[7:8], v[2:3], off
	v_and_b32_e32 v10, 0xff, v10
	s_delay_alu instid0(VALU_DEP_1) | instskip(NEXT) | instid1(VALU_DEP_1)
	v_lshlrev_b32_e32 v10, 16, v10
	v_lshl_or_b32 v12, v9, 24, v10
	v_add_co_u32 v9, vcc_lo, s0, v13
	v_add_co_ci_u32_e32 v10, vcc_lo, s1, v14, vcc_lo
	v_cmp_le_u32_e32 vcc_lo, s8, v0
	s_delay_alu instid0(VALU_DEP_4)
	v_or3_b32 v4, v12, v11, v4
	s_or_not1_b32 s15, vcc_lo, exec_lo
	global_store_b32 v[9:10], v4, off
	s_branch .LBB56_58
.LBB56_65:
	s_nop 0
	s_sendmsg sendmsg(MSG_DEALLOC_VGPRS)
	s_endpgm
.LBB56_66:
                                        ; implicit-def: $vgpr3_vgpr4
	s_branch .LBB56_51
.LBB56_67:
                                        ; implicit-def: $vgpr1_vgpr2
	s_branch .LBB56_56
	.section	.rodata,"a",@progbits
	.p2align	6, 0x0
	.amdhsa_kernel _ZN4vllm31rms_norm_per_block_quant_kernelIN3c104HalfEaLb1ELb1ELi64EEEvPT0_PfPKT_S8_PKffiiPS6_l
		.amdhsa_group_segment_fixed_size 4228
		.amdhsa_private_segment_fixed_size 0
		.amdhsa_kernarg_size 328
		.amdhsa_user_sgpr_count 15
		.amdhsa_user_sgpr_dispatch_ptr 0
		.amdhsa_user_sgpr_queue_ptr 0
		.amdhsa_user_sgpr_kernarg_segment_ptr 1
		.amdhsa_user_sgpr_dispatch_id 0
		.amdhsa_user_sgpr_private_segment_size 0
		.amdhsa_wavefront_size32 1
		.amdhsa_uses_dynamic_stack 0
		.amdhsa_enable_private_segment 0
		.amdhsa_system_sgpr_workgroup_id_x 1
		.amdhsa_system_sgpr_workgroup_id_y 0
		.amdhsa_system_sgpr_workgroup_id_z 0
		.amdhsa_system_sgpr_workgroup_info 0
		.amdhsa_system_vgpr_workitem_id 0
		.amdhsa_next_free_vgpr 35
		.amdhsa_next_free_sgpr 42
		.amdhsa_reserve_vcc 1
		.amdhsa_float_round_mode_32 0
		.amdhsa_float_round_mode_16_64 0
		.amdhsa_float_denorm_mode_32 3
		.amdhsa_float_denorm_mode_16_64 3
		.amdhsa_dx10_clamp 1
		.amdhsa_ieee_mode 1
		.amdhsa_fp16_overflow 0
		.amdhsa_workgroup_processor_mode 1
		.amdhsa_memory_ordered 1
		.amdhsa_forward_progress 0
		.amdhsa_shared_vgpr_count 0
		.amdhsa_exception_fp_ieee_invalid_op 0
		.amdhsa_exception_fp_denorm_src 0
		.amdhsa_exception_fp_ieee_div_zero 0
		.amdhsa_exception_fp_ieee_overflow 0
		.amdhsa_exception_fp_ieee_underflow 0
		.amdhsa_exception_fp_ieee_inexact 0
		.amdhsa_exception_int_div_zero 0
	.end_amdhsa_kernel
	.section	.text._ZN4vllm31rms_norm_per_block_quant_kernelIN3c104HalfEaLb1ELb1ELi64EEEvPT0_PfPKT_S8_PKffiiPS6_l,"axG",@progbits,_ZN4vllm31rms_norm_per_block_quant_kernelIN3c104HalfEaLb1ELb1ELi64EEEvPT0_PfPKT_S8_PKffiiPS6_l,comdat
.Lfunc_end56:
	.size	_ZN4vllm31rms_norm_per_block_quant_kernelIN3c104HalfEaLb1ELb1ELi64EEEvPT0_PfPKT_S8_PKffiiPS6_l, .Lfunc_end56-_ZN4vllm31rms_norm_per_block_quant_kernelIN3c104HalfEaLb1ELb1ELi64EEEvPT0_PfPKT_S8_PKffiiPS6_l
                                        ; -- End function
	.section	.AMDGPU.csdata,"",@progbits
; Kernel info:
; codeLenInByte = 9828
; NumSgprs: 44
; NumVgprs: 35
; ScratchSize: 0
; MemoryBound: 0
; FloatMode: 240
; IeeeMode: 1
; LDSByteSize: 4228 bytes/workgroup (compile time only)
; SGPRBlocks: 5
; VGPRBlocks: 4
; NumSGPRsForWavesPerEU: 44
; NumVGPRsForWavesPerEU: 35
; Occupancy: 16
; WaveLimiterHint : 0
; COMPUTE_PGM_RSRC2:SCRATCH_EN: 0
; COMPUTE_PGM_RSRC2:USER_SGPR: 15
; COMPUTE_PGM_RSRC2:TRAP_HANDLER: 0
; COMPUTE_PGM_RSRC2:TGID_X_EN: 1
; COMPUTE_PGM_RSRC2:TGID_Y_EN: 0
; COMPUTE_PGM_RSRC2:TGID_Z_EN: 0
; COMPUTE_PGM_RSRC2:TIDIG_COMP_CNT: 0
	.section	.text._ZN4vllm31rms_norm_per_block_quant_kernelIN3c104HalfENS1_13Float8_e4m3fnELb1ELb0ELi64EEEvPT0_PfPKT_S9_PKffiiPS7_l,"axG",@progbits,_ZN4vllm31rms_norm_per_block_quant_kernelIN3c104HalfENS1_13Float8_e4m3fnELb1ELb0ELi64EEEvPT0_PfPKT_S9_PKffiiPS7_l,comdat
	.protected	_ZN4vllm31rms_norm_per_block_quant_kernelIN3c104HalfENS1_13Float8_e4m3fnELb1ELb0ELi64EEEvPT0_PfPKT_S9_PKffiiPS7_l ; -- Begin function _ZN4vllm31rms_norm_per_block_quant_kernelIN3c104HalfENS1_13Float8_e4m3fnELb1ELb0ELi64EEEvPT0_PfPKT_S9_PKffiiPS7_l
	.globl	_ZN4vllm31rms_norm_per_block_quant_kernelIN3c104HalfENS1_13Float8_e4m3fnELb1ELb0ELi64EEEvPT0_PfPKT_S9_PKffiiPS7_l
	.p2align	8
	.type	_ZN4vllm31rms_norm_per_block_quant_kernelIN3c104HalfENS1_13Float8_e4m3fnELb1ELb0ELi64EEEvPT0_PfPKT_S9_PKffiiPS7_l,@function
_ZN4vllm31rms_norm_per_block_quant_kernelIN3c104HalfENS1_13Float8_e4m3fnELb1ELb0ELi64EEEvPT0_PfPKT_S9_PKffiiPS7_l: ; @_ZN4vllm31rms_norm_per_block_quant_kernelIN3c104HalfENS1_13Float8_e4m3fnELb1ELb0ELi64EEEvPT0_PfPKT_S9_PKffiiPS7_l
; %bb.0:
	s_clause 0x2
	s_load_b128 s[16:19], s[0:1], 0x28
	s_load_b256 s[4:11], s[0:1], 0x0
	s_load_b64 s[2:3], s[0:1], 0x38
	v_mov_b32_e32 v6, 0
	s_waitcnt lgkmcnt(0)
	s_ashr_i32 s12, s18, 31
	s_mul_hi_u32 s13, s18, s15
	s_mul_i32 s20, s18, s15
	s_mul_i32 s18, s12, s15
	s_ashr_i32 s19, s17, 31
	s_add_i32 s21, s13, s18
	s_mul_hi_u32 s14, s17, s15
	s_mul_i32 s13, s19, s15
	s_lshl_b64 s[20:21], s[20:21], 1
	s_mul_i32 s12, s17, s15
	s_add_i32 s13, s14, s13
	s_add_u32 s28, s8, s20
	s_addc_u32 s29, s9, s21
	s_lshl_b64 s[8:9], s[12:13], 1
	s_mov_b32 s18, s17
	s_add_u32 s30, s2, s8
	s_addc_u32 s31, s3, s9
	s_ashr_i32 s8, s17, 2
	s_add_u32 s20, s0, 0x48
	v_cmp_gt_u32_e64 s2, s8, v0
	s_mov_b32 s3, 0
	s_addc_u32 s21, s1, 0
	s_delay_alu instid0(VALU_DEP_1)
	s_and_saveexec_b32 s9, s2
	s_cbranch_execz .LBB57_10
; %bb.1:
	s_load_b32 s14, s[20:21], 0x0
	v_dual_mov_b32 v2, 0 :: v_dual_mov_b32 v1, v0
	s_waitcnt lgkmcnt(0)
	s_cmp_lt_u32 s15, s14
	s_cselect_b32 s14, 12, 18
	s_delay_alu instid0(SALU_CYCLE_1)
	s_add_u32 s22, s20, s14
	s_addc_u32 s23, s21, 0
                                        ; implicit-def: $sgpr14
	global_load_u16 v7, v2, s[22:23]
	s_waitcnt vmcnt(0)
	v_lshlrev_b32_e32 v9, 1, v7
	v_mul_lo_u32 v8, v7, 3
	v_add_nc_u32_e32 v10, v7, v7
	v_mov_b32_e32 v6, v2
	s_branch .LBB57_5
.LBB57_2:                               ;   in Loop: Header=BB57_5 Depth=1
	s_or_b32 exec_lo, exec_lo, s23
	s_delay_alu instid0(SALU_CYCLE_1)
	s_or_not1_b32 s23, s24, exec_lo
.LBB57_3:                               ;   in Loop: Header=BB57_5 Depth=1
	s_or_b32 exec_lo, exec_lo, s22
	s_delay_alu instid0(SALU_CYCLE_1) | instskip(SKIP_1) | instid1(SALU_CYCLE_1)
	s_and_not1_b32 s14, s14, exec_lo
	s_and_b32 s22, s23, exec_lo
	s_or_b32 s14, s14, s22
.LBB57_4:                               ;   in Loop: Header=BB57_5 Depth=1
	s_or_b32 exec_lo, exec_lo, s17
	s_delay_alu instid0(SALU_CYCLE_1) | instskip(NEXT) | instid1(SALU_CYCLE_1)
	s_and_b32 s17, exec_lo, s14
	s_or_b32 s3, s17, s3
	s_delay_alu instid0(SALU_CYCLE_1)
	s_and_not1_b32 exec_lo, exec_lo, s3
	s_cbranch_execz .LBB57_9
.LBB57_5:                               ; =>This Inner Loop Header: Depth=1
	v_lshlrev_b64 v[3:4], 3, v[1:2]
	s_or_b32 s14, s14, exec_lo
	s_mov_b32 s17, exec_lo
	s_delay_alu instid0(VALU_DEP_1) | instskip(NEXT) | instid1(VALU_DEP_2)
	v_add_co_u32 v11, vcc_lo, s28, v3
	v_add_co_ci_u32_e32 v12, vcc_lo, s29, v4, vcc_lo
	v_add_co_u32 v3, vcc_lo, s30, v3
	v_add_co_ci_u32_e32 v4, vcc_lo, s31, v4, vcc_lo
	global_load_b64 v[11:12], v[11:12], off
	global_load_b64 v[3:4], v[3:4], off
	s_waitcnt vmcnt(1)
	v_lshrrev_b32_e32 v5, 16, v11
	s_waitcnt vmcnt(0)
	v_lshrrev_b32_e32 v13, 16, v3
	v_cvt_f32_f16_e32 v11, v11
	v_cvt_f32_f16_e32 v3, v3
	v_lshrrev_b32_e32 v14, 16, v12
	v_cvt_f32_f16_e32 v5, v5
	v_cvt_f32_f16_e32 v13, v13
	s_delay_alu instid0(VALU_DEP_1) | instskip(SKIP_4) | instid1(VALU_DEP_4)
	v_add_f32_e32 v5, v5, v13
	v_add_f32_e32 v3, v11, v3
	v_cvt_f32_f16_e32 v11, v12
	v_lshrrev_b32_e32 v12, 16, v4
	v_cvt_f32_f16_e32 v4, v4
	v_fmac_f32_e32 v6, v3, v3
	v_cvt_f32_f16_e32 v3, v14
	s_delay_alu instid0(VALU_DEP_3) | instskip(SKIP_1) | instid1(VALU_DEP_1)
	v_add_f32_e32 v4, v11, v4
	v_cvt_f32_f16_e32 v11, v12
	v_dual_fmac_f32 v6, v5, v5 :: v_dual_add_f32 v5, v3, v11
	s_delay_alu instid0(VALU_DEP_1) | instskip(NEXT) | instid1(VALU_DEP_1)
	v_dual_fmac_f32 v6, v4, v4 :: v_dual_add_nc_u32 v3, v1, v7
	v_fmac_f32_e32 v6, v5, v5
	s_delay_alu instid0(VALU_DEP_2)
	v_cmpx_gt_u32_e64 s8, v3
	s_cbranch_execz .LBB57_4
; %bb.6:                                ;   in Loop: Header=BB57_5 Depth=1
	v_mov_b32_e32 v4, v2
	s_mov_b32 s23, -1
	s_mov_b32 s22, exec_lo
	s_delay_alu instid0(VALU_DEP_1) | instskip(NEXT) | instid1(VALU_DEP_1)
	v_lshlrev_b64 v[4:5], 3, v[3:4]
	v_add_co_u32 v11, vcc_lo, s28, v4
	s_delay_alu instid0(VALU_DEP_2)
	v_add_co_ci_u32_e32 v12, vcc_lo, s29, v5, vcc_lo
	v_add_co_u32 v4, vcc_lo, s30, v4
	v_add_co_ci_u32_e32 v5, vcc_lo, s31, v5, vcc_lo
	global_load_b64 v[11:12], v[11:12], off
	global_load_b64 v[4:5], v[4:5], off
	s_waitcnt vmcnt(1)
	v_lshrrev_b32_e32 v13, 16, v11
	v_cvt_f32_f16_e32 v11, v11
	s_waitcnt vmcnt(0)
	v_lshrrev_b32_e32 v14, 16, v4
	v_cvt_f32_f16_e32 v4, v4
	v_lshrrev_b32_e32 v15, 16, v12
	v_cvt_f32_f16_e32 v13, v13
	s_delay_alu instid0(VALU_DEP_4) | instskip(NEXT) | instid1(VALU_DEP_4)
	v_cvt_f32_f16_e32 v14, v14
	v_add_f32_e32 v4, v11, v4
	v_cvt_f32_f16_e32 v11, v12
	v_lshrrev_b32_e32 v12, 16, v5
	v_cvt_f32_f16_e32 v5, v5
	s_delay_alu instid0(VALU_DEP_4) | instskip(SKIP_1) | instid1(VALU_DEP_3)
	v_dual_add_f32 v13, v13, v14 :: v_dual_fmac_f32 v6, v4, v4
	v_cvt_f32_f16_e32 v4, v15
	v_add_f32_e32 v5, v11, v5
	v_cvt_f32_f16_e32 v11, v12
	s_delay_alu instid0(VALU_DEP_1) | instskip(NEXT) | instid1(VALU_DEP_1)
	v_dual_fmac_f32 v6, v13, v13 :: v_dual_add_f32 v11, v4, v11
	v_fmac_f32_e32 v6, v5, v5
	v_add_nc_u32_e32 v4, v9, v1
	s_delay_alu instid0(VALU_DEP_2) | instskip(NEXT) | instid1(VALU_DEP_2)
	v_fmac_f32_e32 v6, v11, v11
	v_cmpx_gt_u32_e64 s8, v4
	s_cbranch_execz .LBB57_3
; %bb.7:                                ;   in Loop: Header=BB57_5 Depth=1
	v_mov_b32_e32 v5, v2
	v_add_nc_u32_e32 v1, v8, v1
	s_mov_b32 s24, -1
	s_mov_b32 s23, exec_lo
	s_delay_alu instid0(VALU_DEP_2) | instskip(NEXT) | instid1(VALU_DEP_1)
	v_lshlrev_b64 v[4:5], 3, v[4:5]
	v_add_co_u32 v11, vcc_lo, s28, v4
	s_delay_alu instid0(VALU_DEP_2)
	v_add_co_ci_u32_e32 v12, vcc_lo, s29, v5, vcc_lo
	v_add_co_u32 v4, vcc_lo, s30, v4
	v_add_co_ci_u32_e32 v5, vcc_lo, s31, v5, vcc_lo
	global_load_b64 v[11:12], v[11:12], off
	global_load_b64 v[4:5], v[4:5], off
	s_waitcnt vmcnt(1)
	v_lshrrev_b32_e32 v13, 16, v11
	v_cvt_f32_f16_e32 v11, v11
	s_waitcnt vmcnt(0)
	v_lshrrev_b32_e32 v14, 16, v4
	v_cvt_f32_f16_e32 v4, v4
	v_lshrrev_b32_e32 v15, 16, v12
	v_cvt_f32_f16_e32 v13, v13
	s_delay_alu instid0(VALU_DEP_4) | instskip(NEXT) | instid1(VALU_DEP_4)
	v_cvt_f32_f16_e32 v14, v14
	v_add_f32_e32 v4, v11, v4
	v_cvt_f32_f16_e32 v11, v12
	v_lshrrev_b32_e32 v12, 16, v5
	v_cvt_f32_f16_e32 v5, v5
	s_delay_alu instid0(VALU_DEP_4) | instskip(SKIP_1) | instid1(VALU_DEP_3)
	v_dual_add_f32 v13, v13, v14 :: v_dual_fmac_f32 v6, v4, v4
	v_cvt_f32_f16_e32 v4, v15
	v_add_f32_e32 v5, v11, v5
	v_cvt_f32_f16_e32 v11, v12
	s_delay_alu instid0(VALU_DEP_4) | instskip(NEXT) | instid1(VALU_DEP_2)
	v_fmac_f32_e32 v6, v13, v13
	v_add_f32_e32 v4, v4, v11
	s_delay_alu instid0(VALU_DEP_2) | instskip(NEXT) | instid1(VALU_DEP_1)
	v_fmac_f32_e32 v6, v5, v5
	v_fmac_f32_e32 v6, v4, v4
	v_cmpx_gt_u32_e64 s8, v1
	s_xor_b32 s23, exec_lo, s23
	s_cbranch_execz .LBB57_2
; %bb.8:                                ;   in Loop: Header=BB57_5 Depth=1
	v_lshlrev_b64 v[4:5], 3, v[1:2]
	s_delay_alu instid0(VALU_DEP_1) | instskip(NEXT) | instid1(VALU_DEP_2)
	v_add_co_u32 v11, vcc_lo, s28, v4
	v_add_co_ci_u32_e32 v12, vcc_lo, s29, v5, vcc_lo
	v_add_co_u32 v4, vcc_lo, s30, v4
	v_add_co_ci_u32_e32 v5, vcc_lo, s31, v5, vcc_lo
	global_load_b64 v[11:12], v[11:12], off
	global_load_b64 v[4:5], v[4:5], off
	s_waitcnt vmcnt(1)
	v_lshrrev_b32_e32 v1, 16, v11
	v_cvt_f32_f16_e32 v11, v11
	s_waitcnt vmcnt(0)
	v_lshrrev_b32_e32 v13, 16, v4
	v_cvt_f32_f16_e32 v4, v4
	v_lshrrev_b32_e32 v14, 16, v12
	v_cvt_f32_f16_e32 v1, v1
	s_delay_alu instid0(VALU_DEP_4) | instskip(NEXT) | instid1(VALU_DEP_4)
	v_cvt_f32_f16_e32 v13, v13
	v_add_f32_e32 v4, v11, v4
	v_cvt_f32_f16_e32 v11, v12
	v_lshrrev_b32_e32 v12, 16, v5
	v_cvt_f32_f16_e32 v5, v5
	s_delay_alu instid0(VALU_DEP_4) | instskip(SKIP_1) | instid1(VALU_DEP_3)
	v_dual_add_f32 v1, v1, v13 :: v_dual_fmac_f32 v6, v4, v4
	v_cvt_f32_f16_e32 v4, v14
	v_add_f32_e32 v5, v11, v5
	v_cvt_f32_f16_e32 v11, v12
	s_delay_alu instid0(VALU_DEP_4) | instskip(SKIP_1) | instid1(VALU_DEP_2)
	v_fmac_f32_e32 v6, v1, v1
	v_add3_u32 v1, v10, v7, v3
	v_dual_add_f32 v3, v4, v11 :: v_dual_fmac_f32 v6, v5, v5
	s_delay_alu instid0(VALU_DEP_2) | instskip(NEXT) | instid1(VALU_DEP_2)
	v_cmp_le_u32_e32 vcc_lo, s8, v1
	v_fmac_f32_e32 v6, v3, v3
	s_or_not1_b32 s24, vcc_lo, exec_lo
	s_branch .LBB57_2
.LBB57_9:
	s_or_b32 exec_lo, exec_lo, s3
.LBB57_10:
	s_delay_alu instid0(SALU_CYCLE_1) | instskip(SKIP_3) | instid1(VALU_DEP_2)
	s_or_b32 exec_lo, exec_lo, s9
	v_mbcnt_lo_u32_b32 v1, -1, 0
	s_load_b32 s3, s[20:21], 0xc
	v_and_b32_e32 v7, 0x3e0, v0
	v_cmp_ne_u32_e32 vcc_lo, 31, v1
	v_add_nc_u32_e32 v3, 1, v1
	v_add_co_ci_u32_e32 v2, vcc_lo, 0, v1, vcc_lo
	v_cmp_gt_u32_e32 vcc_lo, 30, v1
	s_delay_alu instid0(VALU_DEP_2)
	v_lshlrev_b32_e32 v2, 2, v2
	v_cndmask_b32_e64 v5, 0, 1, vcc_lo
	ds_bpermute_b32 v4, v2, v6
	s_waitcnt lgkmcnt(0)
	s_and_b32 s33, s3, 0xffff
	v_lshlrev_b32_e32 v5, 1, v5
	v_sub_nc_u32_e64 v12, s33, v7 clamp
	s_mov_b32 s3, exec_lo
	s_delay_alu instid0(VALU_DEP_1) | instskip(SKIP_2) | instid1(VALU_DEP_2)
	v_cmp_lt_u32_e32 vcc_lo, v3, v12
	v_add_f32_e32 v7, v6, v4
	v_add_lshl_u32 v4, v5, v1, 2
	v_cndmask_b32_e32 v7, v6, v7, vcc_lo
	v_cmp_gt_u32_e32 vcc_lo, 28, v1
	v_cndmask_b32_e64 v5, 0, 1, vcc_lo
	s_delay_alu instid0(VALU_DEP_1) | instskip(SKIP_2) | instid1(VALU_DEP_1)
	v_lshlrev_b32_e32 v8, 2, v5
	ds_bpermute_b32 v6, v4, v7
	v_add_nc_u32_e32 v5, 2, v1
	v_cmp_lt_u32_e32 vcc_lo, v5, v12
	s_waitcnt lgkmcnt(0)
	v_add_f32_e32 v9, v7, v6
	v_add_lshl_u32 v6, v8, v1, 2
	s_delay_alu instid0(VALU_DEP_2) | instskip(SKIP_3) | instid1(VALU_DEP_1)
	v_cndmask_b32_e32 v9, v7, v9, vcc_lo
	v_cmp_gt_u32_e32 vcc_lo, 24, v1
	ds_bpermute_b32 v8, v6, v9
	v_cndmask_b32_e64 v7, 0, 1, vcc_lo
	v_lshlrev_b32_e32 v10, 3, v7
	v_add_nc_u32_e32 v7, 4, v1
	s_delay_alu instid0(VALU_DEP_1) | instskip(SKIP_3) | instid1(VALU_DEP_2)
	v_cmp_lt_u32_e32 vcc_lo, v7, v12
	s_waitcnt lgkmcnt(0)
	v_add_f32_e32 v11, v9, v8
	v_add_lshl_u32 v8, v10, v1, 2
	v_cndmask_b32_e32 v11, v9, v11, vcc_lo
	v_cmp_gt_u32_e32 vcc_lo, 16, v1
	ds_bpermute_b32 v10, v8, v11
	v_cndmask_b32_e64 v9, 0, 1, vcc_lo
	s_delay_alu instid0(VALU_DEP_1) | instskip(SKIP_1) | instid1(VALU_DEP_1)
	v_lshlrev_b32_e32 v13, 4, v9
	v_add_nc_u32_e32 v9, 8, v1
	v_cmp_lt_u32_e32 vcc_lo, v9, v12
	s_waitcnt lgkmcnt(0)
	v_add_f32_e32 v14, v11, v10
	v_add_lshl_u32 v10, v13, v1, 2
	s_delay_alu instid0(VALU_DEP_2)
	v_cndmask_b32_e32 v13, v11, v14, vcc_lo
	v_add_nc_u32_e32 v11, 16, v1
	ds_bpermute_b32 v14, v10, v13
	v_cmp_lt_u32_e32 vcc_lo, v11, v12
	s_waitcnt lgkmcnt(0)
	v_add_f32_e32 v14, v13, v14
	s_delay_alu instid0(VALU_DEP_1)
	v_cndmask_b32_e32 v12, v13, v14, vcc_lo
	v_cmpx_eq_u32_e32 0, v1
	s_cbranch_execz .LBB57_12
; %bb.11:
	v_lshrrev_b32_e32 v13, 3, v0
	s_delay_alu instid0(VALU_DEP_1)
	v_and_b32_e32 v13, 0x7c, v13
	ds_store_b32 v13, v12 offset:4096
.LBB57_12:
	s_or_b32 exec_lo, exec_lo, s3
	s_delay_alu instid0(SALU_CYCLE_1)
	s_mov_b32 s3, exec_lo
	s_waitcnt lgkmcnt(0)
	s_barrier
	buffer_gl0_inv
	v_cmpx_gt_u32_e32 32, v0
	s_cbranch_execz .LBB57_14
; %bb.13:
	v_lshlrev_b32_e32 v1, 2, v1
	s_add_i32 s9, s33, 31
	s_delay_alu instid0(SALU_CYCLE_1) | instskip(NEXT) | instid1(SALU_CYCLE_1)
	s_lshr_b32 s9, s9, 5
	v_cmp_gt_u32_e32 vcc_lo, s9, v3
	ds_load_b32 v1, v1 offset:4096
	s_waitcnt lgkmcnt(0)
	ds_bpermute_b32 v2, v2, v1
	s_waitcnt lgkmcnt(0)
	v_add_f32_e32 v2, v1, v2
	s_delay_alu instid0(VALU_DEP_1) | instskip(SKIP_4) | instid1(VALU_DEP_1)
	v_cndmask_b32_e32 v1, v1, v2, vcc_lo
	v_cmp_gt_u32_e32 vcc_lo, s9, v5
	ds_bpermute_b32 v2, v4, v1
	s_waitcnt lgkmcnt(0)
	v_add_f32_e32 v2, v1, v2
	v_cndmask_b32_e32 v1, v1, v2, vcc_lo
	v_cmp_gt_u32_e32 vcc_lo, s9, v7
	ds_bpermute_b32 v2, v6, v1
	s_waitcnt lgkmcnt(0)
	v_add_f32_e32 v2, v1, v2
	s_delay_alu instid0(VALU_DEP_1) | instskip(SKIP_4) | instid1(VALU_DEP_1)
	v_cndmask_b32_e32 v1, v1, v2, vcc_lo
	v_cmp_gt_u32_e32 vcc_lo, s9, v9
	ds_bpermute_b32 v2, v8, v1
	s_waitcnt lgkmcnt(0)
	v_add_f32_e32 v2, v1, v2
	v_cndmask_b32_e32 v1, v1, v2, vcc_lo
	v_cmp_gt_u32_e32 vcc_lo, s9, v11
	ds_bpermute_b32 v2, v10, v1
	s_waitcnt lgkmcnt(0)
	v_add_f32_e32 v2, v1, v2
	s_delay_alu instid0(VALU_DEP_1)
	v_cndmask_b32_e32 v12, v1, v2, vcc_lo
.LBB57_14:
	s_or_b32 exec_lo, exec_lo, s3
	s_delay_alu instid0(SALU_CYCLE_1)
	s_mov_b32 s3, exec_lo
	v_cmpx_eq_u32_e32 0, v0
	s_cbranch_execz .LBB57_16
; %bb.15:
	v_cvt_f32_i32_e32 v1, s18
	s_delay_alu instid0(VALU_DEP_1) | instskip(SKIP_1) | instid1(VALU_DEP_2)
	v_div_scale_f32 v2, null, v1, v1, v12
	v_div_scale_f32 v5, vcc_lo, v12, v1, v12
	v_rcp_f32_e32 v3, v2
	s_waitcnt_depctr 0xfff
	v_fma_f32 v4, -v2, v3, 1.0
	s_delay_alu instid0(VALU_DEP_1) | instskip(NEXT) | instid1(VALU_DEP_1)
	v_fmac_f32_e32 v3, v4, v3
	v_mul_f32_e32 v4, v5, v3
	s_delay_alu instid0(VALU_DEP_1) | instskip(NEXT) | instid1(VALU_DEP_1)
	v_fma_f32 v6, -v2, v4, v5
	v_fmac_f32_e32 v4, v6, v3
	s_delay_alu instid0(VALU_DEP_1) | instskip(NEXT) | instid1(VALU_DEP_1)
	v_fma_f32 v2, -v2, v4, v5
	v_div_fmas_f32 v2, v2, v3, v4
	s_delay_alu instid0(VALU_DEP_1) | instskip(NEXT) | instid1(VALU_DEP_1)
	v_div_fixup_f32 v1, v2, v1, v12
	v_add_f32_e32 v1, s16, v1
	s_delay_alu instid0(VALU_DEP_1) | instskip(SKIP_1) | instid1(VALU_DEP_2)
	v_mul_f32_e32 v2, 0x4b800000, v1
	v_cmp_gt_f32_e32 vcc_lo, 0x800000, v1
	v_cndmask_b32_e32 v1, v1, v2, vcc_lo
	s_delay_alu instid0(VALU_DEP_1) | instskip(SKIP_2) | instid1(VALU_DEP_1)
	v_rsq_f32_e32 v1, v1
	s_waitcnt_depctr 0xfff
	v_mul_f32_e32 v2, 0x45800000, v1
	v_dual_cndmask_b32 v1, v1, v2 :: v_dual_mov_b32 v2, 0
	ds_store_b32 v2, v1 offset:4224
.LBB57_16:
	s_or_b32 exec_lo, exec_lo, s3
	s_ashr_i32 s3, s18, 31
	s_waitcnt lgkmcnt(0)
	s_lshr_b32 s3, s3, 26
	s_barrier
	s_add_i32 s3, s18, s3
	buffer_gl0_inv
	s_ashr_i32 s16, s3, 6
	s_ashr_i32 s3, s3, 31
	s_abs_i32 s9, s16
	s_delay_alu instid0(SALU_CYCLE_1) | instskip(SKIP_1) | instid1(VALU_DEP_1)
	v_cvt_f32_u32_e32 v1, s9
	s_sub_i32 s17, 0, s9
	v_rcp_iflag_f32_e32 v1, v1
	s_waitcnt_depctr 0xfff
	v_mul_f32_e32 v1, 0x4f7ffffe, v1
	s_delay_alu instid0(VALU_DEP_1) | instskip(NEXT) | instid1(VALU_DEP_1)
	v_cvt_u32_f32_e32 v1, v1
	v_readfirstlane_b32 s14, v1
	s_delay_alu instid0(VALU_DEP_1) | instskip(NEXT) | instid1(SALU_CYCLE_1)
	s_mul_i32 s17, s17, s14
	s_mul_hi_u32 s17, s14, s17
	s_delay_alu instid0(SALU_CYCLE_1) | instskip(NEXT) | instid1(SALU_CYCLE_1)
	s_add_i32 s14, s14, s17
	s_mul_hi_u32 s14, s33, s14
	s_delay_alu instid0(SALU_CYCLE_1) | instskip(SKIP_2) | instid1(SALU_CYCLE_1)
	s_mul_i32 s17, s14, s9
	s_add_i32 s20, s14, 1
	s_sub_i32 s17, s33, s17
	s_sub_i32 s21, s17, s9
	s_cmp_ge_u32 s17, s9
	s_cselect_b32 s14, s20, s14
	s_cselect_b32 s17, s21, s17
	s_add_i32 s20, s14, 1
	s_cmp_ge_u32 s17, s9
	s_cselect_b32 s9, s20, s14
	s_delay_alu instid0(SALU_CYCLE_1) | instskip(NEXT) | instid1(SALU_CYCLE_1)
	s_xor_b32 s9, s9, s3
	s_sub_i32 s20, s9, s3
	s_delay_alu instid0(SALU_CYCLE_1) | instskip(SKIP_3) | instid1(VALU_DEP_1)
	s_abs_i32 s3, s20
	s_ashr_i32 s21, s20, 31
	v_cvt_f32_u32_e32 v1, s3
	s_sub_i32 s9, 0, s3
	v_rcp_iflag_f32_e32 v1, v1
	s_waitcnt_depctr 0xfff
	v_mul_f32_e32 v1, 0x4f7ffffe, v1
	s_delay_alu instid0(VALU_DEP_1) | instskip(NEXT) | instid1(VALU_DEP_1)
	v_cvt_u32_f32_e32 v1, v1
	v_mul_lo_u32 v2, s9, v1
	s_ashr_i32 s9, s8, 31
	s_delay_alu instid0(VALU_DEP_1) | instskip(NEXT) | instid1(VALU_DEP_1)
	v_mul_hi_u32 v2, v1, v2
	v_add_nc_u32_e32 v1, v1, v2
	s_delay_alu instid0(VALU_DEP_1) | instskip(NEXT) | instid1(VALU_DEP_1)
	v_mul_hi_u32 v1, v0, v1
	v_mul_lo_u32 v2, v1, s3
	v_add_nc_u32_e32 v3, 1, v1
	s_delay_alu instid0(VALU_DEP_2) | instskip(NEXT) | instid1(VALU_DEP_1)
	v_sub_nc_u32_e32 v2, v0, v2
	v_subrev_nc_u32_e32 v4, s3, v2
	v_cmp_le_u32_e32 vcc_lo, s3, v2
	s_delay_alu instid0(VALU_DEP_2) | instskip(NEXT) | instid1(VALU_DEP_1)
	v_dual_cndmask_b32 v1, v1, v3 :: v_dual_cndmask_b32 v2, v2, v4
	v_dual_mov_b32 v4, 0 :: v_dual_add_nc_u32 v3, 1, v1
	s_delay_alu instid0(VALU_DEP_2) | instskip(SKIP_2) | instid1(VALU_DEP_1)
	v_cmp_le_u32_e32 vcc_lo, s3, v2
	ds_load_b32 v28, v4 offset:4224
	v_cndmask_b32_e32 v1, v1, v3, vcc_lo
	v_xor_b32_e32 v1, s21, v1
	s_delay_alu instid0(VALU_DEP_1) | instskip(NEXT) | instid1(VALU_DEP_1)
	v_subrev_nc_u32_e32 v1, s21, v1
	v_ashrrev_i32_e32 v2, 31, v1
	v_mul_lo_u32 v3, v1, s20
	s_delay_alu instid0(VALU_DEP_2) | instskip(NEXT) | instid1(VALU_DEP_2)
	v_lshlrev_b64 v[7:8], 4, v[1:2]
	v_sub_nc_u32_e32 v3, v0, v3
	s_delay_alu instid0(VALU_DEP_2) | instskip(NEXT) | instid1(VALU_DEP_3)
	v_add_co_u32 v5, vcc_lo, v7, 16
	v_add_co_ci_u32_e32 v6, vcc_lo, 0, v8, vcc_lo
	s_delay_alu instid0(VALU_DEP_1) | instskip(SKIP_4) | instid1(VALU_DEP_3)
	v_cmp_gt_i64_e32 vcc_lo, s[8:9], v[5:6]
	v_cndmask_b32_e32 v6, s9, v6, vcc_lo
	v_cndmask_b32_e32 v5, s8, v5, vcc_lo
	v_add_co_u32 v7, vcc_lo, v7, v3
	v_add_co_ci_u32_e32 v8, vcc_lo, 0, v8, vcc_lo
	v_ashrrev_i32_e32 v10, 31, v5
	v_mov_b32_e32 v9, v5
	s_mov_b32 s9, exec_lo
	s_delay_alu instid0(VALU_DEP_1)
	v_cmpx_lt_i64_e64 v[7:8], v[9:10]
	s_cbranch_execz .LBB57_26
; %bb.17:
	v_lshlrev_b64 v[11:12], 7, v[1:2]
	v_lshlrev_b64 v[13:14], 3, v[3:4]
	v_mov_b32_e32 v4, 0
	s_lshl_b64 s[22:23], s[20:21], 5
	s_mul_hi_i32 s14, s20, 3
	s_mul_i32 s17, s20, 3
	s_lshl_b64 s[24:25], s[20:21], 1
	v_add_co_u32 v21, vcc_lo, v11, v13
	v_add_co_ci_u32_e32 v22, vcc_lo, v12, v14, vcc_lo
	v_dual_mov_b32 v12, v8 :: v_dual_mov_b32 v11, v7
	s_lshl_b64 s[26:27], s[20:21], 3
	s_mov_b32 s34, 0
                                        ; implicit-def: $sgpr35
	s_branch .LBB57_21
.LBB57_18:                              ;   in Loop: Header=BB57_21 Depth=1
	s_or_b32 exec_lo, exec_lo, s38
	s_delay_alu instid0(SALU_CYCLE_1)
	s_or_not1_b32 s3, s3, exec_lo
.LBB57_19:                              ;   in Loop: Header=BB57_21 Depth=1
	s_or_b32 exec_lo, exec_lo, s37
	s_delay_alu instid0(SALU_CYCLE_1) | instskip(SKIP_1) | instid1(SALU_CYCLE_1)
	s_and_not1_b32 s35, s35, exec_lo
	s_and_b32 s3, s3, exec_lo
	s_or_b32 s35, s35, s3
.LBB57_20:                              ;   in Loop: Header=BB57_21 Depth=1
	s_or_b32 exec_lo, exec_lo, s36
	s_delay_alu instid0(SALU_CYCLE_1) | instskip(NEXT) | instid1(SALU_CYCLE_1)
	s_and_b32 s3, exec_lo, s35
	s_or_b32 s34, s3, s34
	s_delay_alu instid0(SALU_CYCLE_1)
	s_and_not1_b32 exec_lo, exec_lo, s34
	s_cbranch_execz .LBB57_25
.LBB57_21:                              ; =>This Inner Loop Header: Depth=1
	v_add_co_u32 v15, vcc_lo, s28, v21
	v_add_co_ci_u32_e32 v16, vcc_lo, s29, v22, vcc_lo
	v_add_co_u32 v19, vcc_lo, s30, v21
	v_add_co_ci_u32_e32 v20, vcc_lo, s31, v22, vcc_lo
	v_add_co_u32 v17, vcc_lo, s10, v21
	global_load_b64 v[13:14], v[15:16], off
	global_load_b64 v[23:24], v[19:20], off
	v_add_co_ci_u32_e32 v18, vcc_lo, s11, v22, vcc_lo
	s_or_b32 s35, s35, exec_lo
	s_mov_b32 s36, exec_lo
	global_load_b64 v[25:26], v[17:18], off
	s_waitcnt vmcnt(2)
	v_lshrrev_b32_e32 v27, 16, v13
	s_waitcnt vmcnt(1)
	v_lshrrev_b32_e32 v30, 16, v23
	v_lshrrev_b32_e32 v29, 16, v14
	v_cvt_f32_f16_e32 v13, v13
	v_lshrrev_b32_e32 v31, 16, v24
	v_cvt_f32_f16_e32 v23, v23
	v_cvt_f32_f16_e32 v27, v27
	v_cvt_f32_f16_e32 v30, v30
	v_cvt_f32_f16_e32 v14, v14
	v_cvt_f32_f16_e32 v24, v24
	v_cvt_f32_f16_e32 v29, v29
	v_add_f32_e32 v13, v13, v23
	v_cvt_f32_f16_e32 v23, v31
	s_delay_alu instid0(VALU_DEP_4)
	v_dual_add_f32 v27, v27, v30 :: v_dual_add_f32 v14, v14, v24
	s_waitcnt vmcnt(0)
	v_lshrrev_b32_e32 v30, 16, v25
	s_waitcnt lgkmcnt(0)
	v_fma_mixlo_f16 v13, v28, v13, 0
	v_add_f32_e32 v23, v29, v23
	v_fma_mixlo_f16 v24, v28, v27, 0
	v_lshrrev_b32_e32 v27, 16, v26
	v_fma_mixlo_f16 v14, v28, v14, 0
	v_mul_f16_e32 v13, v25, v13
	v_fma_mixlo_f16 v23, v28, v23, 0
	v_mul_f16_e32 v24, v30, v24
	s_delay_alu instid0(VALU_DEP_4) | instskip(NEXT) | instid1(VALU_DEP_4)
	v_mul_f16_e32 v25, v26, v14
	v_cvt_f32_f16_e64 v26, |v13|
	s_delay_alu instid0(VALU_DEP_4) | instskip(NEXT) | instid1(VALU_DEP_4)
	v_mul_f16_e32 v23, v27, v23
	v_cvt_f32_f16_e64 v24, |v24|
	v_add_co_u32 v13, vcc_lo, v11, s20
	v_cvt_f32_f16_e64 v25, |v25|
	s_delay_alu instid0(VALU_DEP_4) | instskip(NEXT) | instid1(VALU_DEP_4)
	v_cvt_f32_f16_e64 v23, |v23|
	v_max3_f32 v4, v4, v26, v24
	v_add_co_ci_u32_e32 v14, vcc_lo, s21, v12, vcc_lo
	s_delay_alu instid0(VALU_DEP_2) | instskip(NEXT) | instid1(VALU_DEP_2)
	v_max3_f32 v4, v4, v25, v23
	v_cmpx_lt_i64_e64 v[13:14], v[9:10]
	s_cbranch_execz .LBB57_20
; %bb.22:                               ;   in Loop: Header=BB57_21 Depth=1
	v_add_co_u32 v15, vcc_lo, v15, s26
	v_add_co_ci_u32_e32 v16, vcc_lo, s27, v16, vcc_lo
	v_add_co_u32 v19, vcc_lo, v19, s26
	v_add_co_ci_u32_e32 v20, vcc_lo, s27, v20, vcc_lo
	v_add_co_u32 v17, vcc_lo, v17, s26
	global_load_b64 v[23:24], v[15:16], off
	global_load_b64 v[25:26], v[19:20], off
	v_add_co_ci_u32_e32 v18, vcc_lo, s27, v18, vcc_lo
	s_mov_b32 s3, -1
	s_mov_b32 s37, exec_lo
	global_load_b64 v[29:30], v[17:18], off
	s_waitcnt vmcnt(2)
	v_lshrrev_b32_e32 v27, 16, v23
	s_waitcnt vmcnt(1)
	v_lshrrev_b32_e32 v32, 16, v25
	v_lshrrev_b32_e32 v31, 16, v24
	v_cvt_f32_f16_e32 v23, v23
	v_lshrrev_b32_e32 v33, 16, v26
	v_cvt_f32_f16_e32 v25, v25
	v_cvt_f32_f16_e32 v27, v27
	;; [unrolled: 1-line block ×6, first 2 shown]
	v_add_f32_e32 v23, v23, v25
	v_cvt_f32_f16_e32 v25, v33
	s_delay_alu instid0(VALU_DEP_4)
	v_dual_add_f32 v27, v27, v32 :: v_dual_add_f32 v24, v24, v26
	s_waitcnt vmcnt(0)
	v_lshrrev_b32_e32 v32, 16, v29
	v_fma_mixlo_f16 v23, v28, v23, 0
	v_add_f32_e32 v25, v31, v25
	v_fma_mixlo_f16 v26, v28, v27, 0
	v_lshrrev_b32_e32 v27, 16, v30
	v_fma_mixlo_f16 v24, v28, v24, 0
	v_mul_f16_e32 v23, v29, v23
	v_fma_mixlo_f16 v25, v28, v25, 0
	v_mul_f16_e32 v26, v32, v26
	s_delay_alu instid0(VALU_DEP_4) | instskip(NEXT) | instid1(VALU_DEP_4)
	v_mul_f16_e32 v29, v30, v24
	v_cvt_f32_f16_e64 v30, |v23|
	s_delay_alu instid0(VALU_DEP_4) | instskip(NEXT) | instid1(VALU_DEP_4)
	v_mul_f16_e32 v25, v27, v25
	v_cvt_f32_f16_e64 v26, |v26|
	v_add_co_u32 v23, vcc_lo, s24, v11
	v_cvt_f32_f16_e64 v27, |v29|
	s_delay_alu instid0(VALU_DEP_4) | instskip(NEXT) | instid1(VALU_DEP_4)
	v_cvt_f32_f16_e64 v25, |v25|
	v_max3_f32 v4, v4, v30, v26
	v_add_co_ci_u32_e32 v24, vcc_lo, s25, v12, vcc_lo
	s_delay_alu instid0(VALU_DEP_2) | instskip(NEXT) | instid1(VALU_DEP_2)
	v_max3_f32 v4, v4, v27, v25
	v_cmpx_lt_i64_e64 v[23:24], v[9:10]
	s_cbranch_execz .LBB57_19
; %bb.23:                               ;   in Loop: Header=BB57_21 Depth=1
	v_add_co_u32 v15, vcc_lo, v15, s26
	v_add_co_ci_u32_e32 v16, vcc_lo, s27, v16, vcc_lo
	v_add_co_u32 v19, vcc_lo, v19, s26
	v_add_co_ci_u32_e32 v20, vcc_lo, s27, v20, vcc_lo
	v_add_co_u32 v17, vcc_lo, v17, s26
	global_load_b64 v[23:24], v[15:16], off
	global_load_b64 v[25:26], v[19:20], off
	v_add_co_ci_u32_e32 v18, vcc_lo, s27, v18, vcc_lo
	v_add_co_u32 v11, vcc_lo, s17, v11
	v_add_co_ci_u32_e32 v12, vcc_lo, s14, v12, vcc_lo
	global_load_b64 v[29:30], v[17:18], off
	v_cmp_lt_i64_e32 vcc_lo, v[11:12], v[9:10]
                                        ; implicit-def: $vgpr11_vgpr12
	s_waitcnt vmcnt(2)
	v_lshrrev_b32_e32 v27, 16, v23
	s_waitcnt vmcnt(1)
	v_lshrrev_b32_e32 v32, 16, v25
	v_lshrrev_b32_e32 v31, 16, v24
	v_cvt_f32_f16_e32 v23, v23
	v_lshrrev_b32_e32 v33, 16, v26
	v_cvt_f32_f16_e32 v25, v25
	v_cvt_f32_f16_e32 v27, v27
	;; [unrolled: 1-line block ×6, first 2 shown]
	v_add_f32_e32 v23, v23, v25
	v_cvt_f32_f16_e32 v25, v33
	s_delay_alu instid0(VALU_DEP_4)
	v_dual_add_f32 v27, v27, v32 :: v_dual_add_f32 v24, v24, v26
	s_waitcnt vmcnt(0)
	v_lshrrev_b32_e32 v32, 16, v29
	v_fma_mixlo_f16 v23, v28, v23, 0
	v_add_f32_e32 v25, v31, v25
	v_fma_mixlo_f16 v26, v28, v27, 0
	v_lshrrev_b32_e32 v27, 16, v30
	v_fma_mixlo_f16 v24, v28, v24, 0
	v_mul_f16_e32 v23, v29, v23
	v_fma_mixlo_f16 v25, v28, v25, 0
	v_mul_f16_e32 v26, v32, v26
	s_delay_alu instid0(VALU_DEP_4) | instskip(NEXT) | instid1(VALU_DEP_4)
	v_mul_f16_e32 v24, v30, v24
	v_cvt_f32_f16_e64 v23, |v23|
	s_delay_alu instid0(VALU_DEP_4) | instskip(NEXT) | instid1(VALU_DEP_4)
	v_mul_f16_e32 v25, v27, v25
	v_cvt_f32_f16_e64 v26, |v26|
	s_delay_alu instid0(VALU_DEP_4) | instskip(NEXT) | instid1(VALU_DEP_2)
	v_cvt_f32_f16_e64 v24, |v24|
	v_max3_f32 v4, v4, v23, v26
	s_delay_alu instid0(VALU_DEP_4) | instskip(NEXT) | instid1(VALU_DEP_1)
	v_cvt_f32_f16_e64 v23, |v25|
	v_max3_f32 v4, v4, v24, v23
	s_and_saveexec_b32 s38, vcc_lo
	s_delay_alu instid0(SALU_CYCLE_1)
	s_xor_b32 s38, exec_lo, s38
	s_cbranch_execz .LBB57_18
; %bb.24:                               ;   in Loop: Header=BB57_21 Depth=1
	v_add_co_u32 v11, vcc_lo, v15, s26
	v_add_co_ci_u32_e32 v12, vcc_lo, s27, v16, vcc_lo
	v_add_co_u32 v15, vcc_lo, v19, s26
	v_add_co_ci_u32_e32 v16, vcc_lo, s27, v20, vcc_lo
	v_add_co_u32 v17, vcc_lo, v17, s26
	global_load_b64 v[11:12], v[11:12], off
	global_load_b64 v[15:16], v[15:16], off
	v_add_co_ci_u32_e32 v18, vcc_lo, s27, v18, vcc_lo
	s_add_u32 s3, s20, s20
	s_addc_u32 s39, s21, s21
	s_add_u32 s3, s3, s20
	global_load_b64 v[17:18], v[17:18], off
	s_addc_u32 s39, s39, s21
	s_waitcnt vmcnt(2)
	v_lshrrev_b32_e32 v19, 16, v11
	s_waitcnt vmcnt(1)
	v_lshrrev_b32_e32 v23, 16, v15
	v_lshrrev_b32_e32 v20, 16, v12
	v_cvt_f32_f16_e32 v11, v11
	v_lshrrev_b32_e32 v24, 16, v16
	v_cvt_f32_f16_e32 v15, v15
	v_cvt_f32_f16_e32 v19, v19
	;; [unrolled: 1-line block ×6, first 2 shown]
	v_add_f32_e32 v11, v11, v15
	v_cvt_f32_f16_e32 v15, v24
	s_delay_alu instid0(VALU_DEP_4)
	v_dual_add_f32 v19, v19, v23 :: v_dual_add_f32 v12, v12, v16
	s_waitcnt vmcnt(0)
	v_lshrrev_b32_e32 v23, 16, v17
	v_fma_mixlo_f16 v11, v28, v11, 0
	v_add_f32_e32 v15, v20, v15
	v_fma_mixlo_f16 v16, v28, v19, 0
	v_lshrrev_b32_e32 v19, 16, v18
	v_fma_mixlo_f16 v12, v28, v12, 0
	v_mul_f16_e32 v11, v17, v11
	v_fma_mixlo_f16 v15, v28, v15, 0
	v_mul_f16_e32 v16, v23, v16
	s_delay_alu instid0(VALU_DEP_4) | instskip(NEXT) | instid1(VALU_DEP_4)
	v_mul_f16_e32 v17, v18, v12
	v_cvt_f32_f16_e64 v18, |v11|
	s_delay_alu instid0(VALU_DEP_4) | instskip(NEXT) | instid1(VALU_DEP_4)
	v_mul_f16_e32 v15, v19, v15
	v_cvt_f32_f16_e64 v16, |v16|
	v_add_co_u32 v11, vcc_lo, s3, v13
	v_add_co_ci_u32_e32 v12, vcc_lo, s39, v14, vcc_lo
	v_cvt_f32_f16_e64 v13, |v17|
	v_cvt_f32_f16_e64 v14, |v15|
	v_max3_f32 v4, v4, v18, v16
	s_delay_alu instid0(VALU_DEP_4) | instskip(SKIP_1) | instid1(VALU_DEP_1)
	v_cmp_ge_i64_e32 vcc_lo, v[11:12], v[9:10]
	v_add_co_u32 v21, s3, v21, s22
	v_add_co_ci_u32_e64 v22, s3, s23, v22, s3
	s_delay_alu instid0(VALU_DEP_4)
	v_max3_f32 v4, v4, v13, v14
	s_or_not1_b32 s3, vcc_lo, exec_lo
	s_branch .LBB57_18
.LBB57_25:
	s_or_b32 exec_lo, exec_lo, s34
.LBB57_26:
	s_delay_alu instid0(SALU_CYCLE_1)
	s_or_b32 exec_lo, exec_lo, s9
	s_lshr_b32 s9, s33, 5
	v_lshlrev_b32_e32 v29, 2, v0
	v_cvt_f32_u32_e32 v9, s9
	s_sub_i32 s14, 0, s9
	s_add_i32 s17, s16, s9
	s_delay_alu instid0(SALU_CYCLE_1) | instskip(NEXT) | instid1(VALU_DEP_1)
	s_add_i32 s22, s17, -1
	v_rcp_iflag_f32_e32 v9, v9
	s_abs_i32 s23, s22
	s_ashr_i32 s17, s16, 31
	s_ashr_i32 s22, s22, 31
	ds_store_b32 v29, v4
	s_waitcnt lgkmcnt(0)
	s_barrier
	buffer_gl0_inv
	v_mul_f32_e32 v9, 0x4f7ffffe, v9
	s_delay_alu instid0(VALU_DEP_1) | instskip(NEXT) | instid1(VALU_DEP_1)
	v_cvt_u32_f32_e32 v9, v9
	v_readfirstlane_b32 s3, v9
	s_delay_alu instid0(VALU_DEP_1) | instskip(NEXT) | instid1(SALU_CYCLE_1)
	s_mul_i32 s14, s14, s3
	s_mul_hi_u32 s14, s3, s14
	s_delay_alu instid0(SALU_CYCLE_1) | instskip(NEXT) | instid1(SALU_CYCLE_1)
	s_add_i32 s3, s3, s14
	s_mul_hi_u32 s3, s23, s3
	s_delay_alu instid0(SALU_CYCLE_1) | instskip(NEXT) | instid1(SALU_CYCLE_1)
	s_mul_i32 s14, s3, s9
	s_sub_i32 s14, s23, s14
	s_add_i32 s23, s3, 1
	s_sub_i32 s24, s14, s9
	s_cmp_ge_u32 s14, s9
	s_cselect_b32 s3, s23, s3
	s_cselect_b32 s14, s24, s14
	s_add_i32 s23, s3, 1
	s_cmp_ge_u32 s14, s9
	s_cselect_b32 s3, s23, s3
	s_delay_alu instid0(SALU_CYCLE_1) | instskip(NEXT) | instid1(SALU_CYCLE_1)
	s_xor_b32 s3, s3, s22
	s_sub_i32 s22, s3, s22
	s_delay_alu instid0(SALU_CYCLE_1) | instskip(NEXT) | instid1(SALU_CYCLE_1)
	s_ashr_i32 s23, s22, 31
	v_cmp_lt_i64_e64 s3, s[22:23], 1
	s_delay_alu instid0(VALU_DEP_1)
	s_and_b32 vcc_lo, exec_lo, s3
	s_cbranch_vccnz .LBB57_46
; %bb.27:
	v_lshrrev_b32_e32 v9, 5, v0
	v_and_b32_e32 v4, 31, v0
	s_mov_b64 s[24:25], 0
	s_mov_b64 s[26:27], src_shared_base
	s_delay_alu instid0(VALU_DEP_2) | instskip(NEXT) | instid1(VALU_DEP_2)
	v_mul_lo_u32 v19, s20, v9
	v_add_co_u32 v11, s3, v4, 16
	s_delay_alu instid0(VALU_DEP_1) | instskip(SKIP_1) | instid1(VALU_DEP_1)
	v_add_co_ci_u32_e64 v12, null, 0, 0, s3
	v_add_co_u32 v13, s3, v4, 8
	v_add_co_ci_u32_e64 v14, null, 0, 0, s3
	v_add_co_u32 v15, s3, v4, 4
	v_dual_mov_b32 v10, 0 :: v_dual_lshlrev_b32 v21, 2, v19
	v_lshlrev_b32_e32 v22, 2, v4
	v_add_co_ci_u32_e64 v16, null, 0, 0, s3
	v_add_co_u32 v17, s3, v4, 2
	s_delay_alu instid0(VALU_DEP_1) | instskip(SKIP_1) | instid1(VALU_DEP_1)
	v_add_co_ci_u32_e64 v18, null, 0, 0, s3
	v_add_co_u32 v19, s3, v4, 1
	v_add_co_ci_u32_e64 v20, null, 0, 0, s3
	v_add3_u32 v30, v21, v22, 0x80
	s_mul_i32 s3, s20, s9
	s_delay_alu instid0(SALU_CYCLE_1)
	s_lshl_b32 s14, s3, 2
	s_branch .LBB57_30
.LBB57_28:                              ;   in Loop: Header=BB57_30 Depth=1
	s_or_b32 exec_lo, exec_lo, s3
	v_mov_b32_e32 v22, s27
	flat_load_b32 v21, v[21:22] glc dlc
	s_waitcnt vmcnt(0)
.LBB57_29:                              ;   in Loop: Header=BB57_30 Depth=1
	s_or_b32 exec_lo, exec_lo, s26
	s_add_u32 s24, s24, 1
	v_add_nc_u32_e32 v30, s14, v30
	s_addc_u32 s25, s25, 0
	s_delay_alu instid0(SALU_CYCLE_1)
	s_cmp_eq_u64 s[24:25], s[22:23]
	s_cbranch_scc1 .LBB57_46
.LBB57_30:                              ; =>This Loop Header: Depth=1
                                        ;     Child Loop BB57_33 Depth 2
	s_waitcnt lgkmcnt(0)
	v_mad_u64_u32 v[21:22], null, s24, s9, v[9:10]
	s_mov_b32 s26, exec_lo
	s_delay_alu instid0(VALU_DEP_1) | instskip(NEXT) | instid1(VALU_DEP_1)
	v_mad_u64_u32 v[23:24], null, s25, s9, v[22:23]
	v_mov_b32_e32 v22, v23
	s_delay_alu instid0(VALU_DEP_1)
	v_cmpx_gt_i64_e64 s[16:17], v[21:22]
	s_cbranch_execz .LBB57_29
; %bb.31:                               ;   in Loop: Header=BB57_30 Depth=1
	v_mul_lo_u32 v24, v22, s20
	v_mul_lo_u32 v25, v21, s21
	v_mad_u64_u32 v[22:23], null, v21, s20, 0
	s_delay_alu instid0(VALU_DEP_1) | instskip(NEXT) | instid1(VALU_DEP_2)
	v_add3_u32 v23, v23, v25, v24
	v_add_co_u32 v24, vcc_lo, v22, s20
	v_add_co_u32 v31, s3, v22, v4
	s_delay_alu instid0(VALU_DEP_3) | instskip(SKIP_2) | instid1(VALU_DEP_2)
	v_add_co_ci_u32_e32 v25, vcc_lo, s21, v23, vcc_lo
	v_add_co_ci_u32_e64 v21, s3, 0, v23, s3
	s_mov_b32 s3, exec_lo
	v_cmp_gt_i64_e32 vcc_lo, s[18:19], v[24:25]
	v_cndmask_b32_e32 v25, s19, v25, vcc_lo
	v_cndmask_b32_e32 v24, s18, v24, vcc_lo
	v_add_co_u32 v26, vcc_lo, v31, 32
	v_add_co_ci_u32_e32 v27, vcc_lo, 0, v21, vcc_lo
	v_lshlrev_b32_e32 v21, 2, v31
	s_delay_alu instid0(VALU_DEP_2)
	v_cmpx_lt_i64_e64 v[26:27], v[24:25]
	s_cbranch_execz .LBB57_34
; %bb.32:                               ;   in Loop: Header=BB57_30 Depth=1
	ds_load_b32 v33, v21
	v_mov_b32_e32 v32, v30
	s_mov_b32 s34, 0
.LBB57_33:                              ;   Parent Loop BB57_30 Depth=1
                                        ; =>  This Inner Loop Header: Depth=2
	ds_load_b32 v34, v32
	v_add_co_u32 v26, vcc_lo, v26, 32
	v_add_co_ci_u32_e32 v27, vcc_lo, 0, v27, vcc_lo
	s_waitcnt lgkmcnt(1)
	v_dual_max_f32 v33, v33, v33 :: v_dual_add_nc_u32 v32, 0x80, v32
	s_delay_alu instid0(VALU_DEP_2) | instskip(SKIP_3) | instid1(VALU_DEP_1)
	v_cmp_ge_i64_e32 vcc_lo, v[26:27], v[24:25]
	s_or_b32 s34, vcc_lo, s34
	s_waitcnt lgkmcnt(0)
	v_max_f32_e32 v34, v34, v34
	v_max_f32_e32 v33, v33, v34
	ds_store_b32 v21, v33
	s_and_not1_b32 exec_lo, exec_lo, s34
	s_cbranch_execnz .LBB57_33
.LBB57_34:                              ;   in Loop: Header=BB57_30 Depth=1
	s_or_b32 exec_lo, exec_lo, s3
	v_sub_co_u32 v22, vcc_lo, v24, v22
	v_sub_co_ci_u32_e32 v23, vcc_lo, v25, v23, vcc_lo
	s_mov_b32 s3, exec_lo
	s_delay_alu instid0(VALU_DEP_1) | instskip(SKIP_1) | instid1(VALU_DEP_1)
	v_cmp_gt_i64_e32 vcc_lo, 32, v[22:23]
	v_dual_cndmask_b32 v24, 0, v23 :: v_dual_cndmask_b32 v23, 32, v22
	v_cmpx_lt_i64_e64 v[11:12], v[23:24]
	s_cbranch_execz .LBB57_36
; %bb.35:                               ;   in Loop: Header=BB57_30 Depth=1
	v_dual_mov_b32 v22, s27 :: v_dual_add_nc_u32 v25, 64, v21
	v_mov_b32_e32 v26, s27
	flat_load_b32 v27, v[21:22] glc dlc
	s_waitcnt vmcnt(0)
	flat_load_b32 v25, v[25:26] glc dlc
	s_waitcnt vmcnt(0) lgkmcnt(0)
	v_dual_max_f32 v26, v27, v27 :: v_dual_max_f32 v25, v25, v25
	s_delay_alu instid0(VALU_DEP_1)
	v_max_f32_e32 v25, v26, v25
	flat_store_b32 v[21:22], v25 dlc
	s_waitcnt_vscnt null, 0x0
.LBB57_36:                              ;   in Loop: Header=BB57_30 Depth=1
	s_or_b32 exec_lo, exec_lo, s3
	s_delay_alu instid0(SALU_CYCLE_1)
	s_mov_b32 s3, exec_lo
	v_cmpx_lt_i64_e64 v[13:14], v[23:24]
	s_cbranch_execz .LBB57_38
; %bb.37:                               ;   in Loop: Header=BB57_30 Depth=1
	v_dual_mov_b32 v22, s27 :: v_dual_add_nc_u32 v25, 32, v21
	v_mov_b32_e32 v26, s27
	flat_load_b32 v27, v[21:22] glc dlc
	s_waitcnt vmcnt(0)
	flat_load_b32 v25, v[25:26] glc dlc
	s_waitcnt vmcnt(0) lgkmcnt(0)
	v_dual_max_f32 v26, v27, v27 :: v_dual_max_f32 v25, v25, v25
	s_delay_alu instid0(VALU_DEP_1)
	v_max_f32_e32 v25, v26, v25
	flat_store_b32 v[21:22], v25 dlc
	s_waitcnt_vscnt null, 0x0
.LBB57_38:                              ;   in Loop: Header=BB57_30 Depth=1
	s_or_b32 exec_lo, exec_lo, s3
	s_delay_alu instid0(SALU_CYCLE_1)
	s_mov_b32 s3, exec_lo
	v_cmpx_ge_i64_e64 v[15:16], v[23:24]
	s_xor_b32 s3, exec_lo, s3
; %bb.39:                               ;   in Loop: Header=BB57_30 Depth=1
                                        ; implicit-def: $vgpr21
; %bb.40:                               ;   in Loop: Header=BB57_30 Depth=1
	s_delay_alu instid0(SALU_CYCLE_1)
	s_and_not1_saveexec_b32 s3, s3
	s_cbranch_execz .LBB57_42
; %bb.41:                               ;   in Loop: Header=BB57_30 Depth=1
	v_dual_mov_b32 v22, s27 :: v_dual_add_nc_u32 v25, 16, v21
	v_mov_b32_e32 v26, s27
	flat_load_b32 v27, v[21:22] glc dlc
	s_waitcnt vmcnt(0)
	flat_load_b32 v25, v[25:26] glc dlc
	s_waitcnt vmcnt(0) lgkmcnt(0)
	v_dual_max_f32 v26, v27, v27 :: v_dual_max_f32 v25, v25, v25
	s_delay_alu instid0(VALU_DEP_1)
	v_max_f32_e32 v25, v26, v25
	flat_store_b32 v[21:22], v25 dlc
	s_waitcnt_vscnt null, 0x0
.LBB57_42:                              ;   in Loop: Header=BB57_30 Depth=1
	s_or_b32 exec_lo, exec_lo, s3
	v_lshlrev_b32_e32 v21, 2, v31
	s_mov_b32 s3, exec_lo
	v_cmpx_lt_i64_e64 v[17:18], v[23:24]
	s_cbranch_execz .LBB57_44
; %bb.43:                               ;   in Loop: Header=BB57_30 Depth=1
	s_delay_alu instid0(VALU_DEP_2)
	v_dual_mov_b32 v22, s27 :: v_dual_add_nc_u32 v25, 8, v21
	v_mov_b32_e32 v26, s27
	flat_load_b32 v27, v[21:22] glc dlc
	s_waitcnt vmcnt(0)
	flat_load_b32 v25, v[25:26] glc dlc
	s_waitcnt vmcnt(0) lgkmcnt(0)
	v_dual_max_f32 v26, v27, v27 :: v_dual_max_f32 v25, v25, v25
	s_delay_alu instid0(VALU_DEP_1)
	v_max_f32_e32 v25, v26, v25
	flat_store_b32 v[21:22], v25 dlc
	s_waitcnt_vscnt null, 0x0
.LBB57_44:                              ;   in Loop: Header=BB57_30 Depth=1
	s_or_b32 exec_lo, exec_lo, s3
	s_delay_alu instid0(SALU_CYCLE_1)
	s_mov_b32 s3, exec_lo
	v_cmpx_lt_i64_e64 v[19:20], v[23:24]
	s_cbranch_execz .LBB57_28
; %bb.45:                               ;   in Loop: Header=BB57_30 Depth=1
	v_dual_mov_b32 v22, s27 :: v_dual_add_nc_u32 v23, 4, v21
	v_mov_b32_e32 v24, s27
	flat_load_b32 v25, v[21:22] glc dlc
	s_waitcnt vmcnt(0)
	flat_load_b32 v23, v[23:24] glc dlc
	s_waitcnt vmcnt(0) lgkmcnt(0)
	v_dual_max_f32 v24, v25, v25 :: v_dual_max_f32 v23, v23, v23
	s_delay_alu instid0(VALU_DEP_1)
	v_max_f32_e32 v23, v24, v23
	flat_store_b32 v[21:22], v23 dlc
	s_waitcnt_vscnt null, 0x0
	s_branch .LBB57_28
.LBB57_46:
	v_cmp_lt_i64_e32 vcc_lo, v[7:8], v[5:6]
	v_cmp_eq_u32_e64 s3, 0, v3
	s_mul_i32 s9, s17, s15
	s_mul_hi_u32 s17, s16, s15
	s_mul_i32 s14, s16, s15
	s_waitcnt lgkmcnt(0)
	s_and_b32 s18, s3, vcc_lo
	s_barrier
	buffer_gl0_inv
	s_and_saveexec_b32 s3, s18
	s_cbranch_execz .LBB57_50
; %bb.47:
	s_load_b64 s[0:1], s[0:1], 0x20
	ds_load_b32 v3, v29
	s_waitcnt lgkmcnt(0)
	s_cmp_eq_u64 s[0:1], 0
	s_cbranch_scc1 .LBB57_49
; %bb.48:
	s_load_b32 s0, s[0:1], 0x0
	v_max_f32_e32 v3, v3, v3
	s_waitcnt lgkmcnt(0)
	v_max_f32_e64 v4, s0, s0
	s_delay_alu instid0(VALU_DEP_1)
	v_min_f32_e32 v3, v3, v4
.LBB57_49:
	s_delay_alu instid0(VALU_DEP_1) | instskip(SKIP_2) | instid1(VALU_DEP_2)
	v_div_scale_f32 v4, null, 0x43e00000, 0x43e00000, v3
	v_div_scale_f32 v7, vcc_lo, v3, 0x43e00000, v3
	s_add_i32 s15, s17, s9
	v_rcp_f32_e32 v5, v4
	v_lshlrev_b64 v[1:2], 2, v[1:2]
	s_lshl_b64 s[0:1], s[14:15], 2
	s_delay_alu instid0(SALU_CYCLE_1) | instskip(SKIP_3) | instid1(VALU_DEP_1)
	s_add_u32 s0, s6, s0
	s_addc_u32 s1, s7, s1
	s_waitcnt_depctr 0xfff
	v_fma_f32 v6, -v4, v5, 1.0
	v_fmac_f32_e32 v5, v6, v5
	s_delay_alu instid0(VALU_DEP_1) | instskip(NEXT) | instid1(VALU_DEP_1)
	v_mul_f32_e32 v6, v7, v5
	v_fma_f32 v8, -v4, v6, v7
	s_delay_alu instid0(VALU_DEP_1) | instskip(NEXT) | instid1(VALU_DEP_1)
	v_fmac_f32_e32 v6, v8, v5
	v_fma_f32 v4, -v4, v6, v7
	s_delay_alu instid0(VALU_DEP_1) | instskip(SKIP_2) | instid1(VALU_DEP_3)
	v_div_fmas_f32 v4, v4, v5, v6
	v_add_co_u32 v1, vcc_lo, s0, v1
	v_add_co_ci_u32_e32 v2, vcc_lo, s1, v2, vcc_lo
	v_div_fixup_f32 v3, v4, 0x43e00000, v3
	s_delay_alu instid0(VALU_DEP_1)
	v_max_f32_e32 v3, 0x36924925, v3
	global_store_b32 v[1:2], v3, off
.LBB57_50:
	s_or_b32 exec_lo, exec_lo, s3
	s_waitcnt_vscnt null, 0x0
	s_barrier
	buffer_gl0_inv
	s_and_saveexec_b32 s0, s2
	s_cbranch_execz .LBB57_155
; %bb.51:
	s_add_u32 s2, s4, s12
	s_addc_u32 s3, s5, s13
	s_add_i32 s15, s17, s9
	v_mov_b32_e32 v1, 0
	s_lshl_b64 s[0:1], s[14:15], 2
	s_mul_i32 s4, s33, 3
	s_add_u32 s0, s6, s0
	s_addc_u32 s1, s7, s1
	s_lshl_b32 s5, s33, 1
	s_mov_b32 s6, 0
	s_mov_b32 s7, 0x43e00000
	s_add_i32 s9, s33, s33
	s_branch .LBB57_57
.LBB57_52:                              ;   in Loop: Header=BB57_57 Depth=1
	s_or_b32 exec_lo, exec_lo, s16
.LBB57_53:                              ;   in Loop: Header=BB57_57 Depth=1
	s_delay_alu instid0(SALU_CYCLE_1)
	s_or_b32 exec_lo, exec_lo, s15
	v_lshrrev_b32_e32 v8, 24, v12
	v_lshrrev_b32_e32 v3, 24, v3
	v_lshlrev_b32_e32 v9, 24, v10
	v_and_b32_e32 v10, 0x80000000, v4
	v_lshrrev_b32_e32 v6, 24, v6
	v_and_b32_e32 v8, 0x80, v8
	v_and_b32_e32 v3, 0x80, v3
	;; [unrolled: 1-line block ×3, first 2 shown]
	s_delay_alu instid0(VALU_DEP_3) | instskip(NEXT) | instid1(VALU_DEP_3)
	v_and_or_b32 v8, 0xff, v11, v8
	v_and_or_b32 v5, 0xff, v5, v3
	v_lshlrev_b64 v[3:4], 2, v[0:1]
	v_add3_u32 v0, s9, s33, v2
	v_and_or_b32 v6, 0x80, v6, v7
	v_lshlrev_b32_e32 v8, 16, v8
	v_lshlrev_b32_e32 v5, 8, v5
	v_add_co_u32 v2, vcc_lo, s2, v3
	s_delay_alu instid0(VALU_DEP_3) | instskip(SKIP_2) | instid1(VALU_DEP_3)
	v_or3_b32 v7, v10, v9, v8
	v_add_co_ci_u32_e32 v3, vcc_lo, s3, v4, vcc_lo
	v_cmp_le_u32_e32 vcc_lo, s8, v0
	v_or3_b32 v4, v7, v5, v6
	s_or_not1_b32 s15, vcc_lo, exec_lo
	global_store_b32 v[2:3], v4, off
.LBB57_54:                              ;   in Loop: Header=BB57_57 Depth=1
	s_or_b32 exec_lo, exec_lo, s14
	s_delay_alu instid0(SALU_CYCLE_1)
	s_or_not1_b32 s14, s15, exec_lo
.LBB57_55:                              ;   in Loop: Header=BB57_57 Depth=1
	s_or_b32 exec_lo, exec_lo, s13
	s_delay_alu instid0(SALU_CYCLE_1)
	s_or_not1_b32 s13, s14, exec_lo
.LBB57_56:                              ;   in Loop: Header=BB57_57 Depth=1
	s_or_b32 exec_lo, exec_lo, s12
	s_delay_alu instid0(SALU_CYCLE_1) | instskip(NEXT) | instid1(SALU_CYCLE_1)
	s_and_b32 s12, exec_lo, s13
	s_or_b32 s6, s12, s6
	s_delay_alu instid0(SALU_CYCLE_1)
	s_and_not1_b32 exec_lo, exec_lo, s6
	s_cbranch_execz .LBB57_155
.LBB57_57:                              ; =>This Inner Loop Header: Depth=1
	v_lshlrev_b64 v[2:3], 3, v[0:1]
	v_lshrrev_b32_e32 v6, 2, v0
	s_mov_b32 s12, exec_lo
	s_delay_alu instid0(VALU_DEP_1) | instskip(NEXT) | instid1(VALU_DEP_3)
	v_and_b32_e32 v6, 0xffffffc, v6
	v_add_co_u32 v4, vcc_lo, s28, v2
	s_delay_alu instid0(VALU_DEP_4)
	v_add_co_ci_u32_e32 v5, vcc_lo, s29, v3, vcc_lo
	v_add_co_u32 v12, vcc_lo, s30, v2
	v_add_co_ci_u32_e32 v13, vcc_lo, s31, v3, vcc_lo
	global_load_b64 v[4:5], v[4:5], off
	global_load_b64 v[8:9], v[12:13], off
	v_add_co_u32 v2, vcc_lo, s10, v2
	v_add_co_ci_u32_e32 v3, vcc_lo, s11, v3, vcc_lo
	global_load_b32 v7, v6, s[0:1]
	global_load_b64 v[2:3], v[2:3], off
	s_waitcnt vmcnt(3)
	v_cvt_f32_f16_e32 v6, v4
	s_waitcnt vmcnt(2)
	v_cvt_f32_f16_e32 v10, v8
	v_lshrrev_b32_e32 v4, 16, v4
	v_lshrrev_b32_e32 v8, 16, v8
	s_delay_alu instid0(VALU_DEP_3) | instskip(NEXT) | instid1(VALU_DEP_3)
	v_add_f32_e32 v6, v6, v10
	v_cvt_f32_f16_e32 v4, v4
	s_delay_alu instid0(VALU_DEP_2) | instskip(SKIP_1) | instid1(VALU_DEP_1)
	v_fma_mixlo_f16 v10, v28, v6, 0
	s_waitcnt vmcnt(0)
	v_mul_f16_e32 v10, v2, v10
	s_delay_alu instid0(VALU_DEP_1) | instskip(NEXT) | instid1(VALU_DEP_1)
	v_cvt_f32_f16_e32 v10, v10
	v_div_scale_f32 v11, null, v7, v7, v10
	v_div_scale_f32 v16, vcc_lo, v10, v7, v10
	s_delay_alu instid0(VALU_DEP_2) | instskip(SKIP_2) | instid1(VALU_DEP_1)
	v_rcp_f32_e32 v14, v11
	s_waitcnt_depctr 0xfff
	v_fma_f32 v15, -v11, v14, 1.0
	v_fmac_f32_e32 v14, v15, v14
	s_delay_alu instid0(VALU_DEP_1) | instskip(NEXT) | instid1(VALU_DEP_1)
	v_mul_f32_e32 v15, v16, v14
	v_fma_f32 v17, -v11, v15, v16
	s_delay_alu instid0(VALU_DEP_1) | instskip(SKIP_2) | instid1(VALU_DEP_3)
	v_fmac_f32_e32 v15, v17, v14
	v_lshrrev_b32_e32 v17, 16, v5
	v_cvt_f32_f16_e32 v5, v5
	v_fma_f32 v11, -v11, v15, v16
	v_lshrrev_b32_e32 v16, 16, v9
	v_cvt_f32_f16_e32 v9, v9
	s_delay_alu instid0(VALU_DEP_3) | instskip(SKIP_1) | instid1(VALU_DEP_4)
	v_div_fmas_f32 v11, v11, v14, v15
	v_cvt_f32_f16_e32 v14, v17
	v_cvt_f32_f16_e32 v15, v16
	;; [unrolled: 1-line block ×3, first 2 shown]
	v_add_f32_e32 v9, v5, v9
	v_div_fixup_f32 v11, v11, v7, v10
	s_delay_alu instid0(VALU_DEP_4) | instskip(NEXT) | instid1(VALU_DEP_4)
	v_add_f32_e32 v8, v14, v15
	v_add_f32_e32 v10, v4, v16
	s_delay_alu instid0(VALU_DEP_4) | instskip(NEXT) | instid1(VALU_DEP_4)
	v_cvt_f16_f32_e32 v14, v9
	v_minmax_f32 v5, v11, s7, 0xc3e00000
	v_mov_b32_e32 v4, 0x7f
	v_cvt_f16_f32_e32 v15, v8
	v_cvt_f16_f32_e32 v16, v10
	s_delay_alu instid0(VALU_DEP_4) | instskip(SKIP_1) | instid1(VALU_DEP_4)
	v_and_b32_e32 v11, 0x7fffffff, v5
	v_cvt_f16_f32_e32 v6, v6
	v_pack_b32_f16 v15, v14, v15
	s_delay_alu instid0(VALU_DEP_2)
	v_pack_b32_f16 v14, v6, v16
	v_mov_b32_e32 v6, 0x7f
	global_store_b64 v[12:13], v[14:15], off
	v_cmpx_gt_u32_e32 0x43f00000, v11
	s_cbranch_execz .LBB57_63
; %bb.58:                               ;   in Loop: Header=BB57_57 Depth=1
	s_mov_b32 s13, exec_lo
                                        ; implicit-def: $vgpr6
	v_cmpx_lt_u32_e32 0x3c7fffff, v11
	s_xor_b32 s13, exec_lo, s13
; %bb.59:                               ;   in Loop: Header=BB57_57 Depth=1
	v_bfe_u32 v6, v5, 20, 1
	s_delay_alu instid0(VALU_DEP_1) | instskip(NEXT) | instid1(VALU_DEP_1)
	v_add3_u32 v6, v5, v6, 0x407ffff
	v_lshrrev_b32_e32 v6, 20, v6
; %bb.60:                               ;   in Loop: Header=BB57_57 Depth=1
	s_and_not1_saveexec_b32 s13, s13
; %bb.61:                               ;   in Loop: Header=BB57_57 Depth=1
	v_add_f32_e64 v6, 0x46800000, |v5|
; %bb.62:                               ;   in Loop: Header=BB57_57 Depth=1
	s_or_b32 exec_lo, exec_lo, s13
.LBB57_63:                              ;   in Loop: Header=BB57_57 Depth=1
	s_delay_alu instid0(SALU_CYCLE_1) | instskip(SKIP_3) | instid1(VALU_DEP_1)
	s_or_b32 exec_lo, exec_lo, s12
	v_lshrrev_b32_e32 v2, 16, v2
	v_fma_mixlo_f16 v10, v28, v10, 0
	s_mov_b32 s12, exec_lo
	v_mul_f16_e32 v2, v2, v10
	s_delay_alu instid0(VALU_DEP_1) | instskip(NEXT) | instid1(VALU_DEP_1)
	v_cvt_f32_f16_e32 v2, v2
	v_div_scale_f32 v10, null, v7, v7, v2
	s_delay_alu instid0(VALU_DEP_1) | instskip(SKIP_2) | instid1(VALU_DEP_1)
	v_rcp_f32_e32 v11, v10
	s_waitcnt_depctr 0xfff
	v_fma_f32 v12, -v10, v11, 1.0
	v_fmac_f32_e32 v11, v12, v11
	v_div_scale_f32 v12, vcc_lo, v2, v7, v2
	s_delay_alu instid0(VALU_DEP_1) | instskip(NEXT) | instid1(VALU_DEP_1)
	v_mul_f32_e32 v13, v12, v11
	v_fma_f32 v14, -v10, v13, v12
	s_delay_alu instid0(VALU_DEP_1) | instskip(NEXT) | instid1(VALU_DEP_1)
	v_fmac_f32_e32 v13, v14, v11
	v_fma_f32 v10, -v10, v13, v12
	s_delay_alu instid0(VALU_DEP_1) | instskip(NEXT) | instid1(VALU_DEP_1)
	v_div_fmas_f32 v10, v10, v11, v13
	v_div_fixup_f32 v2, v10, v7, v2
	s_delay_alu instid0(VALU_DEP_1) | instskip(NEXT) | instid1(VALU_DEP_1)
	v_minmax_f32 v2, v2, s7, 0xc3e00000
	v_and_b32_e32 v10, 0x7fffffff, v2
	s_delay_alu instid0(VALU_DEP_1)
	v_cmpx_gt_u32_e32 0x43f00000, v10
	s_cbranch_execz .LBB57_69
; %bb.64:                               ;   in Loop: Header=BB57_57 Depth=1
	s_mov_b32 s13, exec_lo
                                        ; implicit-def: $vgpr4
	v_cmpx_lt_u32_e32 0x3c7fffff, v10
	s_xor_b32 s13, exec_lo, s13
; %bb.65:                               ;   in Loop: Header=BB57_57 Depth=1
	v_bfe_u32 v4, v2, 20, 1
	s_delay_alu instid0(VALU_DEP_1) | instskip(NEXT) | instid1(VALU_DEP_1)
	v_add3_u32 v4, v2, v4, 0x407ffff
	v_lshrrev_b32_e32 v4, 20, v4
; %bb.66:                               ;   in Loop: Header=BB57_57 Depth=1
	s_and_not1_saveexec_b32 s13, s13
; %bb.67:                               ;   in Loop: Header=BB57_57 Depth=1
	v_add_f32_e64 v4, 0x46800000, |v2|
; %bb.68:                               ;   in Loop: Header=BB57_57 Depth=1
	s_or_b32 exec_lo, exec_lo, s13
.LBB57_69:                              ;   in Loop: Header=BB57_57 Depth=1
	s_delay_alu instid0(SALU_CYCLE_1) | instskip(SKIP_2) | instid1(VALU_DEP_1)
	s_or_b32 exec_lo, exec_lo, s12
	v_fma_mixlo_f16 v9, v28, v9, 0
	s_mov_b32 s12, exec_lo
	v_mul_f16_e32 v9, v3, v9
	s_delay_alu instid0(VALU_DEP_1) | instskip(NEXT) | instid1(VALU_DEP_1)
	v_cvt_f32_f16_e32 v9, v9
	v_div_scale_f32 v10, null, v7, v7, v9
	v_div_scale_f32 v13, vcc_lo, v9, v7, v9
	s_delay_alu instid0(VALU_DEP_2) | instskip(SKIP_2) | instid1(VALU_DEP_1)
	v_rcp_f32_e32 v11, v10
	s_waitcnt_depctr 0xfff
	v_fma_f32 v12, -v10, v11, 1.0
	v_fmac_f32_e32 v11, v12, v11
	s_delay_alu instid0(VALU_DEP_1) | instskip(NEXT) | instid1(VALU_DEP_1)
	v_mul_f32_e32 v12, v13, v11
	v_fma_f32 v14, -v10, v12, v13
	s_delay_alu instid0(VALU_DEP_1) | instskip(NEXT) | instid1(VALU_DEP_1)
	v_fmac_f32_e32 v12, v14, v11
	v_fma_f32 v10, -v10, v12, v13
	s_delay_alu instid0(VALU_DEP_1) | instskip(NEXT) | instid1(VALU_DEP_1)
	v_div_fmas_f32 v10, v10, v11, v12
	v_div_fixup_f32 v9, v10, v7, v9
	v_mov_b32_e32 v10, 0x7f
	s_delay_alu instid0(VALU_DEP_2) | instskip(SKIP_1) | instid1(VALU_DEP_2)
	v_minmax_f32 v11, v9, s7, 0xc3e00000
	v_mov_b32_e32 v9, 0x7f
	v_and_b32_e32 v12, 0x7fffffff, v11
	s_delay_alu instid0(VALU_DEP_1)
	v_cmpx_gt_u32_e32 0x43f00000, v12
	s_cbranch_execz .LBB57_75
; %bb.70:                               ;   in Loop: Header=BB57_57 Depth=1
	s_mov_b32 s13, exec_lo
                                        ; implicit-def: $vgpr10
	v_cmpx_lt_u32_e32 0x3c7fffff, v12
	s_xor_b32 s13, exec_lo, s13
; %bb.71:                               ;   in Loop: Header=BB57_57 Depth=1
	v_bfe_u32 v10, v11, 20, 1
	s_delay_alu instid0(VALU_DEP_1) | instskip(NEXT) | instid1(VALU_DEP_1)
	v_add3_u32 v10, v11, v10, 0x407ffff
	v_lshrrev_b32_e32 v10, 20, v10
; %bb.72:                               ;   in Loop: Header=BB57_57 Depth=1
	s_and_not1_saveexec_b32 s13, s13
; %bb.73:                               ;   in Loop: Header=BB57_57 Depth=1
	v_add_f32_e64 v10, 0x46800000, |v11|
; %bb.74:                               ;   in Loop: Header=BB57_57 Depth=1
	s_or_b32 exec_lo, exec_lo, s13
.LBB57_75:                              ;   in Loop: Header=BB57_57 Depth=1
	s_delay_alu instid0(SALU_CYCLE_1) | instskip(SKIP_3) | instid1(VALU_DEP_1)
	s_or_b32 exec_lo, exec_lo, s12
	v_lshrrev_b32_e32 v3, 16, v3
	v_fma_mixlo_f16 v8, v28, v8, 0
	s_mov_b32 s12, exec_lo
	v_mul_f16_e32 v3, v3, v8
	s_delay_alu instid0(VALU_DEP_1) | instskip(NEXT) | instid1(VALU_DEP_1)
	v_cvt_f32_f16_e32 v3, v3
	v_div_scale_f32 v8, null, v7, v7, v3
	s_delay_alu instid0(VALU_DEP_1) | instskip(SKIP_2) | instid1(VALU_DEP_1)
	v_rcp_f32_e32 v12, v8
	s_waitcnt_depctr 0xfff
	v_fma_f32 v13, -v8, v12, 1.0
	v_fmac_f32_e32 v12, v13, v12
	v_div_scale_f32 v13, vcc_lo, v3, v7, v3
	s_delay_alu instid0(VALU_DEP_1) | instskip(NEXT) | instid1(VALU_DEP_1)
	v_mul_f32_e32 v14, v13, v12
	v_fma_f32 v15, -v8, v14, v13
	s_delay_alu instid0(VALU_DEP_1) | instskip(NEXT) | instid1(VALU_DEP_1)
	v_fmac_f32_e32 v14, v15, v12
	v_fma_f32 v8, -v8, v14, v13
	s_delay_alu instid0(VALU_DEP_1) | instskip(NEXT) | instid1(VALU_DEP_1)
	v_div_fmas_f32 v8, v8, v12, v14
	v_div_fixup_f32 v3, v8, v7, v3
	s_delay_alu instid0(VALU_DEP_1) | instskip(NEXT) | instid1(VALU_DEP_1)
	v_minmax_f32 v3, v3, s7, 0xc3e00000
	v_and_b32_e32 v7, 0x7fffffff, v3
	s_delay_alu instid0(VALU_DEP_1)
	v_cmpx_gt_u32_e32 0x43f00000, v7
	s_cbranch_execz .LBB57_81
; %bb.76:                               ;   in Loop: Header=BB57_57 Depth=1
	s_mov_b32 s13, exec_lo
                                        ; implicit-def: $vgpr9
	v_cmpx_lt_u32_e32 0x3c7fffff, v7
	s_xor_b32 s13, exec_lo, s13
; %bb.77:                               ;   in Loop: Header=BB57_57 Depth=1
	v_bfe_u32 v7, v3, 20, 1
	s_delay_alu instid0(VALU_DEP_1) | instskip(NEXT) | instid1(VALU_DEP_1)
	v_add3_u32 v7, v3, v7, 0x407ffff
	v_lshrrev_b32_e32 v9, 20, v7
; %bb.78:                               ;   in Loop: Header=BB57_57 Depth=1
	s_and_not1_saveexec_b32 s13, s13
; %bb.79:                               ;   in Loop: Header=BB57_57 Depth=1
	v_add_f32_e64 v9, 0x46800000, |v3|
; %bb.80:                               ;   in Loop: Header=BB57_57 Depth=1
	s_or_b32 exec_lo, exec_lo, s13
.LBB57_81:                              ;   in Loop: Header=BB57_57 Depth=1
	s_delay_alu instid0(SALU_CYCLE_1)
	s_or_b32 exec_lo, exec_lo, s12
	v_lshrrev_b32_e32 v7, 24, v11
	v_lshrrev_b32_e32 v2, 24, v2
	v_lshrrev_b32_e32 v5, 24, v5
	v_lshlrev_b32_e32 v8, 24, v9
	v_and_b32_e32 v9, 0x80000000, v3
	v_and_b32_e32 v7, 0x80, v7
	;; [unrolled: 1-line block ×4, first 2 shown]
	s_mov_b32 s13, -1
	s_mov_b32 s12, exec_lo
	v_and_or_b32 v7, 0xff, v10, v7
	v_and_or_b32 v2, 0xff, v4, v2
	v_lshlrev_b64 v[3:4], 2, v[0:1]
	v_and_or_b32 v5, 0x80, v5, v6
	s_delay_alu instid0(VALU_DEP_4) | instskip(NEXT) | instid1(VALU_DEP_4)
	v_lshlrev_b32_e32 v7, 16, v7
	v_lshlrev_b32_e32 v6, 8, v2
	v_add_nc_u32_e32 v2, s33, v0
	v_add_co_u32 v3, vcc_lo, s2, v3
	s_delay_alu instid0(VALU_DEP_4) | instskip(SKIP_1) | instid1(VALU_DEP_2)
	v_or3_b32 v7, v9, v8, v7
	v_add_co_ci_u32_e32 v4, vcc_lo, s3, v4, vcc_lo
	v_or3_b32 v5, v7, v6, v5
	global_store_b32 v[3:4], v5, off
	v_cmpx_gt_u32_e64 s8, v2
	s_cbranch_execz .LBB57_56
; %bb.82:                               ;   in Loop: Header=BB57_57 Depth=1
	v_lshrrev_b32_e32 v8, 2, v2
	v_mov_b32_e32 v3, v1
	s_mov_b32 s13, exec_lo
	s_delay_alu instid0(VALU_DEP_2) | instskip(NEXT) | instid1(VALU_DEP_2)
	v_and_b32_e32 v8, 0xffffffc, v8
	v_lshlrev_b64 v[4:5], 3, v[2:3]
	s_delay_alu instid0(VALU_DEP_1) | instskip(NEXT) | instid1(VALU_DEP_2)
	v_add_co_u32 v6, vcc_lo, s28, v4
	v_add_co_ci_u32_e32 v7, vcc_lo, s29, v5, vcc_lo
	v_add_co_u32 v14, vcc_lo, s30, v4
	v_add_co_ci_u32_e32 v15, vcc_lo, s31, v5, vcc_lo
	global_load_b64 v[6:7], v[6:7], off
	global_load_b64 v[10:11], v[14:15], off
	v_add_co_u32 v4, vcc_lo, s10, v4
	v_add_co_ci_u32_e32 v5, vcc_lo, s11, v5, vcc_lo
	global_load_b32 v9, v8, s[0:1]
	global_load_b64 v[4:5], v[4:5], off
	s_waitcnt vmcnt(3)
	v_cvt_f32_f16_e32 v8, v6
	s_waitcnt vmcnt(2)
	v_cvt_f32_f16_e32 v12, v10
	v_lshrrev_b32_e32 v6, 16, v6
	v_lshrrev_b32_e32 v10, 16, v10
	s_delay_alu instid0(VALU_DEP_3) | instskip(NEXT) | instid1(VALU_DEP_3)
	v_add_f32_e32 v8, v8, v12
	v_cvt_f32_f16_e32 v6, v6
	s_delay_alu instid0(VALU_DEP_2) | instskip(SKIP_1) | instid1(VALU_DEP_1)
	v_fma_mixlo_f16 v12, v28, v8, 0
	s_waitcnt vmcnt(0)
	v_mul_f16_e32 v12, v4, v12
	s_delay_alu instid0(VALU_DEP_1) | instskip(NEXT) | instid1(VALU_DEP_1)
	v_cvt_f32_f16_e32 v12, v12
	v_div_scale_f32 v13, null, v9, v9, v12
	v_div_scale_f32 v18, vcc_lo, v12, v9, v12
	s_delay_alu instid0(VALU_DEP_2) | instskip(SKIP_2) | instid1(VALU_DEP_1)
	v_rcp_f32_e32 v16, v13
	s_waitcnt_depctr 0xfff
	v_fma_f32 v17, -v13, v16, 1.0
	v_fmac_f32_e32 v16, v17, v16
	s_delay_alu instid0(VALU_DEP_1) | instskip(NEXT) | instid1(VALU_DEP_1)
	v_mul_f32_e32 v17, v18, v16
	v_fma_f32 v19, -v13, v17, v18
	s_delay_alu instid0(VALU_DEP_1) | instskip(SKIP_2) | instid1(VALU_DEP_3)
	v_fmac_f32_e32 v17, v19, v16
	v_lshrrev_b32_e32 v19, 16, v7
	v_cvt_f32_f16_e32 v7, v7
	v_fma_f32 v13, -v13, v17, v18
	v_lshrrev_b32_e32 v18, 16, v11
	v_cvt_f32_f16_e32 v11, v11
	s_delay_alu instid0(VALU_DEP_3) | instskip(SKIP_1) | instid1(VALU_DEP_4)
	v_div_fmas_f32 v13, v13, v16, v17
	v_cvt_f32_f16_e32 v16, v19
	v_cvt_f32_f16_e32 v17, v18
	v_cvt_f32_f16_e32 v18, v10
	v_add_f32_e32 v11, v7, v11
	v_div_fixup_f32 v13, v13, v9, v12
	v_cvt_f16_f32_e32 v8, v8
	v_add_f32_e32 v10, v16, v17
	v_add_f32_e32 v12, v6, v18
	v_cvt_f16_f32_e32 v16, v11
	v_minmax_f32 v7, v13, s7, 0xc3e00000
	v_mov_b32_e32 v6, 0x7f
	v_cvt_f16_f32_e32 v17, v10
	v_cvt_f16_f32_e32 v18, v12
	s_delay_alu instid0(VALU_DEP_4) | instskip(NEXT) | instid1(VALU_DEP_3)
	v_and_b32_e32 v13, 0x7fffffff, v7
	v_pack_b32_f16 v17, v16, v17
	s_delay_alu instid0(VALU_DEP_3)
	v_pack_b32_f16 v16, v8, v18
	v_mov_b32_e32 v8, 0x7f
	global_store_b64 v[14:15], v[16:17], off
	v_cmpx_gt_u32_e32 0x43f00000, v13
	s_cbranch_execz .LBB57_88
; %bb.83:                               ;   in Loop: Header=BB57_57 Depth=1
	s_mov_b32 s14, exec_lo
                                        ; implicit-def: $vgpr8
	v_cmpx_lt_u32_e32 0x3c7fffff, v13
	s_xor_b32 s14, exec_lo, s14
; %bb.84:                               ;   in Loop: Header=BB57_57 Depth=1
	v_bfe_u32 v8, v7, 20, 1
	s_delay_alu instid0(VALU_DEP_1) | instskip(NEXT) | instid1(VALU_DEP_1)
	v_add3_u32 v8, v7, v8, 0x407ffff
	v_lshrrev_b32_e32 v8, 20, v8
; %bb.85:                               ;   in Loop: Header=BB57_57 Depth=1
	s_and_not1_saveexec_b32 s14, s14
; %bb.86:                               ;   in Loop: Header=BB57_57 Depth=1
	v_add_f32_e64 v8, 0x46800000, |v7|
; %bb.87:                               ;   in Loop: Header=BB57_57 Depth=1
	s_or_b32 exec_lo, exec_lo, s14
.LBB57_88:                              ;   in Loop: Header=BB57_57 Depth=1
	s_delay_alu instid0(SALU_CYCLE_1) | instskip(SKIP_3) | instid1(VALU_DEP_1)
	s_or_b32 exec_lo, exec_lo, s13
	v_lshrrev_b32_e32 v4, 16, v4
	v_fma_mixlo_f16 v12, v28, v12, 0
	s_mov_b32 s13, exec_lo
	v_mul_f16_e32 v4, v4, v12
	s_delay_alu instid0(VALU_DEP_1) | instskip(NEXT) | instid1(VALU_DEP_1)
	v_cvt_f32_f16_e32 v4, v4
	v_div_scale_f32 v12, null, v9, v9, v4
	s_delay_alu instid0(VALU_DEP_1) | instskip(SKIP_2) | instid1(VALU_DEP_1)
	v_rcp_f32_e32 v13, v12
	s_waitcnt_depctr 0xfff
	v_fma_f32 v14, -v12, v13, 1.0
	v_fmac_f32_e32 v13, v14, v13
	v_div_scale_f32 v14, vcc_lo, v4, v9, v4
	s_delay_alu instid0(VALU_DEP_1) | instskip(NEXT) | instid1(VALU_DEP_1)
	v_mul_f32_e32 v15, v14, v13
	v_fma_f32 v16, -v12, v15, v14
	s_delay_alu instid0(VALU_DEP_1) | instskip(NEXT) | instid1(VALU_DEP_1)
	v_fmac_f32_e32 v15, v16, v13
	v_fma_f32 v12, -v12, v15, v14
	s_delay_alu instid0(VALU_DEP_1) | instskip(NEXT) | instid1(VALU_DEP_1)
	v_div_fmas_f32 v12, v12, v13, v15
	v_div_fixup_f32 v4, v12, v9, v4
	s_delay_alu instid0(VALU_DEP_1) | instskip(NEXT) | instid1(VALU_DEP_1)
	v_minmax_f32 v4, v4, s7, 0xc3e00000
	v_and_b32_e32 v12, 0x7fffffff, v4
	s_delay_alu instid0(VALU_DEP_1)
	v_cmpx_gt_u32_e32 0x43f00000, v12
	s_cbranch_execz .LBB57_94
; %bb.89:                               ;   in Loop: Header=BB57_57 Depth=1
	s_mov_b32 s14, exec_lo
                                        ; implicit-def: $vgpr6
	v_cmpx_lt_u32_e32 0x3c7fffff, v12
	s_xor_b32 s14, exec_lo, s14
; %bb.90:                               ;   in Loop: Header=BB57_57 Depth=1
	v_bfe_u32 v6, v4, 20, 1
	s_delay_alu instid0(VALU_DEP_1) | instskip(NEXT) | instid1(VALU_DEP_1)
	v_add3_u32 v6, v4, v6, 0x407ffff
	v_lshrrev_b32_e32 v6, 20, v6
; %bb.91:                               ;   in Loop: Header=BB57_57 Depth=1
	s_and_not1_saveexec_b32 s14, s14
; %bb.92:                               ;   in Loop: Header=BB57_57 Depth=1
	v_add_f32_e64 v6, 0x46800000, |v4|
; %bb.93:                               ;   in Loop: Header=BB57_57 Depth=1
	s_or_b32 exec_lo, exec_lo, s14
.LBB57_94:                              ;   in Loop: Header=BB57_57 Depth=1
	s_delay_alu instid0(SALU_CYCLE_1) | instskip(SKIP_2) | instid1(VALU_DEP_1)
	s_or_b32 exec_lo, exec_lo, s13
	v_fma_mixlo_f16 v11, v28, v11, 0
	s_mov_b32 s13, exec_lo
	v_mul_f16_e32 v11, v5, v11
	s_delay_alu instid0(VALU_DEP_1) | instskip(NEXT) | instid1(VALU_DEP_1)
	v_cvt_f32_f16_e32 v11, v11
	v_div_scale_f32 v12, null, v9, v9, v11
	v_div_scale_f32 v15, vcc_lo, v11, v9, v11
	s_delay_alu instid0(VALU_DEP_2) | instskip(SKIP_2) | instid1(VALU_DEP_1)
	v_rcp_f32_e32 v13, v12
	s_waitcnt_depctr 0xfff
	v_fma_f32 v14, -v12, v13, 1.0
	v_fmac_f32_e32 v13, v14, v13
	s_delay_alu instid0(VALU_DEP_1) | instskip(NEXT) | instid1(VALU_DEP_1)
	v_mul_f32_e32 v14, v15, v13
	v_fma_f32 v16, -v12, v14, v15
	s_delay_alu instid0(VALU_DEP_1) | instskip(NEXT) | instid1(VALU_DEP_1)
	v_fmac_f32_e32 v14, v16, v13
	v_fma_f32 v12, -v12, v14, v15
	s_delay_alu instid0(VALU_DEP_1) | instskip(NEXT) | instid1(VALU_DEP_1)
	v_div_fmas_f32 v12, v12, v13, v14
	v_div_fixup_f32 v11, v12, v9, v11
	v_mov_b32_e32 v12, 0x7f
	s_delay_alu instid0(VALU_DEP_2) | instskip(SKIP_1) | instid1(VALU_DEP_2)
	v_minmax_f32 v13, v11, s7, 0xc3e00000
	v_mov_b32_e32 v11, 0x7f
	v_and_b32_e32 v14, 0x7fffffff, v13
	s_delay_alu instid0(VALU_DEP_1)
	v_cmpx_gt_u32_e32 0x43f00000, v14
	s_cbranch_execz .LBB57_100
; %bb.95:                               ;   in Loop: Header=BB57_57 Depth=1
	s_mov_b32 s14, exec_lo
                                        ; implicit-def: $vgpr12
	v_cmpx_lt_u32_e32 0x3c7fffff, v14
	s_xor_b32 s14, exec_lo, s14
; %bb.96:                               ;   in Loop: Header=BB57_57 Depth=1
	v_bfe_u32 v12, v13, 20, 1
	s_delay_alu instid0(VALU_DEP_1) | instskip(NEXT) | instid1(VALU_DEP_1)
	v_add3_u32 v12, v13, v12, 0x407ffff
	v_lshrrev_b32_e32 v12, 20, v12
; %bb.97:                               ;   in Loop: Header=BB57_57 Depth=1
	s_and_not1_saveexec_b32 s14, s14
; %bb.98:                               ;   in Loop: Header=BB57_57 Depth=1
	v_add_f32_e64 v12, 0x46800000, |v13|
; %bb.99:                               ;   in Loop: Header=BB57_57 Depth=1
	s_or_b32 exec_lo, exec_lo, s14
.LBB57_100:                             ;   in Loop: Header=BB57_57 Depth=1
	s_delay_alu instid0(SALU_CYCLE_1) | instskip(SKIP_3) | instid1(VALU_DEP_1)
	s_or_b32 exec_lo, exec_lo, s13
	v_lshrrev_b32_e32 v5, 16, v5
	v_fma_mixlo_f16 v10, v28, v10, 0
	s_mov_b32 s13, exec_lo
	v_mul_f16_e32 v5, v5, v10
	s_delay_alu instid0(VALU_DEP_1) | instskip(NEXT) | instid1(VALU_DEP_1)
	v_cvt_f32_f16_e32 v5, v5
	v_div_scale_f32 v10, null, v9, v9, v5
	s_delay_alu instid0(VALU_DEP_1) | instskip(SKIP_2) | instid1(VALU_DEP_1)
	v_rcp_f32_e32 v14, v10
	s_waitcnt_depctr 0xfff
	v_fma_f32 v15, -v10, v14, 1.0
	v_fmac_f32_e32 v14, v15, v14
	v_div_scale_f32 v15, vcc_lo, v5, v9, v5
	s_delay_alu instid0(VALU_DEP_1) | instskip(NEXT) | instid1(VALU_DEP_1)
	v_mul_f32_e32 v16, v15, v14
	v_fma_f32 v17, -v10, v16, v15
	s_delay_alu instid0(VALU_DEP_1) | instskip(NEXT) | instid1(VALU_DEP_1)
	v_fmac_f32_e32 v16, v17, v14
	v_fma_f32 v10, -v10, v16, v15
	s_delay_alu instid0(VALU_DEP_1) | instskip(NEXT) | instid1(VALU_DEP_1)
	v_div_fmas_f32 v10, v10, v14, v16
	v_div_fixup_f32 v5, v10, v9, v5
	s_delay_alu instid0(VALU_DEP_1) | instskip(NEXT) | instid1(VALU_DEP_1)
	v_minmax_f32 v5, v5, s7, 0xc3e00000
	v_and_b32_e32 v9, 0x7fffffff, v5
	s_delay_alu instid0(VALU_DEP_1)
	v_cmpx_gt_u32_e32 0x43f00000, v9
	s_cbranch_execz .LBB57_106
; %bb.101:                              ;   in Loop: Header=BB57_57 Depth=1
	s_mov_b32 s14, exec_lo
                                        ; implicit-def: $vgpr11
	v_cmpx_lt_u32_e32 0x3c7fffff, v9
	s_xor_b32 s14, exec_lo, s14
; %bb.102:                              ;   in Loop: Header=BB57_57 Depth=1
	v_bfe_u32 v9, v5, 20, 1
	s_delay_alu instid0(VALU_DEP_1) | instskip(NEXT) | instid1(VALU_DEP_1)
	v_add3_u32 v9, v5, v9, 0x407ffff
	v_lshrrev_b32_e32 v11, 20, v9
; %bb.103:                              ;   in Loop: Header=BB57_57 Depth=1
	s_and_not1_saveexec_b32 s14, s14
; %bb.104:                              ;   in Loop: Header=BB57_57 Depth=1
	v_add_f32_e64 v11, 0x46800000, |v5|
; %bb.105:                              ;   in Loop: Header=BB57_57 Depth=1
	s_or_b32 exec_lo, exec_lo, s14
.LBB57_106:                             ;   in Loop: Header=BB57_57 Depth=1
	s_delay_alu instid0(SALU_CYCLE_1)
	s_or_b32 exec_lo, exec_lo, s13
	v_lshrrev_b32_e32 v9, 24, v13
	v_lshrrev_b32_e32 v4, 24, v4
	;; [unrolled: 1-line block ×3, first 2 shown]
	v_lshlrev_b32_e32 v10, 24, v11
	v_and_b32_e32 v11, 0x80000000, v5
	v_and_b32_e32 v9, 0x80, v9
	;; [unrolled: 1-line block ×4, first 2 shown]
	s_mov_b32 s14, -1
	s_mov_b32 s13, exec_lo
	v_and_or_b32 v9, 0xff, v12, v9
	v_and_or_b32 v6, 0xff, v6, v4
	v_lshlrev_b64 v[4:5], 2, v[2:3]
	v_and_or_b32 v7, 0x80, v7, v8
	v_add_nc_u32_e32 v3, s5, v0
	v_lshlrev_b32_e32 v9, 16, v9
	v_lshlrev_b32_e32 v6, 8, v6
	v_add_co_u32 v4, vcc_lo, s2, v4
	s_delay_alu instid0(VALU_DEP_3) | instskip(SKIP_1) | instid1(VALU_DEP_2)
	v_or3_b32 v8, v11, v10, v9
	v_add_co_ci_u32_e32 v5, vcc_lo, s3, v5, vcc_lo
	v_or3_b32 v6, v8, v6, v7
	global_store_b32 v[4:5], v6, off
	v_cmpx_gt_u32_e64 s8, v3
	s_cbranch_execz .LBB57_55
; %bb.107:                              ;   in Loop: Header=BB57_57 Depth=1
	v_lshrrev_b32_e32 v9, 2, v3
	v_mov_b32_e32 v4, v1
	s_mov_b32 s14, exec_lo
	s_delay_alu instid0(VALU_DEP_2) | instskip(NEXT) | instid1(VALU_DEP_2)
	v_and_b32_e32 v9, 0xffffffc, v9
	v_lshlrev_b64 v[5:6], 3, v[3:4]
	s_delay_alu instid0(VALU_DEP_1) | instskip(NEXT) | instid1(VALU_DEP_2)
	v_add_co_u32 v7, vcc_lo, s28, v5
	v_add_co_ci_u32_e32 v8, vcc_lo, s29, v6, vcc_lo
	v_add_co_u32 v15, vcc_lo, s30, v5
	v_add_co_ci_u32_e32 v16, vcc_lo, s31, v6, vcc_lo
	global_load_b64 v[7:8], v[7:8], off
	global_load_b64 v[11:12], v[15:16], off
	v_add_co_u32 v5, vcc_lo, s10, v5
	v_add_co_ci_u32_e32 v6, vcc_lo, s11, v6, vcc_lo
	global_load_b32 v10, v9, s[0:1]
	global_load_b64 v[5:6], v[5:6], off
	s_waitcnt vmcnt(3)
	v_cvt_f32_f16_e32 v9, v7
	s_waitcnt vmcnt(2)
	v_cvt_f32_f16_e32 v13, v11
	v_lshrrev_b32_e32 v7, 16, v7
	v_lshrrev_b32_e32 v11, 16, v11
	s_delay_alu instid0(VALU_DEP_3) | instskip(NEXT) | instid1(VALU_DEP_3)
	v_add_f32_e32 v9, v9, v13
	v_cvt_f32_f16_e32 v7, v7
	s_delay_alu instid0(VALU_DEP_2) | instskip(SKIP_1) | instid1(VALU_DEP_1)
	v_fma_mixlo_f16 v13, v28, v9, 0
	s_waitcnt vmcnt(0)
	v_mul_f16_e32 v13, v5, v13
	s_delay_alu instid0(VALU_DEP_1) | instskip(NEXT) | instid1(VALU_DEP_1)
	v_cvt_f32_f16_e32 v13, v13
	v_div_scale_f32 v14, null, v10, v10, v13
	v_div_scale_f32 v19, vcc_lo, v13, v10, v13
	s_delay_alu instid0(VALU_DEP_2) | instskip(SKIP_2) | instid1(VALU_DEP_1)
	v_rcp_f32_e32 v17, v14
	s_waitcnt_depctr 0xfff
	v_fma_f32 v18, -v14, v17, 1.0
	v_fmac_f32_e32 v17, v18, v17
	s_delay_alu instid0(VALU_DEP_1) | instskip(NEXT) | instid1(VALU_DEP_1)
	v_mul_f32_e32 v18, v19, v17
	v_fma_f32 v20, -v14, v18, v19
	s_delay_alu instid0(VALU_DEP_1) | instskip(SKIP_2) | instid1(VALU_DEP_3)
	v_fmac_f32_e32 v18, v20, v17
	v_lshrrev_b32_e32 v20, 16, v8
	v_cvt_f32_f16_e32 v8, v8
	v_fma_f32 v14, -v14, v18, v19
	v_lshrrev_b32_e32 v19, 16, v12
	v_cvt_f32_f16_e32 v12, v12
	s_delay_alu instid0(VALU_DEP_3) | instskip(SKIP_1) | instid1(VALU_DEP_4)
	v_div_fmas_f32 v14, v14, v17, v18
	v_cvt_f32_f16_e32 v17, v20
	v_cvt_f32_f16_e32 v18, v19
	;; [unrolled: 1-line block ×3, first 2 shown]
	v_add_f32_e32 v12, v8, v12
	v_div_fixup_f32 v14, v14, v10, v13
	v_cvt_f16_f32_e32 v9, v9
	v_add_f32_e32 v11, v17, v18
	v_add_f32_e32 v13, v7, v19
	v_cvt_f16_f32_e32 v17, v12
	v_minmax_f32 v8, v14, s7, 0xc3e00000
	v_mov_b32_e32 v7, 0x7f
	v_cvt_f16_f32_e32 v18, v11
	v_cvt_f16_f32_e32 v19, v13
	s_delay_alu instid0(VALU_DEP_4) | instskip(NEXT) | instid1(VALU_DEP_3)
	v_and_b32_e32 v14, 0x7fffffff, v8
	v_pack_b32_f16 v18, v17, v18
	s_delay_alu instid0(VALU_DEP_3)
	v_pack_b32_f16 v17, v9, v19
	v_mov_b32_e32 v9, 0x7f
	global_store_b64 v[15:16], v[17:18], off
	v_cmpx_gt_u32_e32 0x43f00000, v14
	s_cbranch_execz .LBB57_113
; %bb.108:                              ;   in Loop: Header=BB57_57 Depth=1
	s_mov_b32 s15, exec_lo
                                        ; implicit-def: $vgpr9
	v_cmpx_lt_u32_e32 0x3c7fffff, v14
	s_xor_b32 s15, exec_lo, s15
; %bb.109:                              ;   in Loop: Header=BB57_57 Depth=1
	v_bfe_u32 v9, v8, 20, 1
	s_delay_alu instid0(VALU_DEP_1) | instskip(NEXT) | instid1(VALU_DEP_1)
	v_add3_u32 v9, v8, v9, 0x407ffff
	v_lshrrev_b32_e32 v9, 20, v9
; %bb.110:                              ;   in Loop: Header=BB57_57 Depth=1
	s_and_not1_saveexec_b32 s15, s15
; %bb.111:                              ;   in Loop: Header=BB57_57 Depth=1
	v_add_f32_e64 v9, 0x46800000, |v8|
; %bb.112:                              ;   in Loop: Header=BB57_57 Depth=1
	s_or_b32 exec_lo, exec_lo, s15
.LBB57_113:                             ;   in Loop: Header=BB57_57 Depth=1
	s_delay_alu instid0(SALU_CYCLE_1) | instskip(SKIP_3) | instid1(VALU_DEP_1)
	s_or_b32 exec_lo, exec_lo, s14
	v_lshrrev_b32_e32 v5, 16, v5
	v_fma_mixlo_f16 v13, v28, v13, 0
	s_mov_b32 s14, exec_lo
	v_mul_f16_e32 v5, v5, v13
	s_delay_alu instid0(VALU_DEP_1) | instskip(NEXT) | instid1(VALU_DEP_1)
	v_cvt_f32_f16_e32 v5, v5
	v_div_scale_f32 v13, null, v10, v10, v5
	s_delay_alu instid0(VALU_DEP_1) | instskip(SKIP_2) | instid1(VALU_DEP_1)
	v_rcp_f32_e32 v14, v13
	s_waitcnt_depctr 0xfff
	v_fma_f32 v15, -v13, v14, 1.0
	v_fmac_f32_e32 v14, v15, v14
	v_div_scale_f32 v15, vcc_lo, v5, v10, v5
	s_delay_alu instid0(VALU_DEP_1) | instskip(NEXT) | instid1(VALU_DEP_1)
	v_mul_f32_e32 v16, v15, v14
	v_fma_f32 v17, -v13, v16, v15
	s_delay_alu instid0(VALU_DEP_1) | instskip(NEXT) | instid1(VALU_DEP_1)
	v_fmac_f32_e32 v16, v17, v14
	v_fma_f32 v13, -v13, v16, v15
	s_delay_alu instid0(VALU_DEP_1) | instskip(NEXT) | instid1(VALU_DEP_1)
	v_div_fmas_f32 v13, v13, v14, v16
	v_div_fixup_f32 v5, v13, v10, v5
	s_delay_alu instid0(VALU_DEP_1) | instskip(NEXT) | instid1(VALU_DEP_1)
	v_minmax_f32 v5, v5, s7, 0xc3e00000
	v_and_b32_e32 v13, 0x7fffffff, v5
	s_delay_alu instid0(VALU_DEP_1)
	v_cmpx_gt_u32_e32 0x43f00000, v13
	s_cbranch_execz .LBB57_119
; %bb.114:                              ;   in Loop: Header=BB57_57 Depth=1
	s_mov_b32 s15, exec_lo
                                        ; implicit-def: $vgpr7
	v_cmpx_lt_u32_e32 0x3c7fffff, v13
	s_xor_b32 s15, exec_lo, s15
; %bb.115:                              ;   in Loop: Header=BB57_57 Depth=1
	v_bfe_u32 v7, v5, 20, 1
	s_delay_alu instid0(VALU_DEP_1) | instskip(NEXT) | instid1(VALU_DEP_1)
	v_add3_u32 v7, v5, v7, 0x407ffff
	v_lshrrev_b32_e32 v7, 20, v7
; %bb.116:                              ;   in Loop: Header=BB57_57 Depth=1
	s_and_not1_saveexec_b32 s15, s15
; %bb.117:                              ;   in Loop: Header=BB57_57 Depth=1
	v_add_f32_e64 v7, 0x46800000, |v5|
; %bb.118:                              ;   in Loop: Header=BB57_57 Depth=1
	s_or_b32 exec_lo, exec_lo, s15
.LBB57_119:                             ;   in Loop: Header=BB57_57 Depth=1
	s_delay_alu instid0(SALU_CYCLE_1) | instskip(SKIP_2) | instid1(VALU_DEP_1)
	s_or_b32 exec_lo, exec_lo, s14
	v_fma_mixlo_f16 v12, v28, v12, 0
	s_mov_b32 s14, exec_lo
	v_mul_f16_e32 v12, v6, v12
	s_delay_alu instid0(VALU_DEP_1) | instskip(NEXT) | instid1(VALU_DEP_1)
	v_cvt_f32_f16_e32 v12, v12
	v_div_scale_f32 v13, null, v10, v10, v12
	v_div_scale_f32 v16, vcc_lo, v12, v10, v12
	s_delay_alu instid0(VALU_DEP_2) | instskip(SKIP_2) | instid1(VALU_DEP_1)
	v_rcp_f32_e32 v14, v13
	s_waitcnt_depctr 0xfff
	v_fma_f32 v15, -v13, v14, 1.0
	v_fmac_f32_e32 v14, v15, v14
	s_delay_alu instid0(VALU_DEP_1) | instskip(NEXT) | instid1(VALU_DEP_1)
	v_mul_f32_e32 v15, v16, v14
	v_fma_f32 v17, -v13, v15, v16
	s_delay_alu instid0(VALU_DEP_1) | instskip(NEXT) | instid1(VALU_DEP_1)
	v_fmac_f32_e32 v15, v17, v14
	v_fma_f32 v13, -v13, v15, v16
	s_delay_alu instid0(VALU_DEP_1) | instskip(NEXT) | instid1(VALU_DEP_1)
	v_div_fmas_f32 v13, v13, v14, v15
	v_div_fixup_f32 v12, v13, v10, v12
	v_mov_b32_e32 v13, 0x7f
	s_delay_alu instid0(VALU_DEP_2) | instskip(SKIP_1) | instid1(VALU_DEP_2)
	v_minmax_f32 v14, v12, s7, 0xc3e00000
	v_mov_b32_e32 v12, 0x7f
	v_and_b32_e32 v15, 0x7fffffff, v14
	s_delay_alu instid0(VALU_DEP_1)
	v_cmpx_gt_u32_e32 0x43f00000, v15
	s_cbranch_execz .LBB57_125
; %bb.120:                              ;   in Loop: Header=BB57_57 Depth=1
	s_mov_b32 s15, exec_lo
                                        ; implicit-def: $vgpr13
	v_cmpx_lt_u32_e32 0x3c7fffff, v15
	s_xor_b32 s15, exec_lo, s15
; %bb.121:                              ;   in Loop: Header=BB57_57 Depth=1
	v_bfe_u32 v13, v14, 20, 1
	s_delay_alu instid0(VALU_DEP_1) | instskip(NEXT) | instid1(VALU_DEP_1)
	v_add3_u32 v13, v14, v13, 0x407ffff
	v_lshrrev_b32_e32 v13, 20, v13
; %bb.122:                              ;   in Loop: Header=BB57_57 Depth=1
	s_and_not1_saveexec_b32 s15, s15
; %bb.123:                              ;   in Loop: Header=BB57_57 Depth=1
	v_add_f32_e64 v13, 0x46800000, |v14|
; %bb.124:                              ;   in Loop: Header=BB57_57 Depth=1
	s_or_b32 exec_lo, exec_lo, s15
.LBB57_125:                             ;   in Loop: Header=BB57_57 Depth=1
	s_delay_alu instid0(SALU_CYCLE_1) | instskip(SKIP_3) | instid1(VALU_DEP_1)
	s_or_b32 exec_lo, exec_lo, s14
	v_lshrrev_b32_e32 v6, 16, v6
	v_fma_mixlo_f16 v11, v28, v11, 0
	s_mov_b32 s14, exec_lo
	v_mul_f16_e32 v6, v6, v11
	s_delay_alu instid0(VALU_DEP_1) | instskip(NEXT) | instid1(VALU_DEP_1)
	v_cvt_f32_f16_e32 v6, v6
	v_div_scale_f32 v11, null, v10, v10, v6
	s_delay_alu instid0(VALU_DEP_1) | instskip(SKIP_2) | instid1(VALU_DEP_1)
	v_rcp_f32_e32 v15, v11
	s_waitcnt_depctr 0xfff
	v_fma_f32 v16, -v11, v15, 1.0
	v_fmac_f32_e32 v15, v16, v15
	v_div_scale_f32 v16, vcc_lo, v6, v10, v6
	s_delay_alu instid0(VALU_DEP_1) | instskip(NEXT) | instid1(VALU_DEP_1)
	v_mul_f32_e32 v17, v16, v15
	v_fma_f32 v18, -v11, v17, v16
	s_delay_alu instid0(VALU_DEP_1) | instskip(NEXT) | instid1(VALU_DEP_1)
	v_fmac_f32_e32 v17, v18, v15
	v_fma_f32 v11, -v11, v17, v16
	s_delay_alu instid0(VALU_DEP_1) | instskip(NEXT) | instid1(VALU_DEP_1)
	v_div_fmas_f32 v11, v11, v15, v17
	v_div_fixup_f32 v6, v11, v10, v6
	s_delay_alu instid0(VALU_DEP_1) | instskip(NEXT) | instid1(VALU_DEP_1)
	v_minmax_f32 v6, v6, s7, 0xc3e00000
	v_and_b32_e32 v10, 0x7fffffff, v6
	s_delay_alu instid0(VALU_DEP_1)
	v_cmpx_gt_u32_e32 0x43f00000, v10
	s_cbranch_execz .LBB57_131
; %bb.126:                              ;   in Loop: Header=BB57_57 Depth=1
	s_mov_b32 s15, exec_lo
                                        ; implicit-def: $vgpr12
	v_cmpx_lt_u32_e32 0x3c7fffff, v10
	s_xor_b32 s15, exec_lo, s15
; %bb.127:                              ;   in Loop: Header=BB57_57 Depth=1
	v_bfe_u32 v10, v6, 20, 1
	s_delay_alu instid0(VALU_DEP_1) | instskip(NEXT) | instid1(VALU_DEP_1)
	v_add3_u32 v10, v6, v10, 0x407ffff
	v_lshrrev_b32_e32 v12, 20, v10
; %bb.128:                              ;   in Loop: Header=BB57_57 Depth=1
	s_and_not1_saveexec_b32 s15, s15
; %bb.129:                              ;   in Loop: Header=BB57_57 Depth=1
	v_add_f32_e64 v12, 0x46800000, |v6|
; %bb.130:                              ;   in Loop: Header=BB57_57 Depth=1
	s_or_b32 exec_lo, exec_lo, s15
.LBB57_131:                             ;   in Loop: Header=BB57_57 Depth=1
	s_delay_alu instid0(SALU_CYCLE_1)
	s_or_b32 exec_lo, exec_lo, s14
	v_lshrrev_b32_e32 v10, 24, v14
	v_lshrrev_b32_e32 v5, 24, v5
	;; [unrolled: 1-line block ×3, first 2 shown]
	v_lshlrev_b32_e32 v11, 24, v12
	v_and_b32_e32 v6, 0x80000000, v6
	v_and_b32_e32 v10, 0x80, v10
	;; [unrolled: 1-line block ×4, first 2 shown]
	v_lshlrev_b64 v[3:4], 2, v[3:4]
	v_add_nc_u32_e32 v0, s4, v0
	v_and_or_b32 v10, 0xff, v13, v10
	v_and_or_b32 v5, 0xff, v7, v5
	;; [unrolled: 1-line block ×3, first 2 shown]
	s_mov_b32 s15, -1
	v_add_co_u32 v3, vcc_lo, s2, v3
	v_lshlrev_b32_e32 v7, 16, v10
	v_lshlrev_b32_e32 v5, 8, v5
	v_add_co_ci_u32_e32 v4, vcc_lo, s3, v4, vcc_lo
	s_mov_b32 s14, exec_lo
	s_delay_alu instid0(VALU_DEP_3) | instskip(NEXT) | instid1(VALU_DEP_1)
	v_or3_b32 v6, v6, v11, v7
	v_or3_b32 v5, v6, v5, v8
	global_store_b32 v[3:4], v5, off
	v_cmpx_gt_u32_e64 s8, v0
	s_cbranch_execz .LBB57_54
; %bb.132:                              ;   in Loop: Header=BB57_57 Depth=1
	v_lshlrev_b64 v[3:4], 3, v[0:1]
	v_lshrrev_b32_e32 v7, 2, v0
	s_mov_b32 s15, exec_lo
	s_delay_alu instid0(VALU_DEP_1) | instskip(NEXT) | instid1(VALU_DEP_3)
	v_and_b32_e32 v7, 0xffffffc, v7
	v_add_co_u32 v5, vcc_lo, s28, v3
	s_delay_alu instid0(VALU_DEP_4)
	v_add_co_ci_u32_e32 v6, vcc_lo, s29, v4, vcc_lo
	v_add_co_u32 v13, vcc_lo, s30, v3
	v_add_co_ci_u32_e32 v14, vcc_lo, s31, v4, vcc_lo
	global_load_b64 v[5:6], v[5:6], off
	global_load_b64 v[9:10], v[13:14], off
	v_add_co_u32 v3, vcc_lo, s10, v3
	v_add_co_ci_u32_e32 v4, vcc_lo, s11, v4, vcc_lo
	global_load_b32 v8, v7, s[0:1]
	global_load_b64 v[3:4], v[3:4], off
	s_waitcnt vmcnt(3)
	v_cvt_f32_f16_e32 v7, v5
	s_waitcnt vmcnt(2)
	v_cvt_f32_f16_e32 v11, v9
	v_lshrrev_b32_e32 v5, 16, v5
	v_lshrrev_b32_e32 v9, 16, v9
	s_delay_alu instid0(VALU_DEP_3) | instskip(NEXT) | instid1(VALU_DEP_3)
	v_add_f32_e32 v7, v7, v11
	v_cvt_f32_f16_e32 v5, v5
	s_delay_alu instid0(VALU_DEP_2) | instskip(SKIP_1) | instid1(VALU_DEP_1)
	v_fma_mixlo_f16 v11, v28, v7, 0
	s_waitcnt vmcnt(0)
	v_mul_f16_e32 v11, v3, v11
	s_delay_alu instid0(VALU_DEP_1) | instskip(NEXT) | instid1(VALU_DEP_1)
	v_cvt_f32_f16_e32 v11, v11
	v_div_scale_f32 v12, null, v8, v8, v11
	v_div_scale_f32 v17, vcc_lo, v11, v8, v11
	s_delay_alu instid0(VALU_DEP_2) | instskip(SKIP_2) | instid1(VALU_DEP_1)
	v_rcp_f32_e32 v15, v12
	s_waitcnt_depctr 0xfff
	v_fma_f32 v16, -v12, v15, 1.0
	v_fmac_f32_e32 v15, v16, v15
	s_delay_alu instid0(VALU_DEP_1) | instskip(NEXT) | instid1(VALU_DEP_1)
	v_mul_f32_e32 v16, v17, v15
	v_fma_f32 v18, -v12, v16, v17
	s_delay_alu instid0(VALU_DEP_1) | instskip(SKIP_2) | instid1(VALU_DEP_3)
	v_fmac_f32_e32 v16, v18, v15
	v_lshrrev_b32_e32 v18, 16, v6
	v_cvt_f32_f16_e32 v6, v6
	v_fma_f32 v12, -v12, v16, v17
	v_lshrrev_b32_e32 v17, 16, v10
	v_cvt_f32_f16_e32 v10, v10
	s_delay_alu instid0(VALU_DEP_3) | instskip(SKIP_1) | instid1(VALU_DEP_4)
	v_div_fmas_f32 v12, v12, v15, v16
	v_cvt_f32_f16_e32 v15, v18
	v_cvt_f32_f16_e32 v16, v17
	;; [unrolled: 1-line block ×3, first 2 shown]
	v_add_f32_e32 v10, v6, v10
	v_div_fixup_f32 v12, v12, v8, v11
	s_delay_alu instid0(VALU_DEP_4) | instskip(NEXT) | instid1(VALU_DEP_4)
	v_add_f32_e32 v9, v15, v16
	v_add_f32_e32 v11, v5, v17
	s_delay_alu instid0(VALU_DEP_4) | instskip(NEXT) | instid1(VALU_DEP_4)
	v_cvt_f16_f32_e32 v15, v10
	v_minmax_f32 v6, v12, s7, 0xc3e00000
	v_mov_b32_e32 v5, 0x7f
	v_cvt_f16_f32_e32 v16, v9
	v_cvt_f16_f32_e32 v17, v11
	s_delay_alu instid0(VALU_DEP_4) | instskip(SKIP_1) | instid1(VALU_DEP_4)
	v_and_b32_e32 v12, 0x7fffffff, v6
	v_cvt_f16_f32_e32 v7, v7
	v_pack_b32_f16 v16, v15, v16
	s_delay_alu instid0(VALU_DEP_2)
	v_pack_b32_f16 v15, v7, v17
	v_mov_b32_e32 v7, 0x7f
	global_store_b64 v[13:14], v[15:16], off
	v_cmpx_gt_u32_e32 0x43f00000, v12
	s_cbranch_execz .LBB57_138
; %bb.133:                              ;   in Loop: Header=BB57_57 Depth=1
	s_mov_b32 s16, exec_lo
                                        ; implicit-def: $vgpr7
	v_cmpx_lt_u32_e32 0x3c7fffff, v12
	s_xor_b32 s16, exec_lo, s16
; %bb.134:                              ;   in Loop: Header=BB57_57 Depth=1
	v_bfe_u32 v7, v6, 20, 1
	s_delay_alu instid0(VALU_DEP_1) | instskip(NEXT) | instid1(VALU_DEP_1)
	v_add3_u32 v7, v6, v7, 0x407ffff
	v_lshrrev_b32_e32 v7, 20, v7
; %bb.135:                              ;   in Loop: Header=BB57_57 Depth=1
	s_and_not1_saveexec_b32 s16, s16
; %bb.136:                              ;   in Loop: Header=BB57_57 Depth=1
	v_add_f32_e64 v7, 0x46800000, |v6|
; %bb.137:                              ;   in Loop: Header=BB57_57 Depth=1
	s_or_b32 exec_lo, exec_lo, s16
.LBB57_138:                             ;   in Loop: Header=BB57_57 Depth=1
	s_delay_alu instid0(SALU_CYCLE_1) | instskip(SKIP_3) | instid1(VALU_DEP_1)
	s_or_b32 exec_lo, exec_lo, s15
	v_lshrrev_b32_e32 v3, 16, v3
	v_fma_mixlo_f16 v11, v28, v11, 0
	s_mov_b32 s15, exec_lo
	v_mul_f16_e32 v3, v3, v11
	s_delay_alu instid0(VALU_DEP_1) | instskip(NEXT) | instid1(VALU_DEP_1)
	v_cvt_f32_f16_e32 v3, v3
	v_div_scale_f32 v11, null, v8, v8, v3
	s_delay_alu instid0(VALU_DEP_1) | instskip(SKIP_2) | instid1(VALU_DEP_1)
	v_rcp_f32_e32 v12, v11
	s_waitcnt_depctr 0xfff
	v_fma_f32 v13, -v11, v12, 1.0
	v_fmac_f32_e32 v12, v13, v12
	v_div_scale_f32 v13, vcc_lo, v3, v8, v3
	s_delay_alu instid0(VALU_DEP_1) | instskip(NEXT) | instid1(VALU_DEP_1)
	v_mul_f32_e32 v14, v13, v12
	v_fma_f32 v15, -v11, v14, v13
	s_delay_alu instid0(VALU_DEP_1) | instskip(NEXT) | instid1(VALU_DEP_1)
	v_fmac_f32_e32 v14, v15, v12
	v_fma_f32 v11, -v11, v14, v13
	s_delay_alu instid0(VALU_DEP_1) | instskip(NEXT) | instid1(VALU_DEP_1)
	v_div_fmas_f32 v11, v11, v12, v14
	v_div_fixup_f32 v3, v11, v8, v3
	s_delay_alu instid0(VALU_DEP_1) | instskip(NEXT) | instid1(VALU_DEP_1)
	v_minmax_f32 v3, v3, s7, 0xc3e00000
	v_and_b32_e32 v11, 0x7fffffff, v3
	s_delay_alu instid0(VALU_DEP_1)
	v_cmpx_gt_u32_e32 0x43f00000, v11
	s_cbranch_execz .LBB57_144
; %bb.139:                              ;   in Loop: Header=BB57_57 Depth=1
	s_mov_b32 s16, exec_lo
                                        ; implicit-def: $vgpr5
	v_cmpx_lt_u32_e32 0x3c7fffff, v11
	s_xor_b32 s16, exec_lo, s16
; %bb.140:                              ;   in Loop: Header=BB57_57 Depth=1
	v_bfe_u32 v5, v3, 20, 1
	s_delay_alu instid0(VALU_DEP_1) | instskip(NEXT) | instid1(VALU_DEP_1)
	v_add3_u32 v5, v3, v5, 0x407ffff
	v_lshrrev_b32_e32 v5, 20, v5
; %bb.141:                              ;   in Loop: Header=BB57_57 Depth=1
	s_and_not1_saveexec_b32 s16, s16
; %bb.142:                              ;   in Loop: Header=BB57_57 Depth=1
	v_add_f32_e64 v5, 0x46800000, |v3|
; %bb.143:                              ;   in Loop: Header=BB57_57 Depth=1
	s_or_b32 exec_lo, exec_lo, s16
.LBB57_144:                             ;   in Loop: Header=BB57_57 Depth=1
	s_delay_alu instid0(SALU_CYCLE_1) | instskip(SKIP_2) | instid1(VALU_DEP_1)
	s_or_b32 exec_lo, exec_lo, s15
	v_fma_mixlo_f16 v10, v28, v10, 0
	s_mov_b32 s15, exec_lo
	v_mul_f16_e32 v10, v4, v10
	s_delay_alu instid0(VALU_DEP_1) | instskip(NEXT) | instid1(VALU_DEP_1)
	v_cvt_f32_f16_e32 v10, v10
	v_div_scale_f32 v11, null, v8, v8, v10
	v_div_scale_f32 v14, vcc_lo, v10, v8, v10
	s_delay_alu instid0(VALU_DEP_2) | instskip(SKIP_2) | instid1(VALU_DEP_1)
	v_rcp_f32_e32 v12, v11
	s_waitcnt_depctr 0xfff
	v_fma_f32 v13, -v11, v12, 1.0
	v_fmac_f32_e32 v12, v13, v12
	s_delay_alu instid0(VALU_DEP_1) | instskip(NEXT) | instid1(VALU_DEP_1)
	v_mul_f32_e32 v13, v14, v12
	v_fma_f32 v15, -v11, v13, v14
	s_delay_alu instid0(VALU_DEP_1) | instskip(NEXT) | instid1(VALU_DEP_1)
	v_fmac_f32_e32 v13, v15, v12
	v_fma_f32 v11, -v11, v13, v14
	s_delay_alu instid0(VALU_DEP_1) | instskip(NEXT) | instid1(VALU_DEP_1)
	v_div_fmas_f32 v11, v11, v12, v13
	v_div_fixup_f32 v10, v11, v8, v10
	v_mov_b32_e32 v11, 0x7f
	s_delay_alu instid0(VALU_DEP_2) | instskip(SKIP_1) | instid1(VALU_DEP_2)
	v_minmax_f32 v12, v10, s7, 0xc3e00000
	v_mov_b32_e32 v10, 0x7f
	v_and_b32_e32 v13, 0x7fffffff, v12
	s_delay_alu instid0(VALU_DEP_1)
	v_cmpx_gt_u32_e32 0x43f00000, v13
	s_cbranch_execz .LBB57_150
; %bb.145:                              ;   in Loop: Header=BB57_57 Depth=1
	s_mov_b32 s16, exec_lo
                                        ; implicit-def: $vgpr11
	v_cmpx_lt_u32_e32 0x3c7fffff, v13
	s_xor_b32 s16, exec_lo, s16
; %bb.146:                              ;   in Loop: Header=BB57_57 Depth=1
	v_bfe_u32 v11, v12, 20, 1
	s_delay_alu instid0(VALU_DEP_1) | instskip(NEXT) | instid1(VALU_DEP_1)
	v_add3_u32 v11, v12, v11, 0x407ffff
	v_lshrrev_b32_e32 v11, 20, v11
; %bb.147:                              ;   in Loop: Header=BB57_57 Depth=1
	s_and_not1_saveexec_b32 s16, s16
; %bb.148:                              ;   in Loop: Header=BB57_57 Depth=1
	v_add_f32_e64 v11, 0x46800000, |v12|
; %bb.149:                              ;   in Loop: Header=BB57_57 Depth=1
	s_or_b32 exec_lo, exec_lo, s16
.LBB57_150:                             ;   in Loop: Header=BB57_57 Depth=1
	s_delay_alu instid0(SALU_CYCLE_1) | instskip(SKIP_3) | instid1(VALU_DEP_1)
	s_or_b32 exec_lo, exec_lo, s15
	v_lshrrev_b32_e32 v4, 16, v4
	v_fma_mixlo_f16 v9, v28, v9, 0
	s_mov_b32 s15, exec_lo
	v_mul_f16_e32 v4, v4, v9
	s_delay_alu instid0(VALU_DEP_1) | instskip(NEXT) | instid1(VALU_DEP_1)
	v_cvt_f32_f16_e32 v4, v4
	v_div_scale_f32 v9, null, v8, v8, v4
	s_delay_alu instid0(VALU_DEP_1) | instskip(SKIP_2) | instid1(VALU_DEP_1)
	v_rcp_f32_e32 v13, v9
	s_waitcnt_depctr 0xfff
	v_fma_f32 v14, -v9, v13, 1.0
	v_fmac_f32_e32 v13, v14, v13
	v_div_scale_f32 v14, vcc_lo, v4, v8, v4
	s_delay_alu instid0(VALU_DEP_1) | instskip(NEXT) | instid1(VALU_DEP_1)
	v_mul_f32_e32 v15, v14, v13
	v_fma_f32 v16, -v9, v15, v14
	s_delay_alu instid0(VALU_DEP_1) | instskip(NEXT) | instid1(VALU_DEP_1)
	v_fmac_f32_e32 v15, v16, v13
	v_fma_f32 v9, -v9, v15, v14
	s_delay_alu instid0(VALU_DEP_1) | instskip(NEXT) | instid1(VALU_DEP_1)
	v_div_fmas_f32 v9, v9, v13, v15
	v_div_fixup_f32 v4, v9, v8, v4
	s_delay_alu instid0(VALU_DEP_1) | instskip(NEXT) | instid1(VALU_DEP_1)
	v_minmax_f32 v4, v4, s7, 0xc3e00000
	v_and_b32_e32 v8, 0x7fffffff, v4
	s_delay_alu instid0(VALU_DEP_1)
	v_cmpx_gt_u32_e32 0x43f00000, v8
	s_cbranch_execz .LBB57_53
; %bb.151:                              ;   in Loop: Header=BB57_57 Depth=1
	s_mov_b32 s16, exec_lo
                                        ; implicit-def: $vgpr10
	v_cmpx_lt_u32_e32 0x3c7fffff, v8
	s_xor_b32 s16, exec_lo, s16
; %bb.152:                              ;   in Loop: Header=BB57_57 Depth=1
	v_bfe_u32 v8, v4, 20, 1
	s_delay_alu instid0(VALU_DEP_1) | instskip(NEXT) | instid1(VALU_DEP_1)
	v_add3_u32 v8, v4, v8, 0x407ffff
	v_lshrrev_b32_e32 v10, 20, v8
; %bb.153:                              ;   in Loop: Header=BB57_57 Depth=1
	s_and_not1_saveexec_b32 s16, s16
	s_cbranch_execz .LBB57_52
; %bb.154:                              ;   in Loop: Header=BB57_57 Depth=1
	v_add_f32_e64 v10, 0x46800000, |v4|
	s_branch .LBB57_52
.LBB57_155:
	s_nop 0
	s_sendmsg sendmsg(MSG_DEALLOC_VGPRS)
	s_endpgm
	.section	.rodata,"a",@progbits
	.p2align	6, 0x0
	.amdhsa_kernel _ZN4vllm31rms_norm_per_block_quant_kernelIN3c104HalfENS1_13Float8_e4m3fnELb1ELb0ELi64EEEvPT0_PfPKT_S9_PKffiiPS7_l
		.amdhsa_group_segment_fixed_size 4228
		.amdhsa_private_segment_fixed_size 0
		.amdhsa_kernarg_size 328
		.amdhsa_user_sgpr_count 15
		.amdhsa_user_sgpr_dispatch_ptr 0
		.amdhsa_user_sgpr_queue_ptr 0
		.amdhsa_user_sgpr_kernarg_segment_ptr 1
		.amdhsa_user_sgpr_dispatch_id 0
		.amdhsa_user_sgpr_private_segment_size 0
		.amdhsa_wavefront_size32 1
		.amdhsa_uses_dynamic_stack 0
		.amdhsa_enable_private_segment 0
		.amdhsa_system_sgpr_workgroup_id_x 1
		.amdhsa_system_sgpr_workgroup_id_y 0
		.amdhsa_system_sgpr_workgroup_id_z 0
		.amdhsa_system_sgpr_workgroup_info 0
		.amdhsa_system_vgpr_workitem_id 0
		.amdhsa_next_free_vgpr 35
		.amdhsa_next_free_sgpr 40
		.amdhsa_reserve_vcc 1
		.amdhsa_float_round_mode_32 0
		.amdhsa_float_round_mode_16_64 0
		.amdhsa_float_denorm_mode_32 3
		.amdhsa_float_denorm_mode_16_64 3
		.amdhsa_dx10_clamp 1
		.amdhsa_ieee_mode 1
		.amdhsa_fp16_overflow 0
		.amdhsa_workgroup_processor_mode 1
		.amdhsa_memory_ordered 1
		.amdhsa_forward_progress 0
		.amdhsa_shared_vgpr_count 0
		.amdhsa_exception_fp_ieee_invalid_op 0
		.amdhsa_exception_fp_denorm_src 0
		.amdhsa_exception_fp_ieee_div_zero 0
		.amdhsa_exception_fp_ieee_overflow 0
		.amdhsa_exception_fp_ieee_underflow 0
		.amdhsa_exception_fp_ieee_inexact 0
		.amdhsa_exception_int_div_zero 0
	.end_amdhsa_kernel
	.section	.text._ZN4vllm31rms_norm_per_block_quant_kernelIN3c104HalfENS1_13Float8_e4m3fnELb1ELb0ELi64EEEvPT0_PfPKT_S9_PKffiiPS7_l,"axG",@progbits,_ZN4vllm31rms_norm_per_block_quant_kernelIN3c104HalfENS1_13Float8_e4m3fnELb1ELb0ELi64EEEvPT0_PfPKT_S9_PKffiiPS7_l,comdat
.Lfunc_end57:
	.size	_ZN4vllm31rms_norm_per_block_quant_kernelIN3c104HalfENS1_13Float8_e4m3fnELb1ELb0ELi64EEEvPT0_PfPKT_S9_PKffiiPS7_l, .Lfunc_end57-_ZN4vllm31rms_norm_per_block_quant_kernelIN3c104HalfENS1_13Float8_e4m3fnELb1ELb0ELi64EEEvPT0_PfPKT_S9_PKffiiPS7_l
                                        ; -- End function
	.section	.AMDGPU.csdata,"",@progbits
; Kernel info:
; codeLenInByte = 10468
; NumSgprs: 42
; NumVgprs: 35
; ScratchSize: 0
; MemoryBound: 0
; FloatMode: 240
; IeeeMode: 1
; LDSByteSize: 4228 bytes/workgroup (compile time only)
; SGPRBlocks: 5
; VGPRBlocks: 4
; NumSGPRsForWavesPerEU: 42
; NumVGPRsForWavesPerEU: 35
; Occupancy: 16
; WaveLimiterHint : 0
; COMPUTE_PGM_RSRC2:SCRATCH_EN: 0
; COMPUTE_PGM_RSRC2:USER_SGPR: 15
; COMPUTE_PGM_RSRC2:TRAP_HANDLER: 0
; COMPUTE_PGM_RSRC2:TGID_X_EN: 1
; COMPUTE_PGM_RSRC2:TGID_Y_EN: 0
; COMPUTE_PGM_RSRC2:TGID_Z_EN: 0
; COMPUTE_PGM_RSRC2:TIDIG_COMP_CNT: 0
	.section	.text._ZN4vllm31rms_norm_per_block_quant_kernelIN3c104HalfENS1_15Float8_e4m3fnuzELb1ELb0ELi64EEEvPT0_PfPKT_S9_PKffiiPS7_l,"axG",@progbits,_ZN4vllm31rms_norm_per_block_quant_kernelIN3c104HalfENS1_15Float8_e4m3fnuzELb1ELb0ELi64EEEvPT0_PfPKT_S9_PKffiiPS7_l,comdat
	.protected	_ZN4vllm31rms_norm_per_block_quant_kernelIN3c104HalfENS1_15Float8_e4m3fnuzELb1ELb0ELi64EEEvPT0_PfPKT_S9_PKffiiPS7_l ; -- Begin function _ZN4vllm31rms_norm_per_block_quant_kernelIN3c104HalfENS1_15Float8_e4m3fnuzELb1ELb0ELi64EEEvPT0_PfPKT_S9_PKffiiPS7_l
	.globl	_ZN4vllm31rms_norm_per_block_quant_kernelIN3c104HalfENS1_15Float8_e4m3fnuzELb1ELb0ELi64EEEvPT0_PfPKT_S9_PKffiiPS7_l
	.p2align	8
	.type	_ZN4vllm31rms_norm_per_block_quant_kernelIN3c104HalfENS1_15Float8_e4m3fnuzELb1ELb0ELi64EEEvPT0_PfPKT_S9_PKffiiPS7_l,@function
_ZN4vllm31rms_norm_per_block_quant_kernelIN3c104HalfENS1_15Float8_e4m3fnuzELb1ELb0ELi64EEEvPT0_PfPKT_S9_PKffiiPS7_l: ; @_ZN4vllm31rms_norm_per_block_quant_kernelIN3c104HalfENS1_15Float8_e4m3fnuzELb1ELb0ELi64EEEvPT0_PfPKT_S9_PKffiiPS7_l
; %bb.0:
	s_clause 0x2
	s_load_b128 s[16:19], s[0:1], 0x28
	s_load_b256 s[4:11], s[0:1], 0x0
	s_load_b64 s[2:3], s[0:1], 0x38
	v_mov_b32_e32 v6, 0
	s_waitcnt lgkmcnt(0)
	s_ashr_i32 s12, s18, 31
	s_mul_hi_u32 s13, s18, s15
	s_mul_i32 s20, s18, s15
	s_mul_i32 s18, s12, s15
	s_ashr_i32 s19, s17, 31
	s_add_i32 s21, s13, s18
	s_mul_hi_u32 s14, s17, s15
	s_mul_i32 s13, s19, s15
	s_lshl_b64 s[20:21], s[20:21], 1
	s_mul_i32 s12, s17, s15
	s_add_i32 s13, s14, s13
	s_add_u32 s28, s8, s20
	s_addc_u32 s29, s9, s21
	s_lshl_b64 s[8:9], s[12:13], 1
	s_mov_b32 s18, s17
	s_add_u32 s30, s2, s8
	s_addc_u32 s31, s3, s9
	s_ashr_i32 s8, s17, 2
	s_add_u32 s20, s0, 0x48
	v_cmp_gt_u32_e64 s2, s8, v0
	s_mov_b32 s3, 0
	s_addc_u32 s21, s1, 0
	s_delay_alu instid0(VALU_DEP_1)
	s_and_saveexec_b32 s9, s2
	s_cbranch_execz .LBB58_10
; %bb.1:
	s_load_b32 s14, s[20:21], 0x0
	v_dual_mov_b32 v2, 0 :: v_dual_mov_b32 v1, v0
	s_waitcnt lgkmcnt(0)
	s_cmp_lt_u32 s15, s14
	s_cselect_b32 s14, 12, 18
	s_delay_alu instid0(SALU_CYCLE_1)
	s_add_u32 s22, s20, s14
	s_addc_u32 s23, s21, 0
                                        ; implicit-def: $sgpr14
	global_load_u16 v7, v2, s[22:23]
	s_waitcnt vmcnt(0)
	v_lshlrev_b32_e32 v9, 1, v7
	v_mul_lo_u32 v8, v7, 3
	v_add_nc_u32_e32 v10, v7, v7
	v_mov_b32_e32 v6, v2
	s_branch .LBB58_5
.LBB58_2:                               ;   in Loop: Header=BB58_5 Depth=1
	s_or_b32 exec_lo, exec_lo, s23
	s_delay_alu instid0(SALU_CYCLE_1)
	s_or_not1_b32 s23, s24, exec_lo
.LBB58_3:                               ;   in Loop: Header=BB58_5 Depth=1
	s_or_b32 exec_lo, exec_lo, s22
	s_delay_alu instid0(SALU_CYCLE_1) | instskip(SKIP_1) | instid1(SALU_CYCLE_1)
	s_and_not1_b32 s14, s14, exec_lo
	s_and_b32 s22, s23, exec_lo
	s_or_b32 s14, s14, s22
.LBB58_4:                               ;   in Loop: Header=BB58_5 Depth=1
	s_or_b32 exec_lo, exec_lo, s17
	s_delay_alu instid0(SALU_CYCLE_1) | instskip(NEXT) | instid1(SALU_CYCLE_1)
	s_and_b32 s17, exec_lo, s14
	s_or_b32 s3, s17, s3
	s_delay_alu instid0(SALU_CYCLE_1)
	s_and_not1_b32 exec_lo, exec_lo, s3
	s_cbranch_execz .LBB58_9
.LBB58_5:                               ; =>This Inner Loop Header: Depth=1
	v_lshlrev_b64 v[3:4], 3, v[1:2]
	s_or_b32 s14, s14, exec_lo
	s_mov_b32 s17, exec_lo
	s_delay_alu instid0(VALU_DEP_1) | instskip(NEXT) | instid1(VALU_DEP_2)
	v_add_co_u32 v11, vcc_lo, s28, v3
	v_add_co_ci_u32_e32 v12, vcc_lo, s29, v4, vcc_lo
	v_add_co_u32 v3, vcc_lo, s30, v3
	v_add_co_ci_u32_e32 v4, vcc_lo, s31, v4, vcc_lo
	global_load_b64 v[11:12], v[11:12], off
	global_load_b64 v[3:4], v[3:4], off
	s_waitcnt vmcnt(1)
	v_lshrrev_b32_e32 v5, 16, v11
	s_waitcnt vmcnt(0)
	v_lshrrev_b32_e32 v13, 16, v3
	v_cvt_f32_f16_e32 v11, v11
	v_cvt_f32_f16_e32 v3, v3
	v_lshrrev_b32_e32 v14, 16, v12
	v_cvt_f32_f16_e32 v5, v5
	v_cvt_f32_f16_e32 v13, v13
	s_delay_alu instid0(VALU_DEP_1) | instskip(SKIP_4) | instid1(VALU_DEP_4)
	v_add_f32_e32 v5, v5, v13
	v_add_f32_e32 v3, v11, v3
	v_cvt_f32_f16_e32 v11, v12
	v_lshrrev_b32_e32 v12, 16, v4
	v_cvt_f32_f16_e32 v4, v4
	v_fmac_f32_e32 v6, v3, v3
	v_cvt_f32_f16_e32 v3, v14
	s_delay_alu instid0(VALU_DEP_3) | instskip(SKIP_1) | instid1(VALU_DEP_1)
	v_add_f32_e32 v4, v11, v4
	v_cvt_f32_f16_e32 v11, v12
	v_dual_fmac_f32 v6, v5, v5 :: v_dual_add_f32 v5, v3, v11
	s_delay_alu instid0(VALU_DEP_1) | instskip(NEXT) | instid1(VALU_DEP_1)
	v_dual_fmac_f32 v6, v4, v4 :: v_dual_add_nc_u32 v3, v1, v7
	v_fmac_f32_e32 v6, v5, v5
	s_delay_alu instid0(VALU_DEP_2)
	v_cmpx_gt_u32_e64 s8, v3
	s_cbranch_execz .LBB58_4
; %bb.6:                                ;   in Loop: Header=BB58_5 Depth=1
	v_mov_b32_e32 v4, v2
	s_mov_b32 s23, -1
	s_mov_b32 s22, exec_lo
	s_delay_alu instid0(VALU_DEP_1) | instskip(NEXT) | instid1(VALU_DEP_1)
	v_lshlrev_b64 v[4:5], 3, v[3:4]
	v_add_co_u32 v11, vcc_lo, s28, v4
	s_delay_alu instid0(VALU_DEP_2)
	v_add_co_ci_u32_e32 v12, vcc_lo, s29, v5, vcc_lo
	v_add_co_u32 v4, vcc_lo, s30, v4
	v_add_co_ci_u32_e32 v5, vcc_lo, s31, v5, vcc_lo
	global_load_b64 v[11:12], v[11:12], off
	global_load_b64 v[4:5], v[4:5], off
	s_waitcnt vmcnt(1)
	v_lshrrev_b32_e32 v13, 16, v11
	v_cvt_f32_f16_e32 v11, v11
	s_waitcnt vmcnt(0)
	v_lshrrev_b32_e32 v14, 16, v4
	v_cvt_f32_f16_e32 v4, v4
	v_lshrrev_b32_e32 v15, 16, v12
	v_cvt_f32_f16_e32 v13, v13
	s_delay_alu instid0(VALU_DEP_4) | instskip(NEXT) | instid1(VALU_DEP_4)
	v_cvt_f32_f16_e32 v14, v14
	v_add_f32_e32 v4, v11, v4
	v_cvt_f32_f16_e32 v11, v12
	v_lshrrev_b32_e32 v12, 16, v5
	v_cvt_f32_f16_e32 v5, v5
	s_delay_alu instid0(VALU_DEP_4) | instskip(SKIP_1) | instid1(VALU_DEP_3)
	v_dual_add_f32 v13, v13, v14 :: v_dual_fmac_f32 v6, v4, v4
	v_cvt_f32_f16_e32 v4, v15
	v_add_f32_e32 v5, v11, v5
	v_cvt_f32_f16_e32 v11, v12
	s_delay_alu instid0(VALU_DEP_1) | instskip(NEXT) | instid1(VALU_DEP_1)
	v_dual_fmac_f32 v6, v13, v13 :: v_dual_add_f32 v11, v4, v11
	v_fmac_f32_e32 v6, v5, v5
	v_add_nc_u32_e32 v4, v9, v1
	s_delay_alu instid0(VALU_DEP_2) | instskip(NEXT) | instid1(VALU_DEP_2)
	v_fmac_f32_e32 v6, v11, v11
	v_cmpx_gt_u32_e64 s8, v4
	s_cbranch_execz .LBB58_3
; %bb.7:                                ;   in Loop: Header=BB58_5 Depth=1
	v_mov_b32_e32 v5, v2
	v_add_nc_u32_e32 v1, v8, v1
	s_mov_b32 s24, -1
	s_mov_b32 s23, exec_lo
	s_delay_alu instid0(VALU_DEP_2) | instskip(NEXT) | instid1(VALU_DEP_1)
	v_lshlrev_b64 v[4:5], 3, v[4:5]
	v_add_co_u32 v11, vcc_lo, s28, v4
	s_delay_alu instid0(VALU_DEP_2)
	v_add_co_ci_u32_e32 v12, vcc_lo, s29, v5, vcc_lo
	v_add_co_u32 v4, vcc_lo, s30, v4
	v_add_co_ci_u32_e32 v5, vcc_lo, s31, v5, vcc_lo
	global_load_b64 v[11:12], v[11:12], off
	global_load_b64 v[4:5], v[4:5], off
	s_waitcnt vmcnt(1)
	v_lshrrev_b32_e32 v13, 16, v11
	v_cvt_f32_f16_e32 v11, v11
	s_waitcnt vmcnt(0)
	v_lshrrev_b32_e32 v14, 16, v4
	v_cvt_f32_f16_e32 v4, v4
	v_lshrrev_b32_e32 v15, 16, v12
	v_cvt_f32_f16_e32 v13, v13
	s_delay_alu instid0(VALU_DEP_4) | instskip(NEXT) | instid1(VALU_DEP_4)
	v_cvt_f32_f16_e32 v14, v14
	v_add_f32_e32 v4, v11, v4
	v_cvt_f32_f16_e32 v11, v12
	v_lshrrev_b32_e32 v12, 16, v5
	v_cvt_f32_f16_e32 v5, v5
	s_delay_alu instid0(VALU_DEP_4) | instskip(SKIP_1) | instid1(VALU_DEP_3)
	v_dual_add_f32 v13, v13, v14 :: v_dual_fmac_f32 v6, v4, v4
	v_cvt_f32_f16_e32 v4, v15
	v_add_f32_e32 v5, v11, v5
	v_cvt_f32_f16_e32 v11, v12
	s_delay_alu instid0(VALU_DEP_4) | instskip(NEXT) | instid1(VALU_DEP_2)
	v_fmac_f32_e32 v6, v13, v13
	v_add_f32_e32 v4, v4, v11
	s_delay_alu instid0(VALU_DEP_2) | instskip(NEXT) | instid1(VALU_DEP_1)
	v_fmac_f32_e32 v6, v5, v5
	v_fmac_f32_e32 v6, v4, v4
	v_cmpx_gt_u32_e64 s8, v1
	s_xor_b32 s23, exec_lo, s23
	s_cbranch_execz .LBB58_2
; %bb.8:                                ;   in Loop: Header=BB58_5 Depth=1
	v_lshlrev_b64 v[4:5], 3, v[1:2]
	s_delay_alu instid0(VALU_DEP_1) | instskip(NEXT) | instid1(VALU_DEP_2)
	v_add_co_u32 v11, vcc_lo, s28, v4
	v_add_co_ci_u32_e32 v12, vcc_lo, s29, v5, vcc_lo
	v_add_co_u32 v4, vcc_lo, s30, v4
	v_add_co_ci_u32_e32 v5, vcc_lo, s31, v5, vcc_lo
	global_load_b64 v[11:12], v[11:12], off
	global_load_b64 v[4:5], v[4:5], off
	s_waitcnt vmcnt(1)
	v_lshrrev_b32_e32 v1, 16, v11
	v_cvt_f32_f16_e32 v11, v11
	s_waitcnt vmcnt(0)
	v_lshrrev_b32_e32 v13, 16, v4
	v_cvt_f32_f16_e32 v4, v4
	v_lshrrev_b32_e32 v14, 16, v12
	v_cvt_f32_f16_e32 v1, v1
	s_delay_alu instid0(VALU_DEP_4) | instskip(NEXT) | instid1(VALU_DEP_4)
	v_cvt_f32_f16_e32 v13, v13
	v_add_f32_e32 v4, v11, v4
	v_cvt_f32_f16_e32 v11, v12
	v_lshrrev_b32_e32 v12, 16, v5
	v_cvt_f32_f16_e32 v5, v5
	s_delay_alu instid0(VALU_DEP_4) | instskip(SKIP_1) | instid1(VALU_DEP_3)
	v_dual_add_f32 v1, v1, v13 :: v_dual_fmac_f32 v6, v4, v4
	v_cvt_f32_f16_e32 v4, v14
	v_add_f32_e32 v5, v11, v5
	v_cvt_f32_f16_e32 v11, v12
	s_delay_alu instid0(VALU_DEP_4) | instskip(SKIP_1) | instid1(VALU_DEP_2)
	v_fmac_f32_e32 v6, v1, v1
	v_add3_u32 v1, v10, v7, v3
	v_dual_add_f32 v3, v4, v11 :: v_dual_fmac_f32 v6, v5, v5
	s_delay_alu instid0(VALU_DEP_2) | instskip(NEXT) | instid1(VALU_DEP_2)
	v_cmp_le_u32_e32 vcc_lo, s8, v1
	v_fmac_f32_e32 v6, v3, v3
	s_or_not1_b32 s24, vcc_lo, exec_lo
	s_branch .LBB58_2
.LBB58_9:
	s_or_b32 exec_lo, exec_lo, s3
.LBB58_10:
	s_delay_alu instid0(SALU_CYCLE_1) | instskip(SKIP_3) | instid1(VALU_DEP_2)
	s_or_b32 exec_lo, exec_lo, s9
	v_mbcnt_lo_u32_b32 v1, -1, 0
	s_load_b32 s3, s[20:21], 0xc
	v_and_b32_e32 v7, 0x3e0, v0
	v_cmp_ne_u32_e32 vcc_lo, 31, v1
	v_add_nc_u32_e32 v3, 1, v1
	v_add_co_ci_u32_e32 v2, vcc_lo, 0, v1, vcc_lo
	v_cmp_gt_u32_e32 vcc_lo, 30, v1
	s_delay_alu instid0(VALU_DEP_2)
	v_lshlrev_b32_e32 v2, 2, v2
	v_cndmask_b32_e64 v5, 0, 1, vcc_lo
	ds_bpermute_b32 v4, v2, v6
	s_waitcnt lgkmcnt(0)
	s_and_b32 s33, s3, 0xffff
	v_lshlrev_b32_e32 v5, 1, v5
	v_sub_nc_u32_e64 v12, s33, v7 clamp
	s_mov_b32 s3, exec_lo
	s_delay_alu instid0(VALU_DEP_1) | instskip(SKIP_2) | instid1(VALU_DEP_2)
	v_cmp_lt_u32_e32 vcc_lo, v3, v12
	v_add_f32_e32 v7, v6, v4
	v_add_lshl_u32 v4, v5, v1, 2
	v_cndmask_b32_e32 v7, v6, v7, vcc_lo
	v_cmp_gt_u32_e32 vcc_lo, 28, v1
	v_cndmask_b32_e64 v5, 0, 1, vcc_lo
	s_delay_alu instid0(VALU_DEP_1) | instskip(SKIP_2) | instid1(VALU_DEP_1)
	v_lshlrev_b32_e32 v8, 2, v5
	ds_bpermute_b32 v6, v4, v7
	v_add_nc_u32_e32 v5, 2, v1
	v_cmp_lt_u32_e32 vcc_lo, v5, v12
	s_waitcnt lgkmcnt(0)
	v_add_f32_e32 v9, v7, v6
	v_add_lshl_u32 v6, v8, v1, 2
	s_delay_alu instid0(VALU_DEP_2) | instskip(SKIP_3) | instid1(VALU_DEP_1)
	v_cndmask_b32_e32 v9, v7, v9, vcc_lo
	v_cmp_gt_u32_e32 vcc_lo, 24, v1
	ds_bpermute_b32 v8, v6, v9
	v_cndmask_b32_e64 v7, 0, 1, vcc_lo
	v_lshlrev_b32_e32 v10, 3, v7
	v_add_nc_u32_e32 v7, 4, v1
	s_delay_alu instid0(VALU_DEP_1) | instskip(SKIP_3) | instid1(VALU_DEP_2)
	v_cmp_lt_u32_e32 vcc_lo, v7, v12
	s_waitcnt lgkmcnt(0)
	v_add_f32_e32 v11, v9, v8
	v_add_lshl_u32 v8, v10, v1, 2
	v_cndmask_b32_e32 v11, v9, v11, vcc_lo
	v_cmp_gt_u32_e32 vcc_lo, 16, v1
	ds_bpermute_b32 v10, v8, v11
	v_cndmask_b32_e64 v9, 0, 1, vcc_lo
	s_delay_alu instid0(VALU_DEP_1) | instskip(SKIP_1) | instid1(VALU_DEP_1)
	v_lshlrev_b32_e32 v13, 4, v9
	v_add_nc_u32_e32 v9, 8, v1
	v_cmp_lt_u32_e32 vcc_lo, v9, v12
	s_waitcnt lgkmcnt(0)
	v_add_f32_e32 v14, v11, v10
	v_add_lshl_u32 v10, v13, v1, 2
	s_delay_alu instid0(VALU_DEP_2)
	v_cndmask_b32_e32 v13, v11, v14, vcc_lo
	v_add_nc_u32_e32 v11, 16, v1
	ds_bpermute_b32 v14, v10, v13
	v_cmp_lt_u32_e32 vcc_lo, v11, v12
	s_waitcnt lgkmcnt(0)
	v_add_f32_e32 v14, v13, v14
	s_delay_alu instid0(VALU_DEP_1)
	v_cndmask_b32_e32 v12, v13, v14, vcc_lo
	v_cmpx_eq_u32_e32 0, v1
	s_cbranch_execz .LBB58_12
; %bb.11:
	v_lshrrev_b32_e32 v13, 3, v0
	s_delay_alu instid0(VALU_DEP_1)
	v_and_b32_e32 v13, 0x7c, v13
	ds_store_b32 v13, v12 offset:4096
.LBB58_12:
	s_or_b32 exec_lo, exec_lo, s3
	s_delay_alu instid0(SALU_CYCLE_1)
	s_mov_b32 s3, exec_lo
	s_waitcnt lgkmcnt(0)
	s_barrier
	buffer_gl0_inv
	v_cmpx_gt_u32_e32 32, v0
	s_cbranch_execz .LBB58_14
; %bb.13:
	v_lshlrev_b32_e32 v1, 2, v1
	s_add_i32 s9, s33, 31
	s_delay_alu instid0(SALU_CYCLE_1) | instskip(NEXT) | instid1(SALU_CYCLE_1)
	s_lshr_b32 s9, s9, 5
	v_cmp_gt_u32_e32 vcc_lo, s9, v3
	ds_load_b32 v1, v1 offset:4096
	s_waitcnt lgkmcnt(0)
	ds_bpermute_b32 v2, v2, v1
	s_waitcnt lgkmcnt(0)
	v_add_f32_e32 v2, v1, v2
	s_delay_alu instid0(VALU_DEP_1) | instskip(SKIP_4) | instid1(VALU_DEP_1)
	v_cndmask_b32_e32 v1, v1, v2, vcc_lo
	v_cmp_gt_u32_e32 vcc_lo, s9, v5
	ds_bpermute_b32 v2, v4, v1
	s_waitcnt lgkmcnt(0)
	v_add_f32_e32 v2, v1, v2
	v_cndmask_b32_e32 v1, v1, v2, vcc_lo
	v_cmp_gt_u32_e32 vcc_lo, s9, v7
	ds_bpermute_b32 v2, v6, v1
	s_waitcnt lgkmcnt(0)
	v_add_f32_e32 v2, v1, v2
	s_delay_alu instid0(VALU_DEP_1) | instskip(SKIP_4) | instid1(VALU_DEP_1)
	v_cndmask_b32_e32 v1, v1, v2, vcc_lo
	v_cmp_gt_u32_e32 vcc_lo, s9, v9
	ds_bpermute_b32 v2, v8, v1
	s_waitcnt lgkmcnt(0)
	v_add_f32_e32 v2, v1, v2
	v_cndmask_b32_e32 v1, v1, v2, vcc_lo
	v_cmp_gt_u32_e32 vcc_lo, s9, v11
	ds_bpermute_b32 v2, v10, v1
	s_waitcnt lgkmcnt(0)
	v_add_f32_e32 v2, v1, v2
	s_delay_alu instid0(VALU_DEP_1)
	v_cndmask_b32_e32 v12, v1, v2, vcc_lo
.LBB58_14:
	s_or_b32 exec_lo, exec_lo, s3
	s_delay_alu instid0(SALU_CYCLE_1)
	s_mov_b32 s3, exec_lo
	v_cmpx_eq_u32_e32 0, v0
	s_cbranch_execz .LBB58_16
; %bb.15:
	v_cvt_f32_i32_e32 v1, s18
	s_delay_alu instid0(VALU_DEP_1) | instskip(SKIP_1) | instid1(VALU_DEP_2)
	v_div_scale_f32 v2, null, v1, v1, v12
	v_div_scale_f32 v5, vcc_lo, v12, v1, v12
	v_rcp_f32_e32 v3, v2
	s_waitcnt_depctr 0xfff
	v_fma_f32 v4, -v2, v3, 1.0
	s_delay_alu instid0(VALU_DEP_1) | instskip(NEXT) | instid1(VALU_DEP_1)
	v_fmac_f32_e32 v3, v4, v3
	v_mul_f32_e32 v4, v5, v3
	s_delay_alu instid0(VALU_DEP_1) | instskip(NEXT) | instid1(VALU_DEP_1)
	v_fma_f32 v6, -v2, v4, v5
	v_fmac_f32_e32 v4, v6, v3
	s_delay_alu instid0(VALU_DEP_1) | instskip(NEXT) | instid1(VALU_DEP_1)
	v_fma_f32 v2, -v2, v4, v5
	v_div_fmas_f32 v2, v2, v3, v4
	s_delay_alu instid0(VALU_DEP_1) | instskip(NEXT) | instid1(VALU_DEP_1)
	v_div_fixup_f32 v1, v2, v1, v12
	v_add_f32_e32 v1, s16, v1
	s_delay_alu instid0(VALU_DEP_1) | instskip(SKIP_1) | instid1(VALU_DEP_2)
	v_mul_f32_e32 v2, 0x4b800000, v1
	v_cmp_gt_f32_e32 vcc_lo, 0x800000, v1
	v_cndmask_b32_e32 v1, v1, v2, vcc_lo
	s_delay_alu instid0(VALU_DEP_1) | instskip(SKIP_2) | instid1(VALU_DEP_1)
	v_rsq_f32_e32 v1, v1
	s_waitcnt_depctr 0xfff
	v_mul_f32_e32 v2, 0x45800000, v1
	v_dual_cndmask_b32 v1, v1, v2 :: v_dual_mov_b32 v2, 0
	ds_store_b32 v2, v1 offset:4224
.LBB58_16:
	s_or_b32 exec_lo, exec_lo, s3
	s_ashr_i32 s3, s18, 31
	s_waitcnt lgkmcnt(0)
	s_lshr_b32 s3, s3, 26
	s_barrier
	s_add_i32 s3, s18, s3
	buffer_gl0_inv
	s_ashr_i32 s16, s3, 6
	s_ashr_i32 s3, s3, 31
	s_abs_i32 s9, s16
	s_delay_alu instid0(SALU_CYCLE_1) | instskip(SKIP_1) | instid1(VALU_DEP_1)
	v_cvt_f32_u32_e32 v1, s9
	s_sub_i32 s17, 0, s9
	v_rcp_iflag_f32_e32 v1, v1
	s_waitcnt_depctr 0xfff
	v_mul_f32_e32 v1, 0x4f7ffffe, v1
	s_delay_alu instid0(VALU_DEP_1) | instskip(NEXT) | instid1(VALU_DEP_1)
	v_cvt_u32_f32_e32 v1, v1
	v_readfirstlane_b32 s14, v1
	s_delay_alu instid0(VALU_DEP_1) | instskip(NEXT) | instid1(SALU_CYCLE_1)
	s_mul_i32 s17, s17, s14
	s_mul_hi_u32 s17, s14, s17
	s_delay_alu instid0(SALU_CYCLE_1) | instskip(NEXT) | instid1(SALU_CYCLE_1)
	s_add_i32 s14, s14, s17
	s_mul_hi_u32 s14, s33, s14
	s_delay_alu instid0(SALU_CYCLE_1) | instskip(SKIP_2) | instid1(SALU_CYCLE_1)
	s_mul_i32 s17, s14, s9
	s_add_i32 s20, s14, 1
	s_sub_i32 s17, s33, s17
	s_sub_i32 s21, s17, s9
	s_cmp_ge_u32 s17, s9
	s_cselect_b32 s14, s20, s14
	s_cselect_b32 s17, s21, s17
	s_add_i32 s20, s14, 1
	s_cmp_ge_u32 s17, s9
	s_cselect_b32 s9, s20, s14
	s_delay_alu instid0(SALU_CYCLE_1) | instskip(NEXT) | instid1(SALU_CYCLE_1)
	s_xor_b32 s9, s9, s3
	s_sub_i32 s20, s9, s3
	s_delay_alu instid0(SALU_CYCLE_1) | instskip(SKIP_3) | instid1(VALU_DEP_1)
	s_abs_i32 s3, s20
	s_ashr_i32 s21, s20, 31
	v_cvt_f32_u32_e32 v1, s3
	s_sub_i32 s9, 0, s3
	v_rcp_iflag_f32_e32 v1, v1
	s_waitcnt_depctr 0xfff
	v_mul_f32_e32 v1, 0x4f7ffffe, v1
	s_delay_alu instid0(VALU_DEP_1) | instskip(NEXT) | instid1(VALU_DEP_1)
	v_cvt_u32_f32_e32 v1, v1
	v_mul_lo_u32 v2, s9, v1
	s_ashr_i32 s9, s8, 31
	s_delay_alu instid0(VALU_DEP_1) | instskip(NEXT) | instid1(VALU_DEP_1)
	v_mul_hi_u32 v2, v1, v2
	v_add_nc_u32_e32 v1, v1, v2
	s_delay_alu instid0(VALU_DEP_1) | instskip(NEXT) | instid1(VALU_DEP_1)
	v_mul_hi_u32 v1, v0, v1
	v_mul_lo_u32 v2, v1, s3
	v_add_nc_u32_e32 v3, 1, v1
	s_delay_alu instid0(VALU_DEP_2) | instskip(NEXT) | instid1(VALU_DEP_1)
	v_sub_nc_u32_e32 v2, v0, v2
	v_subrev_nc_u32_e32 v4, s3, v2
	v_cmp_le_u32_e32 vcc_lo, s3, v2
	s_delay_alu instid0(VALU_DEP_2) | instskip(NEXT) | instid1(VALU_DEP_1)
	v_dual_cndmask_b32 v1, v1, v3 :: v_dual_cndmask_b32 v2, v2, v4
	v_dual_mov_b32 v4, 0 :: v_dual_add_nc_u32 v3, 1, v1
	s_delay_alu instid0(VALU_DEP_2) | instskip(SKIP_2) | instid1(VALU_DEP_1)
	v_cmp_le_u32_e32 vcc_lo, s3, v2
	ds_load_b32 v28, v4 offset:4224
	v_cndmask_b32_e32 v1, v1, v3, vcc_lo
	v_xor_b32_e32 v1, s21, v1
	s_delay_alu instid0(VALU_DEP_1) | instskip(NEXT) | instid1(VALU_DEP_1)
	v_subrev_nc_u32_e32 v1, s21, v1
	v_ashrrev_i32_e32 v2, 31, v1
	v_mul_lo_u32 v3, v1, s20
	s_delay_alu instid0(VALU_DEP_2) | instskip(NEXT) | instid1(VALU_DEP_2)
	v_lshlrev_b64 v[7:8], 4, v[1:2]
	v_sub_nc_u32_e32 v3, v0, v3
	s_delay_alu instid0(VALU_DEP_2) | instskip(NEXT) | instid1(VALU_DEP_3)
	v_add_co_u32 v5, vcc_lo, v7, 16
	v_add_co_ci_u32_e32 v6, vcc_lo, 0, v8, vcc_lo
	s_delay_alu instid0(VALU_DEP_1) | instskip(SKIP_4) | instid1(VALU_DEP_3)
	v_cmp_gt_i64_e32 vcc_lo, s[8:9], v[5:6]
	v_cndmask_b32_e32 v6, s9, v6, vcc_lo
	v_cndmask_b32_e32 v5, s8, v5, vcc_lo
	v_add_co_u32 v7, vcc_lo, v7, v3
	v_add_co_ci_u32_e32 v8, vcc_lo, 0, v8, vcc_lo
	v_ashrrev_i32_e32 v10, 31, v5
	v_mov_b32_e32 v9, v5
	s_mov_b32 s9, exec_lo
	s_delay_alu instid0(VALU_DEP_1)
	v_cmpx_lt_i64_e64 v[7:8], v[9:10]
	s_cbranch_execz .LBB58_26
; %bb.17:
	v_lshlrev_b64 v[11:12], 7, v[1:2]
	v_lshlrev_b64 v[13:14], 3, v[3:4]
	v_mov_b32_e32 v4, 0
	s_lshl_b64 s[22:23], s[20:21], 5
	s_mul_hi_i32 s14, s20, 3
	s_mul_i32 s17, s20, 3
	s_lshl_b64 s[24:25], s[20:21], 1
	v_add_co_u32 v21, vcc_lo, v11, v13
	v_add_co_ci_u32_e32 v22, vcc_lo, v12, v14, vcc_lo
	v_dual_mov_b32 v12, v8 :: v_dual_mov_b32 v11, v7
	s_lshl_b64 s[26:27], s[20:21], 3
	s_mov_b32 s34, 0
                                        ; implicit-def: $sgpr35
	s_branch .LBB58_21
.LBB58_18:                              ;   in Loop: Header=BB58_21 Depth=1
	s_or_b32 exec_lo, exec_lo, s38
	s_delay_alu instid0(SALU_CYCLE_1)
	s_or_not1_b32 s3, s3, exec_lo
.LBB58_19:                              ;   in Loop: Header=BB58_21 Depth=1
	s_or_b32 exec_lo, exec_lo, s37
	s_delay_alu instid0(SALU_CYCLE_1) | instskip(SKIP_1) | instid1(SALU_CYCLE_1)
	s_and_not1_b32 s35, s35, exec_lo
	s_and_b32 s3, s3, exec_lo
	s_or_b32 s35, s35, s3
.LBB58_20:                              ;   in Loop: Header=BB58_21 Depth=1
	s_or_b32 exec_lo, exec_lo, s36
	s_delay_alu instid0(SALU_CYCLE_1) | instskip(NEXT) | instid1(SALU_CYCLE_1)
	s_and_b32 s3, exec_lo, s35
	s_or_b32 s34, s3, s34
	s_delay_alu instid0(SALU_CYCLE_1)
	s_and_not1_b32 exec_lo, exec_lo, s34
	s_cbranch_execz .LBB58_25
.LBB58_21:                              ; =>This Inner Loop Header: Depth=1
	v_add_co_u32 v15, vcc_lo, s28, v21
	v_add_co_ci_u32_e32 v16, vcc_lo, s29, v22, vcc_lo
	v_add_co_u32 v19, vcc_lo, s30, v21
	v_add_co_ci_u32_e32 v20, vcc_lo, s31, v22, vcc_lo
	v_add_co_u32 v17, vcc_lo, s10, v21
	global_load_b64 v[13:14], v[15:16], off
	global_load_b64 v[23:24], v[19:20], off
	v_add_co_ci_u32_e32 v18, vcc_lo, s11, v22, vcc_lo
	s_or_b32 s35, s35, exec_lo
	s_mov_b32 s36, exec_lo
	global_load_b64 v[25:26], v[17:18], off
	s_waitcnt vmcnt(2)
	v_lshrrev_b32_e32 v27, 16, v13
	s_waitcnt vmcnt(1)
	v_lshrrev_b32_e32 v30, 16, v23
	v_lshrrev_b32_e32 v29, 16, v14
	v_cvt_f32_f16_e32 v13, v13
	v_lshrrev_b32_e32 v31, 16, v24
	v_cvt_f32_f16_e32 v23, v23
	v_cvt_f32_f16_e32 v27, v27
	;; [unrolled: 1-line block ×6, first 2 shown]
	v_add_f32_e32 v13, v13, v23
	v_cvt_f32_f16_e32 v23, v31
	s_delay_alu instid0(VALU_DEP_4)
	v_dual_add_f32 v27, v27, v30 :: v_dual_add_f32 v14, v14, v24
	s_waitcnt vmcnt(0)
	v_lshrrev_b32_e32 v30, 16, v25
	s_waitcnt lgkmcnt(0)
	v_fma_mixlo_f16 v13, v28, v13, 0
	v_add_f32_e32 v23, v29, v23
	v_fma_mixlo_f16 v24, v28, v27, 0
	v_lshrrev_b32_e32 v27, 16, v26
	v_fma_mixlo_f16 v14, v28, v14, 0
	v_mul_f16_e32 v13, v25, v13
	v_fma_mixlo_f16 v23, v28, v23, 0
	v_mul_f16_e32 v24, v30, v24
	s_delay_alu instid0(VALU_DEP_4) | instskip(NEXT) | instid1(VALU_DEP_4)
	v_mul_f16_e32 v25, v26, v14
	v_cvt_f32_f16_e64 v26, |v13|
	s_delay_alu instid0(VALU_DEP_4) | instskip(NEXT) | instid1(VALU_DEP_4)
	v_mul_f16_e32 v23, v27, v23
	v_cvt_f32_f16_e64 v24, |v24|
	v_add_co_u32 v13, vcc_lo, v11, s20
	v_cvt_f32_f16_e64 v25, |v25|
	s_delay_alu instid0(VALU_DEP_4) | instskip(NEXT) | instid1(VALU_DEP_4)
	v_cvt_f32_f16_e64 v23, |v23|
	v_max3_f32 v4, v4, v26, v24
	v_add_co_ci_u32_e32 v14, vcc_lo, s21, v12, vcc_lo
	s_delay_alu instid0(VALU_DEP_2) | instskip(NEXT) | instid1(VALU_DEP_2)
	v_max3_f32 v4, v4, v25, v23
	v_cmpx_lt_i64_e64 v[13:14], v[9:10]
	s_cbranch_execz .LBB58_20
; %bb.22:                               ;   in Loop: Header=BB58_21 Depth=1
	v_add_co_u32 v15, vcc_lo, v15, s26
	v_add_co_ci_u32_e32 v16, vcc_lo, s27, v16, vcc_lo
	v_add_co_u32 v19, vcc_lo, v19, s26
	v_add_co_ci_u32_e32 v20, vcc_lo, s27, v20, vcc_lo
	v_add_co_u32 v17, vcc_lo, v17, s26
	global_load_b64 v[23:24], v[15:16], off
	global_load_b64 v[25:26], v[19:20], off
	v_add_co_ci_u32_e32 v18, vcc_lo, s27, v18, vcc_lo
	s_mov_b32 s3, -1
	s_mov_b32 s37, exec_lo
	global_load_b64 v[29:30], v[17:18], off
	s_waitcnt vmcnt(2)
	v_lshrrev_b32_e32 v27, 16, v23
	s_waitcnt vmcnt(1)
	v_lshrrev_b32_e32 v32, 16, v25
	v_lshrrev_b32_e32 v31, 16, v24
	v_cvt_f32_f16_e32 v23, v23
	v_lshrrev_b32_e32 v33, 16, v26
	v_cvt_f32_f16_e32 v25, v25
	v_cvt_f32_f16_e32 v27, v27
	;; [unrolled: 1-line block ×6, first 2 shown]
	v_add_f32_e32 v23, v23, v25
	v_cvt_f32_f16_e32 v25, v33
	s_delay_alu instid0(VALU_DEP_4)
	v_dual_add_f32 v27, v27, v32 :: v_dual_add_f32 v24, v24, v26
	s_waitcnt vmcnt(0)
	v_lshrrev_b32_e32 v32, 16, v29
	v_fma_mixlo_f16 v23, v28, v23, 0
	v_add_f32_e32 v25, v31, v25
	v_fma_mixlo_f16 v26, v28, v27, 0
	v_lshrrev_b32_e32 v27, 16, v30
	v_fma_mixlo_f16 v24, v28, v24, 0
	v_mul_f16_e32 v23, v29, v23
	v_fma_mixlo_f16 v25, v28, v25, 0
	v_mul_f16_e32 v26, v32, v26
	s_delay_alu instid0(VALU_DEP_4) | instskip(NEXT) | instid1(VALU_DEP_4)
	v_mul_f16_e32 v29, v30, v24
	v_cvt_f32_f16_e64 v30, |v23|
	s_delay_alu instid0(VALU_DEP_4) | instskip(NEXT) | instid1(VALU_DEP_4)
	v_mul_f16_e32 v25, v27, v25
	v_cvt_f32_f16_e64 v26, |v26|
	v_add_co_u32 v23, vcc_lo, s24, v11
	v_cvt_f32_f16_e64 v27, |v29|
	s_delay_alu instid0(VALU_DEP_4) | instskip(NEXT) | instid1(VALU_DEP_4)
	v_cvt_f32_f16_e64 v25, |v25|
	v_max3_f32 v4, v4, v30, v26
	v_add_co_ci_u32_e32 v24, vcc_lo, s25, v12, vcc_lo
	s_delay_alu instid0(VALU_DEP_2) | instskip(NEXT) | instid1(VALU_DEP_2)
	v_max3_f32 v4, v4, v27, v25
	v_cmpx_lt_i64_e64 v[23:24], v[9:10]
	s_cbranch_execz .LBB58_19
; %bb.23:                               ;   in Loop: Header=BB58_21 Depth=1
	v_add_co_u32 v15, vcc_lo, v15, s26
	v_add_co_ci_u32_e32 v16, vcc_lo, s27, v16, vcc_lo
	v_add_co_u32 v19, vcc_lo, v19, s26
	v_add_co_ci_u32_e32 v20, vcc_lo, s27, v20, vcc_lo
	v_add_co_u32 v17, vcc_lo, v17, s26
	global_load_b64 v[23:24], v[15:16], off
	global_load_b64 v[25:26], v[19:20], off
	v_add_co_ci_u32_e32 v18, vcc_lo, s27, v18, vcc_lo
	v_add_co_u32 v11, vcc_lo, s17, v11
	v_add_co_ci_u32_e32 v12, vcc_lo, s14, v12, vcc_lo
	global_load_b64 v[29:30], v[17:18], off
	v_cmp_lt_i64_e32 vcc_lo, v[11:12], v[9:10]
                                        ; implicit-def: $vgpr11_vgpr12
	s_waitcnt vmcnt(2)
	v_lshrrev_b32_e32 v27, 16, v23
	s_waitcnt vmcnt(1)
	v_lshrrev_b32_e32 v32, 16, v25
	v_lshrrev_b32_e32 v31, 16, v24
	v_cvt_f32_f16_e32 v23, v23
	v_lshrrev_b32_e32 v33, 16, v26
	v_cvt_f32_f16_e32 v25, v25
	v_cvt_f32_f16_e32 v27, v27
	;; [unrolled: 1-line block ×6, first 2 shown]
	v_add_f32_e32 v23, v23, v25
	v_cvt_f32_f16_e32 v25, v33
	s_delay_alu instid0(VALU_DEP_4)
	v_dual_add_f32 v27, v27, v32 :: v_dual_add_f32 v24, v24, v26
	s_waitcnt vmcnt(0)
	v_lshrrev_b32_e32 v32, 16, v29
	v_fma_mixlo_f16 v23, v28, v23, 0
	v_add_f32_e32 v25, v31, v25
	v_fma_mixlo_f16 v26, v28, v27, 0
	v_lshrrev_b32_e32 v27, 16, v30
	v_fma_mixlo_f16 v24, v28, v24, 0
	v_mul_f16_e32 v23, v29, v23
	v_fma_mixlo_f16 v25, v28, v25, 0
	v_mul_f16_e32 v26, v32, v26
	s_delay_alu instid0(VALU_DEP_4) | instskip(NEXT) | instid1(VALU_DEP_4)
	v_mul_f16_e32 v24, v30, v24
	v_cvt_f32_f16_e64 v23, |v23|
	s_delay_alu instid0(VALU_DEP_4) | instskip(NEXT) | instid1(VALU_DEP_4)
	v_mul_f16_e32 v25, v27, v25
	v_cvt_f32_f16_e64 v26, |v26|
	s_delay_alu instid0(VALU_DEP_4) | instskip(NEXT) | instid1(VALU_DEP_2)
	v_cvt_f32_f16_e64 v24, |v24|
	v_max3_f32 v4, v4, v23, v26
	s_delay_alu instid0(VALU_DEP_4) | instskip(NEXT) | instid1(VALU_DEP_1)
	v_cvt_f32_f16_e64 v23, |v25|
	v_max3_f32 v4, v4, v24, v23
	s_and_saveexec_b32 s38, vcc_lo
	s_delay_alu instid0(SALU_CYCLE_1)
	s_xor_b32 s38, exec_lo, s38
	s_cbranch_execz .LBB58_18
; %bb.24:                               ;   in Loop: Header=BB58_21 Depth=1
	v_add_co_u32 v11, vcc_lo, v15, s26
	v_add_co_ci_u32_e32 v12, vcc_lo, s27, v16, vcc_lo
	v_add_co_u32 v15, vcc_lo, v19, s26
	v_add_co_ci_u32_e32 v16, vcc_lo, s27, v20, vcc_lo
	v_add_co_u32 v17, vcc_lo, v17, s26
	global_load_b64 v[11:12], v[11:12], off
	global_load_b64 v[15:16], v[15:16], off
	v_add_co_ci_u32_e32 v18, vcc_lo, s27, v18, vcc_lo
	s_add_u32 s3, s20, s20
	s_addc_u32 s39, s21, s21
	s_add_u32 s3, s3, s20
	global_load_b64 v[17:18], v[17:18], off
	s_addc_u32 s39, s39, s21
	s_waitcnt vmcnt(2)
	v_lshrrev_b32_e32 v19, 16, v11
	s_waitcnt vmcnt(1)
	v_lshrrev_b32_e32 v23, 16, v15
	v_lshrrev_b32_e32 v20, 16, v12
	v_cvt_f32_f16_e32 v11, v11
	v_lshrrev_b32_e32 v24, 16, v16
	v_cvt_f32_f16_e32 v15, v15
	v_cvt_f32_f16_e32 v19, v19
	;; [unrolled: 1-line block ×6, first 2 shown]
	v_add_f32_e32 v11, v11, v15
	v_cvt_f32_f16_e32 v15, v24
	s_delay_alu instid0(VALU_DEP_4)
	v_dual_add_f32 v19, v19, v23 :: v_dual_add_f32 v12, v12, v16
	s_waitcnt vmcnt(0)
	v_lshrrev_b32_e32 v23, 16, v17
	v_fma_mixlo_f16 v11, v28, v11, 0
	v_add_f32_e32 v15, v20, v15
	v_fma_mixlo_f16 v16, v28, v19, 0
	v_lshrrev_b32_e32 v19, 16, v18
	v_fma_mixlo_f16 v12, v28, v12, 0
	v_mul_f16_e32 v11, v17, v11
	v_fma_mixlo_f16 v15, v28, v15, 0
	v_mul_f16_e32 v16, v23, v16
	s_delay_alu instid0(VALU_DEP_4) | instskip(NEXT) | instid1(VALU_DEP_4)
	v_mul_f16_e32 v17, v18, v12
	v_cvt_f32_f16_e64 v18, |v11|
	s_delay_alu instid0(VALU_DEP_4) | instskip(NEXT) | instid1(VALU_DEP_4)
	v_mul_f16_e32 v15, v19, v15
	v_cvt_f32_f16_e64 v16, |v16|
	v_add_co_u32 v11, vcc_lo, s3, v13
	v_add_co_ci_u32_e32 v12, vcc_lo, s39, v14, vcc_lo
	v_cvt_f32_f16_e64 v13, |v17|
	v_cvt_f32_f16_e64 v14, |v15|
	v_max3_f32 v4, v4, v18, v16
	s_delay_alu instid0(VALU_DEP_4) | instskip(SKIP_1) | instid1(VALU_DEP_1)
	v_cmp_ge_i64_e32 vcc_lo, v[11:12], v[9:10]
	v_add_co_u32 v21, s3, v21, s22
	v_add_co_ci_u32_e64 v22, s3, s23, v22, s3
	s_delay_alu instid0(VALU_DEP_4)
	v_max3_f32 v4, v4, v13, v14
	s_or_not1_b32 s3, vcc_lo, exec_lo
	s_branch .LBB58_18
.LBB58_25:
	s_or_b32 exec_lo, exec_lo, s34
.LBB58_26:
	s_delay_alu instid0(SALU_CYCLE_1)
	s_or_b32 exec_lo, exec_lo, s9
	s_lshr_b32 s9, s33, 5
	v_lshlrev_b32_e32 v29, 2, v0
	v_cvt_f32_u32_e32 v9, s9
	s_sub_i32 s14, 0, s9
	s_add_i32 s17, s16, s9
	s_delay_alu instid0(SALU_CYCLE_1) | instskip(NEXT) | instid1(VALU_DEP_1)
	s_add_i32 s22, s17, -1
	v_rcp_iflag_f32_e32 v9, v9
	s_abs_i32 s23, s22
	s_ashr_i32 s17, s16, 31
	s_ashr_i32 s22, s22, 31
	ds_store_b32 v29, v4
	s_waitcnt lgkmcnt(0)
	s_barrier
	buffer_gl0_inv
	v_mul_f32_e32 v9, 0x4f7ffffe, v9
	s_delay_alu instid0(VALU_DEP_1) | instskip(NEXT) | instid1(VALU_DEP_1)
	v_cvt_u32_f32_e32 v9, v9
	v_readfirstlane_b32 s3, v9
	s_delay_alu instid0(VALU_DEP_1) | instskip(NEXT) | instid1(SALU_CYCLE_1)
	s_mul_i32 s14, s14, s3
	s_mul_hi_u32 s14, s3, s14
	s_delay_alu instid0(SALU_CYCLE_1) | instskip(NEXT) | instid1(SALU_CYCLE_1)
	s_add_i32 s3, s3, s14
	s_mul_hi_u32 s3, s23, s3
	s_delay_alu instid0(SALU_CYCLE_1) | instskip(NEXT) | instid1(SALU_CYCLE_1)
	s_mul_i32 s14, s3, s9
	s_sub_i32 s14, s23, s14
	s_add_i32 s23, s3, 1
	s_sub_i32 s24, s14, s9
	s_cmp_ge_u32 s14, s9
	s_cselect_b32 s3, s23, s3
	s_cselect_b32 s14, s24, s14
	s_add_i32 s23, s3, 1
	s_cmp_ge_u32 s14, s9
	s_cselect_b32 s3, s23, s3
	s_delay_alu instid0(SALU_CYCLE_1) | instskip(NEXT) | instid1(SALU_CYCLE_1)
	s_xor_b32 s3, s3, s22
	s_sub_i32 s22, s3, s22
	s_delay_alu instid0(SALU_CYCLE_1) | instskip(NEXT) | instid1(SALU_CYCLE_1)
	s_ashr_i32 s23, s22, 31
	v_cmp_lt_i64_e64 s3, s[22:23], 1
	s_delay_alu instid0(VALU_DEP_1)
	s_and_b32 vcc_lo, exec_lo, s3
	s_cbranch_vccnz .LBB58_46
; %bb.27:
	v_lshrrev_b32_e32 v9, 5, v0
	v_and_b32_e32 v4, 31, v0
	s_mov_b64 s[24:25], 0
	s_mov_b64 s[26:27], src_shared_base
	s_delay_alu instid0(VALU_DEP_2) | instskip(NEXT) | instid1(VALU_DEP_2)
	v_mul_lo_u32 v19, s20, v9
	v_add_co_u32 v11, s3, v4, 16
	s_delay_alu instid0(VALU_DEP_1) | instskip(SKIP_1) | instid1(VALU_DEP_1)
	v_add_co_ci_u32_e64 v12, null, 0, 0, s3
	v_add_co_u32 v13, s3, v4, 8
	v_add_co_ci_u32_e64 v14, null, 0, 0, s3
	v_add_co_u32 v15, s3, v4, 4
	v_dual_mov_b32 v10, 0 :: v_dual_lshlrev_b32 v21, 2, v19
	v_lshlrev_b32_e32 v22, 2, v4
	v_add_co_ci_u32_e64 v16, null, 0, 0, s3
	v_add_co_u32 v17, s3, v4, 2
	s_delay_alu instid0(VALU_DEP_1) | instskip(SKIP_1) | instid1(VALU_DEP_1)
	v_add_co_ci_u32_e64 v18, null, 0, 0, s3
	v_add_co_u32 v19, s3, v4, 1
	v_add_co_ci_u32_e64 v20, null, 0, 0, s3
	v_add3_u32 v30, v21, v22, 0x80
	s_mul_i32 s3, s20, s9
	s_delay_alu instid0(SALU_CYCLE_1)
	s_lshl_b32 s14, s3, 2
	s_branch .LBB58_30
.LBB58_28:                              ;   in Loop: Header=BB58_30 Depth=1
	s_or_b32 exec_lo, exec_lo, s3
	v_mov_b32_e32 v22, s27
	flat_load_b32 v21, v[21:22] glc dlc
	s_waitcnt vmcnt(0)
.LBB58_29:                              ;   in Loop: Header=BB58_30 Depth=1
	s_or_b32 exec_lo, exec_lo, s26
	s_add_u32 s24, s24, 1
	v_add_nc_u32_e32 v30, s14, v30
	s_addc_u32 s25, s25, 0
	s_delay_alu instid0(SALU_CYCLE_1)
	s_cmp_eq_u64 s[24:25], s[22:23]
	s_cbranch_scc1 .LBB58_46
.LBB58_30:                              ; =>This Loop Header: Depth=1
                                        ;     Child Loop BB58_33 Depth 2
	s_waitcnt lgkmcnt(0)
	v_mad_u64_u32 v[21:22], null, s24, s9, v[9:10]
	s_mov_b32 s26, exec_lo
	s_delay_alu instid0(VALU_DEP_1) | instskip(NEXT) | instid1(VALU_DEP_1)
	v_mad_u64_u32 v[23:24], null, s25, s9, v[22:23]
	v_mov_b32_e32 v22, v23
	s_delay_alu instid0(VALU_DEP_1)
	v_cmpx_gt_i64_e64 s[16:17], v[21:22]
	s_cbranch_execz .LBB58_29
; %bb.31:                               ;   in Loop: Header=BB58_30 Depth=1
	v_mul_lo_u32 v24, v22, s20
	v_mul_lo_u32 v25, v21, s21
	v_mad_u64_u32 v[22:23], null, v21, s20, 0
	s_delay_alu instid0(VALU_DEP_1) | instskip(NEXT) | instid1(VALU_DEP_2)
	v_add3_u32 v23, v23, v25, v24
	v_add_co_u32 v24, vcc_lo, v22, s20
	v_add_co_u32 v31, s3, v22, v4
	s_delay_alu instid0(VALU_DEP_3) | instskip(SKIP_2) | instid1(VALU_DEP_2)
	v_add_co_ci_u32_e32 v25, vcc_lo, s21, v23, vcc_lo
	v_add_co_ci_u32_e64 v21, s3, 0, v23, s3
	s_mov_b32 s3, exec_lo
	v_cmp_gt_i64_e32 vcc_lo, s[18:19], v[24:25]
	v_cndmask_b32_e32 v25, s19, v25, vcc_lo
	v_cndmask_b32_e32 v24, s18, v24, vcc_lo
	v_add_co_u32 v26, vcc_lo, v31, 32
	v_add_co_ci_u32_e32 v27, vcc_lo, 0, v21, vcc_lo
	v_lshlrev_b32_e32 v21, 2, v31
	s_delay_alu instid0(VALU_DEP_2)
	v_cmpx_lt_i64_e64 v[26:27], v[24:25]
	s_cbranch_execz .LBB58_34
; %bb.32:                               ;   in Loop: Header=BB58_30 Depth=1
	ds_load_b32 v33, v21
	v_mov_b32_e32 v32, v30
	s_mov_b32 s34, 0
.LBB58_33:                              ;   Parent Loop BB58_30 Depth=1
                                        ; =>  This Inner Loop Header: Depth=2
	ds_load_b32 v34, v32
	v_add_co_u32 v26, vcc_lo, v26, 32
	v_add_co_ci_u32_e32 v27, vcc_lo, 0, v27, vcc_lo
	s_waitcnt lgkmcnt(1)
	v_dual_max_f32 v33, v33, v33 :: v_dual_add_nc_u32 v32, 0x80, v32
	s_delay_alu instid0(VALU_DEP_2) | instskip(SKIP_3) | instid1(VALU_DEP_1)
	v_cmp_ge_i64_e32 vcc_lo, v[26:27], v[24:25]
	s_or_b32 s34, vcc_lo, s34
	s_waitcnt lgkmcnt(0)
	v_max_f32_e32 v34, v34, v34
	v_max_f32_e32 v33, v33, v34
	ds_store_b32 v21, v33
	s_and_not1_b32 exec_lo, exec_lo, s34
	s_cbranch_execnz .LBB58_33
.LBB58_34:                              ;   in Loop: Header=BB58_30 Depth=1
	s_or_b32 exec_lo, exec_lo, s3
	v_sub_co_u32 v22, vcc_lo, v24, v22
	v_sub_co_ci_u32_e32 v23, vcc_lo, v25, v23, vcc_lo
	s_mov_b32 s3, exec_lo
	s_delay_alu instid0(VALU_DEP_1) | instskip(SKIP_1) | instid1(VALU_DEP_1)
	v_cmp_gt_i64_e32 vcc_lo, 32, v[22:23]
	v_dual_cndmask_b32 v24, 0, v23 :: v_dual_cndmask_b32 v23, 32, v22
	v_cmpx_lt_i64_e64 v[11:12], v[23:24]
	s_cbranch_execz .LBB58_36
; %bb.35:                               ;   in Loop: Header=BB58_30 Depth=1
	v_dual_mov_b32 v22, s27 :: v_dual_add_nc_u32 v25, 64, v21
	v_mov_b32_e32 v26, s27
	flat_load_b32 v27, v[21:22] glc dlc
	s_waitcnt vmcnt(0)
	flat_load_b32 v25, v[25:26] glc dlc
	s_waitcnt vmcnt(0) lgkmcnt(0)
	v_dual_max_f32 v26, v27, v27 :: v_dual_max_f32 v25, v25, v25
	s_delay_alu instid0(VALU_DEP_1)
	v_max_f32_e32 v25, v26, v25
	flat_store_b32 v[21:22], v25 dlc
	s_waitcnt_vscnt null, 0x0
.LBB58_36:                              ;   in Loop: Header=BB58_30 Depth=1
	s_or_b32 exec_lo, exec_lo, s3
	s_delay_alu instid0(SALU_CYCLE_1)
	s_mov_b32 s3, exec_lo
	v_cmpx_lt_i64_e64 v[13:14], v[23:24]
	s_cbranch_execz .LBB58_38
; %bb.37:                               ;   in Loop: Header=BB58_30 Depth=1
	v_dual_mov_b32 v22, s27 :: v_dual_add_nc_u32 v25, 32, v21
	v_mov_b32_e32 v26, s27
	flat_load_b32 v27, v[21:22] glc dlc
	s_waitcnt vmcnt(0)
	flat_load_b32 v25, v[25:26] glc dlc
	s_waitcnt vmcnt(0) lgkmcnt(0)
	v_dual_max_f32 v26, v27, v27 :: v_dual_max_f32 v25, v25, v25
	s_delay_alu instid0(VALU_DEP_1)
	v_max_f32_e32 v25, v26, v25
	flat_store_b32 v[21:22], v25 dlc
	s_waitcnt_vscnt null, 0x0
.LBB58_38:                              ;   in Loop: Header=BB58_30 Depth=1
	s_or_b32 exec_lo, exec_lo, s3
	s_delay_alu instid0(SALU_CYCLE_1)
	s_mov_b32 s3, exec_lo
	v_cmpx_ge_i64_e64 v[15:16], v[23:24]
	s_xor_b32 s3, exec_lo, s3
; %bb.39:                               ;   in Loop: Header=BB58_30 Depth=1
                                        ; implicit-def: $vgpr21
; %bb.40:                               ;   in Loop: Header=BB58_30 Depth=1
	s_delay_alu instid0(SALU_CYCLE_1)
	s_and_not1_saveexec_b32 s3, s3
	s_cbranch_execz .LBB58_42
; %bb.41:                               ;   in Loop: Header=BB58_30 Depth=1
	v_dual_mov_b32 v22, s27 :: v_dual_add_nc_u32 v25, 16, v21
	v_mov_b32_e32 v26, s27
	flat_load_b32 v27, v[21:22] glc dlc
	s_waitcnt vmcnt(0)
	flat_load_b32 v25, v[25:26] glc dlc
	s_waitcnt vmcnt(0) lgkmcnt(0)
	v_dual_max_f32 v26, v27, v27 :: v_dual_max_f32 v25, v25, v25
	s_delay_alu instid0(VALU_DEP_1)
	v_max_f32_e32 v25, v26, v25
	flat_store_b32 v[21:22], v25 dlc
	s_waitcnt_vscnt null, 0x0
.LBB58_42:                              ;   in Loop: Header=BB58_30 Depth=1
	s_or_b32 exec_lo, exec_lo, s3
	v_lshlrev_b32_e32 v21, 2, v31
	s_mov_b32 s3, exec_lo
	v_cmpx_lt_i64_e64 v[17:18], v[23:24]
	s_cbranch_execz .LBB58_44
; %bb.43:                               ;   in Loop: Header=BB58_30 Depth=1
	s_delay_alu instid0(VALU_DEP_2)
	v_dual_mov_b32 v22, s27 :: v_dual_add_nc_u32 v25, 8, v21
	v_mov_b32_e32 v26, s27
	flat_load_b32 v27, v[21:22] glc dlc
	s_waitcnt vmcnt(0)
	flat_load_b32 v25, v[25:26] glc dlc
	s_waitcnt vmcnt(0) lgkmcnt(0)
	v_dual_max_f32 v26, v27, v27 :: v_dual_max_f32 v25, v25, v25
	s_delay_alu instid0(VALU_DEP_1)
	v_max_f32_e32 v25, v26, v25
	flat_store_b32 v[21:22], v25 dlc
	s_waitcnt_vscnt null, 0x0
.LBB58_44:                              ;   in Loop: Header=BB58_30 Depth=1
	s_or_b32 exec_lo, exec_lo, s3
	s_delay_alu instid0(SALU_CYCLE_1)
	s_mov_b32 s3, exec_lo
	v_cmpx_lt_i64_e64 v[19:20], v[23:24]
	s_cbranch_execz .LBB58_28
; %bb.45:                               ;   in Loop: Header=BB58_30 Depth=1
	v_dual_mov_b32 v22, s27 :: v_dual_add_nc_u32 v23, 4, v21
	v_mov_b32_e32 v24, s27
	flat_load_b32 v25, v[21:22] glc dlc
	s_waitcnt vmcnt(0)
	flat_load_b32 v23, v[23:24] glc dlc
	s_waitcnt vmcnt(0) lgkmcnt(0)
	v_dual_max_f32 v24, v25, v25 :: v_dual_max_f32 v23, v23, v23
	s_delay_alu instid0(VALU_DEP_1)
	v_max_f32_e32 v23, v24, v23
	flat_store_b32 v[21:22], v23 dlc
	s_waitcnt_vscnt null, 0x0
	s_branch .LBB58_28
.LBB58_46:
	v_cmp_lt_i64_e32 vcc_lo, v[7:8], v[5:6]
	v_cmp_eq_u32_e64 s3, 0, v3
	s_mul_i32 s9, s17, s15
	s_mul_hi_u32 s17, s16, s15
	s_mul_i32 s14, s16, s15
	s_waitcnt lgkmcnt(0)
	s_and_b32 s18, s3, vcc_lo
	s_barrier
	buffer_gl0_inv
	s_and_saveexec_b32 s3, s18
	s_cbranch_execz .LBB58_50
; %bb.47:
	s_load_b64 s[0:1], s[0:1], 0x20
	ds_load_b32 v3, v29
	s_waitcnt lgkmcnt(0)
	s_cmp_eq_u64 s[0:1], 0
	s_cbranch_scc1 .LBB58_49
; %bb.48:
	s_load_b32 s0, s[0:1], 0x0
	v_max_f32_e32 v3, v3, v3
	s_waitcnt lgkmcnt(0)
	v_max_f32_e64 v4, s0, s0
	s_delay_alu instid0(VALU_DEP_1)
	v_min_f32_e32 v3, v3, v4
.LBB58_49:
	s_delay_alu instid0(VALU_DEP_1) | instskip(SKIP_2) | instid1(VALU_DEP_2)
	v_div_scale_f32 v4, null, 0x43600000, 0x43600000, v3
	v_div_scale_f32 v7, vcc_lo, v3, 0x43600000, v3
	s_add_i32 s15, s17, s9
	v_rcp_f32_e32 v5, v4
	v_lshlrev_b64 v[1:2], 2, v[1:2]
	s_lshl_b64 s[0:1], s[14:15], 2
	s_delay_alu instid0(SALU_CYCLE_1) | instskip(SKIP_3) | instid1(VALU_DEP_1)
	s_add_u32 s0, s6, s0
	s_addc_u32 s1, s7, s1
	s_waitcnt_depctr 0xfff
	v_fma_f32 v6, -v4, v5, 1.0
	v_fmac_f32_e32 v5, v6, v5
	s_delay_alu instid0(VALU_DEP_1) | instskip(NEXT) | instid1(VALU_DEP_1)
	v_mul_f32_e32 v6, v7, v5
	v_fma_f32 v8, -v4, v6, v7
	s_delay_alu instid0(VALU_DEP_1) | instskip(NEXT) | instid1(VALU_DEP_1)
	v_fmac_f32_e32 v6, v8, v5
	v_fma_f32 v4, -v4, v6, v7
	s_delay_alu instid0(VALU_DEP_1) | instskip(SKIP_2) | instid1(VALU_DEP_3)
	v_div_fmas_f32 v4, v4, v5, v6
	v_add_co_u32 v1, vcc_lo, s0, v1
	v_add_co_ci_u32_e32 v2, vcc_lo, s1, v2, vcc_lo
	v_div_fixup_f32 v3, v4, 0x43600000, v3
	s_delay_alu instid0(VALU_DEP_1)
	v_max_f32_e32 v3, 0x37124925, v3
	global_store_b32 v[1:2], v3, off
.LBB58_50:
	s_or_b32 exec_lo, exec_lo, s3
	s_waitcnt_vscnt null, 0x0
	s_barrier
	buffer_gl0_inv
	s_and_saveexec_b32 s0, s2
	s_cbranch_execz .LBB58_187
; %bb.51:
	s_add_u32 s2, s4, s12
	s_addc_u32 s3, s5, s13
	s_add_i32 s15, s17, s9
	v_mov_b32_e32 v1, 0
	s_lshl_b64 s[0:1], s[14:15], 2
	s_mul_i32 s4, s33, 3
	s_add_u32 s0, s6, s0
	s_addc_u32 s1, s7, s1
	s_lshl_b32 s5, s33, 1
	s_mov_b32 s6, 0
	s_mov_b32 s7, 0x43600000
	s_branch .LBB58_57
.LBB58_52:                              ;   in Loop: Header=BB58_57 Depth=1
	s_or_b32 exec_lo, exec_lo, s16
.LBB58_53:                              ;   in Loop: Header=BB58_57 Depth=1
	s_delay_alu instid0(SALU_CYCLE_1)
	s_or_b32 exec_lo, exec_lo, s14
	v_lshlrev_b64 v[4:5], 2, v[0:1]
	v_lshlrev_b32_e32 v8, 16, v9
	v_lshlrev_b32_e32 v7, 8, v7
	s_add_i32 s14, s33, s33
	v_and_b32_e32 v6, 0xff, v6
	v_add3_u32 v0, s14, s33, v2
	v_perm_b32 v8, v3, v8, 0x4020c0c
	v_and_b32_e32 v7, 0xff00, v7
	v_add_co_u32 v2, vcc_lo, s2, v4
	v_add_co_ci_u32_e32 v3, vcc_lo, s3, v5, vcc_lo
	v_cmp_le_u32_e32 vcc_lo, s8, v0
	s_delay_alu instid0(VALU_DEP_4)
	v_or3_b32 v4, v8, v7, v6
	s_or_not1_b32 s14, vcc_lo, exec_lo
	global_store_b32 v[2:3], v4, off
.LBB58_54:                              ;   in Loop: Header=BB58_57 Depth=1
	s_or_b32 exec_lo, exec_lo, s13
	s_delay_alu instid0(SALU_CYCLE_1)
	s_or_not1_b32 s13, s14, exec_lo
.LBB58_55:                              ;   in Loop: Header=BB58_57 Depth=1
	s_or_b32 exec_lo, exec_lo, s12
	s_delay_alu instid0(SALU_CYCLE_1)
	s_or_not1_b32 s12, s13, exec_lo
.LBB58_56:                              ;   in Loop: Header=BB58_57 Depth=1
	s_or_b32 exec_lo, exec_lo, s9
	s_delay_alu instid0(SALU_CYCLE_1) | instskip(NEXT) | instid1(SALU_CYCLE_1)
	s_and_b32 s9, exec_lo, s12
	s_or_b32 s6, s9, s6
	s_delay_alu instid0(SALU_CYCLE_1)
	s_and_not1_b32 exec_lo, exec_lo, s6
	s_cbranch_execz .LBB58_187
.LBB58_57:                              ; =>This Inner Loop Header: Depth=1
	v_lshlrev_b64 v[2:3], 3, v[0:1]
	s_mov_b32 s9, exec_lo
	s_delay_alu instid0(VALU_DEP_1) | instskip(NEXT) | instid1(VALU_DEP_2)
	v_add_co_u32 v4, vcc_lo, s28, v2
	v_add_co_ci_u32_e32 v5, vcc_lo, s29, v3, vcc_lo
	v_add_co_u32 v12, vcc_lo, s30, v2
	v_add_co_ci_u32_e32 v13, vcc_lo, s31, v3, vcc_lo
	v_add_co_u32 v2, vcc_lo, s10, v2
	global_load_b64 v[5:6], v[4:5], off
	global_load_b64 v[7:8], v[12:13], off
	v_add_co_ci_u32_e32 v3, vcc_lo, s11, v3, vcc_lo
	v_lshrrev_b32_e32 v4, 2, v0
	global_load_b64 v[2:3], v[2:3], off
	s_waitcnt vmcnt(2)
	v_cvt_f32_f16_e32 v9, v5
	s_waitcnt vmcnt(1)
	v_cvt_f32_f16_e32 v10, v7
	v_and_b32_e32 v4, 0xffffffc, v4
	v_lshrrev_b32_e32 v5, 16, v5
	v_lshrrev_b32_e32 v7, 16, v7
	s_delay_alu instid0(VALU_DEP_4) | instskip(SKIP_4) | instid1(VALU_DEP_1)
	v_add_f32_e32 v11, v9, v10
	global_load_b32 v4, v4, s[0:1]
	v_cvt_f32_f16_e32 v5, v5
	v_fma_mixlo_f16 v9, v28, v11, 0
	s_waitcnt vmcnt(1)
	v_mul_f16_e32 v9, v2, v9
	s_delay_alu instid0(VALU_DEP_1) | instskip(SKIP_1) | instid1(VALU_DEP_1)
	v_cvt_f32_f16_e32 v9, v9
	s_waitcnt vmcnt(0)
	v_div_scale_f32 v10, null, v4, v4, v9
	v_div_scale_f32 v16, vcc_lo, v9, v4, v9
	s_delay_alu instid0(VALU_DEP_2) | instskip(SKIP_2) | instid1(VALU_DEP_1)
	v_rcp_f32_e32 v14, v10
	s_waitcnt_depctr 0xfff
	v_fma_f32 v15, -v10, v14, 1.0
	v_fmac_f32_e32 v14, v15, v14
	s_delay_alu instid0(VALU_DEP_1) | instskip(NEXT) | instid1(VALU_DEP_1)
	v_mul_f32_e32 v15, v16, v14
	v_fma_f32 v17, -v10, v15, v16
	s_delay_alu instid0(VALU_DEP_1) | instskip(SKIP_2) | instid1(VALU_DEP_3)
	v_fmac_f32_e32 v15, v17, v14
	v_lshrrev_b32_e32 v17, 16, v6
	v_cvt_f32_f16_e32 v6, v6
	v_fma_f32 v10, -v10, v15, v16
	v_lshrrev_b32_e32 v16, 16, v8
	v_cvt_f32_f16_e32 v8, v8
	s_delay_alu instid0(VALU_DEP_3) | instskip(SKIP_1) | instid1(VALU_DEP_4)
	v_div_fmas_f32 v10, v10, v14, v15
	v_cvt_f32_f16_e32 v14, v17
	v_cvt_f32_f16_e32 v15, v16
	;; [unrolled: 1-line block ×3, first 2 shown]
	v_add_f32_e32 v8, v6, v8
	v_div_fixup_f32 v10, v10, v4, v9
	v_cvt_f16_f32_e32 v6, v11
	v_add_f32_e32 v7, v14, v15
	v_add_f32_e32 v9, v5, v16
	v_cvt_f16_f32_e32 v14, v8
	v_minmax_f32 v10, v10, s7, 0xc3600000
	v_mov_b32_e32 v5, 0x80
	v_cvt_f16_f32_e32 v15, v7
	v_cvt_f16_f32_e32 v16, v9
	s_delay_alu instid0(VALU_DEP_4) | instskip(NEXT) | instid1(VALU_DEP_3)
	v_and_b32_e32 v11, 0x7fffffff, v10
	v_pack_b32_f16 v15, v14, v15
	s_delay_alu instid0(VALU_DEP_3)
	v_pack_b32_f16 v14, v6, v16
	v_mov_b32_e32 v6, 0x80
	global_store_b64 v[12:13], v[14:15], off
	v_cmpx_gt_u32_e32 0x43800000, v11
	s_cbranch_execz .LBB58_63
; %bb.58:                               ;   in Loop: Header=BB58_57 Depth=1
	v_cmp_lt_u32_e32 vcc_lo, 0x3bffffff, v11
	s_mov_b32 s12, 0
                                        ; implicit-def: $vgpr11
	s_and_saveexec_b32 s13, vcc_lo
	s_delay_alu instid0(SALU_CYCLE_1)
	s_xor_b32 s13, exec_lo, s13
	s_cbranch_execnz .LBB58_154
; %bb.59:                               ;   in Loop: Header=BB58_57 Depth=1
	s_or_saveexec_b32 s13, s13
                                        ; implicit-def: $sgpr14
	s_delay_alu instid0(SALU_CYCLE_1)
	s_xor_b32 exec_lo, exec_lo, s13
	s_cbranch_execnz .LBB58_155
.LBB58_60:                              ;   in Loop: Header=BB58_57 Depth=1
	s_or_b32 exec_lo, exec_lo, s13
	v_mov_b32_e32 v6, s14
	s_and_saveexec_b32 s13, s12
.LBB58_61:                              ;   in Loop: Header=BB58_57 Depth=1
	v_lshrrev_b32_e32 v6, 24, v10
	s_delay_alu instid0(VALU_DEP_1)
	v_and_or_b32 v6, 0x80, v6, v11
.LBB58_62:                              ;   in Loop: Header=BB58_57 Depth=1
	s_or_b32 exec_lo, exec_lo, s13
.LBB58_63:                              ;   in Loop: Header=BB58_57 Depth=1
	s_delay_alu instid0(SALU_CYCLE_1) | instskip(SKIP_3) | instid1(VALU_DEP_1)
	s_or_b32 exec_lo, exec_lo, s9
	v_lshrrev_b32_e32 v2, 16, v2
	v_fma_mixlo_f16 v9, v28, v9, 0
	s_mov_b32 s9, exec_lo
	v_mul_f16_e32 v2, v2, v9
	s_delay_alu instid0(VALU_DEP_1) | instskip(NEXT) | instid1(VALU_DEP_1)
	v_cvt_f32_f16_e32 v2, v2
	v_div_scale_f32 v9, null, v4, v4, v2
	s_delay_alu instid0(VALU_DEP_1) | instskip(SKIP_2) | instid1(VALU_DEP_1)
	v_rcp_f32_e32 v10, v9
	s_waitcnt_depctr 0xfff
	v_fma_f32 v11, -v9, v10, 1.0
	v_fmac_f32_e32 v10, v11, v10
	v_div_scale_f32 v11, vcc_lo, v2, v4, v2
	s_delay_alu instid0(VALU_DEP_1) | instskip(NEXT) | instid1(VALU_DEP_1)
	v_mul_f32_e32 v12, v11, v10
	v_fma_f32 v13, -v9, v12, v11
	s_delay_alu instid0(VALU_DEP_1) | instskip(NEXT) | instid1(VALU_DEP_1)
	v_fmac_f32_e32 v12, v13, v10
	v_fma_f32 v9, -v9, v12, v11
	s_delay_alu instid0(VALU_DEP_1) | instskip(NEXT) | instid1(VALU_DEP_1)
	v_div_fmas_f32 v9, v9, v10, v12
	v_div_fixup_f32 v2, v9, v4, v2
	s_delay_alu instid0(VALU_DEP_1) | instskip(NEXT) | instid1(VALU_DEP_1)
	v_minmax_f32 v2, v2, s7, 0xc3600000
	v_and_b32_e32 v9, 0x7fffffff, v2
	s_delay_alu instid0(VALU_DEP_1)
	v_cmpx_gt_u32_e32 0x43800000, v9
	s_cbranch_execz .LBB58_69
; %bb.64:                               ;   in Loop: Header=BB58_57 Depth=1
	v_cmp_lt_u32_e32 vcc_lo, 0x3bffffff, v9
	s_mov_b32 s12, 0
                                        ; implicit-def: $vgpr9
	s_and_saveexec_b32 s13, vcc_lo
	s_delay_alu instid0(SALU_CYCLE_1)
	s_xor_b32 s13, exec_lo, s13
	s_cbranch_execnz .LBB58_156
; %bb.65:                               ;   in Loop: Header=BB58_57 Depth=1
	s_or_saveexec_b32 s13, s13
                                        ; implicit-def: $sgpr14
	s_delay_alu instid0(SALU_CYCLE_1)
	s_xor_b32 exec_lo, exec_lo, s13
	s_cbranch_execnz .LBB58_157
.LBB58_66:                              ;   in Loop: Header=BB58_57 Depth=1
	s_or_b32 exec_lo, exec_lo, s13
	v_mov_b32_e32 v5, s14
	s_and_saveexec_b32 s13, s12
.LBB58_67:                              ;   in Loop: Header=BB58_57 Depth=1
	v_lshrrev_b32_e32 v2, 24, v2
	s_delay_alu instid0(VALU_DEP_1)
	v_and_or_b32 v5, 0x80, v2, v9
.LBB58_68:                              ;   in Loop: Header=BB58_57 Depth=1
	s_or_b32 exec_lo, exec_lo, s13
.LBB58_69:                              ;   in Loop: Header=BB58_57 Depth=1
	s_delay_alu instid0(SALU_CYCLE_1) | instskip(SKIP_2) | instid1(VALU_DEP_1)
	s_or_b32 exec_lo, exec_lo, s9
	v_fma_mixlo_f16 v2, v28, v8, 0
	s_mov_b32 s9, exec_lo
	v_mul_f16_e32 v2, v3, v2
	s_delay_alu instid0(VALU_DEP_1) | instskip(NEXT) | instid1(VALU_DEP_1)
	v_cvt_f32_f16_e32 v2, v2
	v_div_scale_f32 v8, null, v4, v4, v2
	v_div_scale_f32 v11, vcc_lo, v2, v4, v2
	s_delay_alu instid0(VALU_DEP_2) | instskip(SKIP_2) | instid1(VALU_DEP_1)
	v_rcp_f32_e32 v9, v8
	s_waitcnt_depctr 0xfff
	v_fma_f32 v10, -v8, v9, 1.0
	v_fmac_f32_e32 v9, v10, v9
	s_delay_alu instid0(VALU_DEP_1) | instskip(NEXT) | instid1(VALU_DEP_1)
	v_mul_f32_e32 v10, v11, v9
	v_fma_f32 v12, -v8, v10, v11
	s_delay_alu instid0(VALU_DEP_1) | instskip(NEXT) | instid1(VALU_DEP_1)
	v_fmac_f32_e32 v10, v12, v9
	v_fma_f32 v8, -v8, v10, v11
	s_delay_alu instid0(VALU_DEP_1) | instskip(NEXT) | instid1(VALU_DEP_1)
	v_div_fmas_f32 v8, v8, v9, v10
	v_div_fixup_f32 v2, v8, v4, v2
	v_mov_b32_e32 v8, 0x80
	s_delay_alu instid0(VALU_DEP_2) | instskip(SKIP_1) | instid1(VALU_DEP_2)
	v_minmax_f32 v9, v2, s7, 0xc3600000
	v_mov_b32_e32 v2, 0x80
	v_and_b32_e32 v10, 0x7fffffff, v9
	s_delay_alu instid0(VALU_DEP_1)
	v_cmpx_gt_u32_e32 0x43800000, v10
	s_cbranch_execz .LBB58_75
; %bb.70:                               ;   in Loop: Header=BB58_57 Depth=1
	v_cmp_lt_u32_e32 vcc_lo, 0x3bffffff, v10
	s_mov_b32 s12, 0
                                        ; implicit-def: $vgpr10
	s_and_saveexec_b32 s13, vcc_lo
	s_delay_alu instid0(SALU_CYCLE_1)
	s_xor_b32 s13, exec_lo, s13
	s_cbranch_execnz .LBB58_158
; %bb.71:                               ;   in Loop: Header=BB58_57 Depth=1
	s_or_saveexec_b32 s13, s13
                                        ; implicit-def: $sgpr14
	s_delay_alu instid0(SALU_CYCLE_1)
	s_xor_b32 exec_lo, exec_lo, s13
	s_cbranch_execnz .LBB58_159
.LBB58_72:                              ;   in Loop: Header=BB58_57 Depth=1
	s_or_b32 exec_lo, exec_lo, s13
	v_mov_b32_e32 v8, s14
	s_and_saveexec_b32 s13, s12
.LBB58_73:                              ;   in Loop: Header=BB58_57 Depth=1
	v_lshrrev_b32_e32 v8, 24, v9
	s_delay_alu instid0(VALU_DEP_1)
	v_and_or_b32 v8, 0x80, v8, v10
.LBB58_74:                              ;   in Loop: Header=BB58_57 Depth=1
	s_or_b32 exec_lo, exec_lo, s13
.LBB58_75:                              ;   in Loop: Header=BB58_57 Depth=1
	s_delay_alu instid0(SALU_CYCLE_1) | instskip(SKIP_3) | instid1(VALU_DEP_1)
	s_or_b32 exec_lo, exec_lo, s9
	v_lshrrev_b32_e32 v3, 16, v3
	v_fma_mixlo_f16 v7, v28, v7, 0
	s_mov_b32 s9, exec_lo
	v_mul_f16_e32 v3, v3, v7
	s_delay_alu instid0(VALU_DEP_1) | instskip(NEXT) | instid1(VALU_DEP_1)
	v_cvt_f32_f16_e32 v3, v3
	v_div_scale_f32 v7, null, v4, v4, v3
	s_delay_alu instid0(VALU_DEP_1) | instskip(SKIP_2) | instid1(VALU_DEP_1)
	v_rcp_f32_e32 v9, v7
	s_waitcnt_depctr 0xfff
	v_fma_f32 v10, -v7, v9, 1.0
	v_fmac_f32_e32 v9, v10, v9
	v_div_scale_f32 v10, vcc_lo, v3, v4, v3
	s_delay_alu instid0(VALU_DEP_1) | instskip(NEXT) | instid1(VALU_DEP_1)
	v_mul_f32_e32 v11, v10, v9
	v_fma_f32 v12, -v7, v11, v10
	s_delay_alu instid0(VALU_DEP_1) | instskip(NEXT) | instid1(VALU_DEP_1)
	v_fmac_f32_e32 v11, v12, v9
	v_fma_f32 v7, -v7, v11, v10
	s_delay_alu instid0(VALU_DEP_1) | instskip(NEXT) | instid1(VALU_DEP_1)
	v_div_fmas_f32 v7, v7, v9, v11
	v_div_fixup_f32 v3, v7, v4, v3
	s_delay_alu instid0(VALU_DEP_1) | instskip(NEXT) | instid1(VALU_DEP_1)
	v_minmax_f32 v3, v3, s7, 0xc3600000
	v_and_b32_e32 v4, 0x7fffffff, v3
	s_delay_alu instid0(VALU_DEP_1)
	v_cmpx_gt_u32_e32 0x43800000, v4
	s_cbranch_execz .LBB58_81
; %bb.76:                               ;   in Loop: Header=BB58_57 Depth=1
	v_cmp_lt_u32_e32 vcc_lo, 0x3bffffff, v4
	s_mov_b32 s12, 0
                                        ; implicit-def: $vgpr4
	s_and_saveexec_b32 s13, vcc_lo
	s_delay_alu instid0(SALU_CYCLE_1)
	s_xor_b32 s13, exec_lo, s13
	s_cbranch_execnz .LBB58_160
; %bb.77:                               ;   in Loop: Header=BB58_57 Depth=1
	s_or_saveexec_b32 s13, s13
                                        ; implicit-def: $sgpr14
	s_delay_alu instid0(SALU_CYCLE_1)
	s_xor_b32 exec_lo, exec_lo, s13
	s_cbranch_execnz .LBB58_161
.LBB58_78:                              ;   in Loop: Header=BB58_57 Depth=1
	s_or_b32 exec_lo, exec_lo, s13
	v_mov_b32_e32 v2, s14
	s_and_saveexec_b32 s13, s12
.LBB58_79:                              ;   in Loop: Header=BB58_57 Depth=1
	v_lshrrev_b32_e32 v2, 24, v3
	s_delay_alu instid0(VALU_DEP_1)
	v_and_or_b32 v2, 0x80, v2, v4
.LBB58_80:                              ;   in Loop: Header=BB58_57 Depth=1
	s_or_b32 exec_lo, exec_lo, s13
.LBB58_81:                              ;   in Loop: Header=BB58_57 Depth=1
	s_delay_alu instid0(SALU_CYCLE_1)
	s_or_b32 exec_lo, exec_lo, s9
	v_lshlrev_b32_e32 v7, 16, v8
	v_lshlrev_b32_e32 v5, 8, v5
	v_lshlrev_b64 v[3:4], 2, v[0:1]
	v_and_b32_e32 v6, 0xff, v6
	s_mov_b32 s12, -1
	v_perm_b32 v7, v2, v7, 0x4020c0c
	v_and_b32_e32 v5, 0xff00, v5
	v_add_nc_u32_e32 v2, s33, v0
	v_add_co_u32 v3, vcc_lo, s2, v3
	v_add_co_ci_u32_e32 v4, vcc_lo, s3, v4, vcc_lo
	s_delay_alu instid0(VALU_DEP_4)
	v_or3_b32 v5, v7, v5, v6
	s_mov_b32 s9, exec_lo
	global_store_b32 v[3:4], v5, off
	v_cmpx_gt_u32_e64 s8, v2
	s_cbranch_execz .LBB58_56
; %bb.82:                               ;   in Loop: Header=BB58_57 Depth=1
	v_mov_b32_e32 v3, v1
	s_mov_b32 s12, exec_lo
	s_delay_alu instid0(VALU_DEP_1) | instskip(NEXT) | instid1(VALU_DEP_1)
	v_lshlrev_b64 v[4:5], 3, v[2:3]
	v_add_co_u32 v6, vcc_lo, s28, v4
	s_delay_alu instid0(VALU_DEP_2)
	v_add_co_ci_u32_e32 v7, vcc_lo, s29, v5, vcc_lo
	v_add_co_u32 v14, vcc_lo, s30, v4
	v_add_co_ci_u32_e32 v15, vcc_lo, s31, v5, vcc_lo
	v_add_co_u32 v4, vcc_lo, s10, v4
	global_load_b64 v[7:8], v[6:7], off
	global_load_b64 v[9:10], v[14:15], off
	v_add_co_ci_u32_e32 v5, vcc_lo, s11, v5, vcc_lo
	v_lshrrev_b32_e32 v6, 2, v2
	global_load_b64 v[4:5], v[4:5], off
	v_and_b32_e32 v6, 0xffffffc, v6
	global_load_b32 v6, v6, s[0:1]
	s_waitcnt vmcnt(3)
	v_cvt_f32_f16_e32 v11, v7
	s_waitcnt vmcnt(2)
	v_cvt_f32_f16_e32 v12, v9
	v_lshrrev_b32_e32 v7, 16, v7
	v_lshrrev_b32_e32 v9, 16, v9
	s_delay_alu instid0(VALU_DEP_3) | instskip(NEXT) | instid1(VALU_DEP_3)
	v_add_f32_e32 v13, v11, v12
	v_cvt_f32_f16_e32 v7, v7
	s_delay_alu instid0(VALU_DEP_2) | instskip(SKIP_1) | instid1(VALU_DEP_1)
	v_fma_mixlo_f16 v11, v28, v13, 0
	s_waitcnt vmcnt(1)
	v_mul_f16_e32 v11, v4, v11
	s_delay_alu instid0(VALU_DEP_1) | instskip(SKIP_1) | instid1(VALU_DEP_1)
	v_cvt_f32_f16_e32 v11, v11
	s_waitcnt vmcnt(0)
	v_div_scale_f32 v12, null, v6, v6, v11
	v_div_scale_f32 v18, vcc_lo, v11, v6, v11
	s_delay_alu instid0(VALU_DEP_2) | instskip(SKIP_2) | instid1(VALU_DEP_1)
	v_rcp_f32_e32 v16, v12
	s_waitcnt_depctr 0xfff
	v_fma_f32 v17, -v12, v16, 1.0
	v_fmac_f32_e32 v16, v17, v16
	s_delay_alu instid0(VALU_DEP_1) | instskip(NEXT) | instid1(VALU_DEP_1)
	v_mul_f32_e32 v17, v18, v16
	v_fma_f32 v19, -v12, v17, v18
	s_delay_alu instid0(VALU_DEP_1) | instskip(SKIP_2) | instid1(VALU_DEP_3)
	v_fmac_f32_e32 v17, v19, v16
	v_lshrrev_b32_e32 v19, 16, v8
	v_cvt_f32_f16_e32 v8, v8
	v_fma_f32 v12, -v12, v17, v18
	v_lshrrev_b32_e32 v18, 16, v10
	v_cvt_f32_f16_e32 v10, v10
	s_delay_alu instid0(VALU_DEP_3) | instskip(SKIP_1) | instid1(VALU_DEP_4)
	v_div_fmas_f32 v12, v12, v16, v17
	v_cvt_f32_f16_e32 v16, v19
	v_cvt_f32_f16_e32 v17, v18
	;; [unrolled: 1-line block ×3, first 2 shown]
	v_add_f32_e32 v10, v8, v10
	v_div_fixup_f32 v12, v12, v6, v11
	v_cvt_f16_f32_e32 v8, v13
	v_add_f32_e32 v9, v16, v17
	v_add_f32_e32 v11, v7, v18
	v_cvt_f16_f32_e32 v16, v10
	v_minmax_f32 v12, v12, s7, 0xc3600000
	v_mov_b32_e32 v7, 0x80
	v_cvt_f16_f32_e32 v17, v9
	v_cvt_f16_f32_e32 v18, v11
	s_delay_alu instid0(VALU_DEP_4) | instskip(NEXT) | instid1(VALU_DEP_3)
	v_and_b32_e32 v13, 0x7fffffff, v12
	v_pack_b32_f16 v17, v16, v17
	s_delay_alu instid0(VALU_DEP_3)
	v_pack_b32_f16 v16, v8, v18
	v_mov_b32_e32 v8, 0x80
	global_store_b64 v[14:15], v[16:17], off
	v_cmpx_gt_u32_e32 0x43800000, v13
	s_cbranch_execz .LBB58_88
; %bb.83:                               ;   in Loop: Header=BB58_57 Depth=1
	v_cmp_lt_u32_e32 vcc_lo, 0x3bffffff, v13
	s_mov_b32 s13, 0
                                        ; implicit-def: $vgpr13
	s_and_saveexec_b32 s14, vcc_lo
	s_delay_alu instid0(SALU_CYCLE_1)
	s_xor_b32 s14, exec_lo, s14
	s_cbranch_execnz .LBB58_162
; %bb.84:                               ;   in Loop: Header=BB58_57 Depth=1
	s_or_saveexec_b32 s14, s14
                                        ; implicit-def: $sgpr15
	s_delay_alu instid0(SALU_CYCLE_1)
	s_xor_b32 exec_lo, exec_lo, s14
	s_cbranch_execnz .LBB58_163
.LBB58_85:                              ;   in Loop: Header=BB58_57 Depth=1
	s_or_b32 exec_lo, exec_lo, s14
	v_mov_b32_e32 v8, s15
	s_and_saveexec_b32 s14, s13
.LBB58_86:                              ;   in Loop: Header=BB58_57 Depth=1
	v_lshrrev_b32_e32 v8, 24, v12
	s_delay_alu instid0(VALU_DEP_1)
	v_and_or_b32 v8, 0x80, v8, v13
.LBB58_87:                              ;   in Loop: Header=BB58_57 Depth=1
	s_or_b32 exec_lo, exec_lo, s14
.LBB58_88:                              ;   in Loop: Header=BB58_57 Depth=1
	s_delay_alu instid0(SALU_CYCLE_1) | instskip(SKIP_3) | instid1(VALU_DEP_1)
	s_or_b32 exec_lo, exec_lo, s12
	v_lshrrev_b32_e32 v4, 16, v4
	v_fma_mixlo_f16 v11, v28, v11, 0
	s_mov_b32 s12, exec_lo
	v_mul_f16_e32 v4, v4, v11
	s_delay_alu instid0(VALU_DEP_1) | instskip(NEXT) | instid1(VALU_DEP_1)
	v_cvt_f32_f16_e32 v4, v4
	v_div_scale_f32 v11, null, v6, v6, v4
	s_delay_alu instid0(VALU_DEP_1) | instskip(SKIP_2) | instid1(VALU_DEP_1)
	v_rcp_f32_e32 v12, v11
	s_waitcnt_depctr 0xfff
	v_fma_f32 v13, -v11, v12, 1.0
	v_fmac_f32_e32 v12, v13, v12
	v_div_scale_f32 v13, vcc_lo, v4, v6, v4
	s_delay_alu instid0(VALU_DEP_1) | instskip(NEXT) | instid1(VALU_DEP_1)
	v_mul_f32_e32 v14, v13, v12
	v_fma_f32 v15, -v11, v14, v13
	s_delay_alu instid0(VALU_DEP_1) | instskip(NEXT) | instid1(VALU_DEP_1)
	v_fmac_f32_e32 v14, v15, v12
	v_fma_f32 v11, -v11, v14, v13
	s_delay_alu instid0(VALU_DEP_1) | instskip(NEXT) | instid1(VALU_DEP_1)
	v_div_fmas_f32 v11, v11, v12, v14
	v_div_fixup_f32 v4, v11, v6, v4
	s_delay_alu instid0(VALU_DEP_1) | instskip(NEXT) | instid1(VALU_DEP_1)
	v_minmax_f32 v4, v4, s7, 0xc3600000
	v_and_b32_e32 v11, 0x7fffffff, v4
	s_delay_alu instid0(VALU_DEP_1)
	v_cmpx_gt_u32_e32 0x43800000, v11
	s_cbranch_execz .LBB58_94
; %bb.89:                               ;   in Loop: Header=BB58_57 Depth=1
	v_cmp_lt_u32_e32 vcc_lo, 0x3bffffff, v11
	s_mov_b32 s13, 0
                                        ; implicit-def: $vgpr11
	s_and_saveexec_b32 s14, vcc_lo
	s_delay_alu instid0(SALU_CYCLE_1)
	s_xor_b32 s14, exec_lo, s14
	s_cbranch_execnz .LBB58_164
; %bb.90:                               ;   in Loop: Header=BB58_57 Depth=1
	s_or_saveexec_b32 s14, s14
                                        ; implicit-def: $sgpr15
	s_delay_alu instid0(SALU_CYCLE_1)
	s_xor_b32 exec_lo, exec_lo, s14
	s_cbranch_execnz .LBB58_165
.LBB58_91:                              ;   in Loop: Header=BB58_57 Depth=1
	s_or_b32 exec_lo, exec_lo, s14
	v_mov_b32_e32 v7, s15
	s_and_saveexec_b32 s14, s13
.LBB58_92:                              ;   in Loop: Header=BB58_57 Depth=1
	v_lshrrev_b32_e32 v4, 24, v4
	s_delay_alu instid0(VALU_DEP_1)
	v_and_or_b32 v7, 0x80, v4, v11
.LBB58_93:                              ;   in Loop: Header=BB58_57 Depth=1
	s_or_b32 exec_lo, exec_lo, s14
.LBB58_94:                              ;   in Loop: Header=BB58_57 Depth=1
	s_delay_alu instid0(SALU_CYCLE_1) | instskip(SKIP_2) | instid1(VALU_DEP_1)
	s_or_b32 exec_lo, exec_lo, s12
	v_fma_mixlo_f16 v4, v28, v10, 0
	s_mov_b32 s12, exec_lo
	v_mul_f16_e32 v4, v5, v4
	s_delay_alu instid0(VALU_DEP_1) | instskip(NEXT) | instid1(VALU_DEP_1)
	v_cvt_f32_f16_e32 v4, v4
	v_div_scale_f32 v10, null, v6, v6, v4
	v_div_scale_f32 v13, vcc_lo, v4, v6, v4
	s_delay_alu instid0(VALU_DEP_2) | instskip(SKIP_2) | instid1(VALU_DEP_1)
	v_rcp_f32_e32 v11, v10
	s_waitcnt_depctr 0xfff
	v_fma_f32 v12, -v10, v11, 1.0
	v_fmac_f32_e32 v11, v12, v11
	s_delay_alu instid0(VALU_DEP_1) | instskip(NEXT) | instid1(VALU_DEP_1)
	v_mul_f32_e32 v12, v13, v11
	v_fma_f32 v14, -v10, v12, v13
	s_delay_alu instid0(VALU_DEP_1) | instskip(NEXT) | instid1(VALU_DEP_1)
	v_fmac_f32_e32 v12, v14, v11
	v_fma_f32 v10, -v10, v12, v13
	s_delay_alu instid0(VALU_DEP_1) | instskip(NEXT) | instid1(VALU_DEP_1)
	v_div_fmas_f32 v10, v10, v11, v12
	v_div_fixup_f32 v4, v10, v6, v4
	v_mov_b32_e32 v10, 0x80
	s_delay_alu instid0(VALU_DEP_2) | instskip(SKIP_1) | instid1(VALU_DEP_2)
	v_minmax_f32 v11, v4, s7, 0xc3600000
	v_mov_b32_e32 v4, 0x80
	v_and_b32_e32 v12, 0x7fffffff, v11
	s_delay_alu instid0(VALU_DEP_1)
	v_cmpx_gt_u32_e32 0x43800000, v12
	s_cbranch_execz .LBB58_100
; %bb.95:                               ;   in Loop: Header=BB58_57 Depth=1
	v_cmp_lt_u32_e32 vcc_lo, 0x3bffffff, v12
	s_mov_b32 s13, 0
                                        ; implicit-def: $vgpr12
	s_and_saveexec_b32 s14, vcc_lo
	s_delay_alu instid0(SALU_CYCLE_1)
	s_xor_b32 s14, exec_lo, s14
	s_cbranch_execnz .LBB58_166
; %bb.96:                               ;   in Loop: Header=BB58_57 Depth=1
	s_or_saveexec_b32 s14, s14
                                        ; implicit-def: $sgpr15
	s_delay_alu instid0(SALU_CYCLE_1)
	s_xor_b32 exec_lo, exec_lo, s14
	s_cbranch_execnz .LBB58_167
.LBB58_97:                              ;   in Loop: Header=BB58_57 Depth=1
	s_or_b32 exec_lo, exec_lo, s14
	v_mov_b32_e32 v10, s15
	s_and_saveexec_b32 s14, s13
.LBB58_98:                              ;   in Loop: Header=BB58_57 Depth=1
	v_lshrrev_b32_e32 v10, 24, v11
	s_delay_alu instid0(VALU_DEP_1)
	v_and_or_b32 v10, 0x80, v10, v12
.LBB58_99:                              ;   in Loop: Header=BB58_57 Depth=1
	s_or_b32 exec_lo, exec_lo, s14
.LBB58_100:                             ;   in Loop: Header=BB58_57 Depth=1
	s_delay_alu instid0(SALU_CYCLE_1) | instskip(SKIP_3) | instid1(VALU_DEP_1)
	s_or_b32 exec_lo, exec_lo, s12
	v_lshrrev_b32_e32 v5, 16, v5
	v_fma_mixlo_f16 v9, v28, v9, 0
	s_mov_b32 s12, exec_lo
	v_mul_f16_e32 v5, v5, v9
	s_delay_alu instid0(VALU_DEP_1) | instskip(NEXT) | instid1(VALU_DEP_1)
	v_cvt_f32_f16_e32 v5, v5
	v_div_scale_f32 v9, null, v6, v6, v5
	s_delay_alu instid0(VALU_DEP_1) | instskip(SKIP_2) | instid1(VALU_DEP_1)
	v_rcp_f32_e32 v11, v9
	s_waitcnt_depctr 0xfff
	v_fma_f32 v12, -v9, v11, 1.0
	v_fmac_f32_e32 v11, v12, v11
	v_div_scale_f32 v12, vcc_lo, v5, v6, v5
	s_delay_alu instid0(VALU_DEP_1) | instskip(NEXT) | instid1(VALU_DEP_1)
	v_mul_f32_e32 v13, v12, v11
	v_fma_f32 v14, -v9, v13, v12
	s_delay_alu instid0(VALU_DEP_1) | instskip(NEXT) | instid1(VALU_DEP_1)
	v_fmac_f32_e32 v13, v14, v11
	v_fma_f32 v9, -v9, v13, v12
	s_delay_alu instid0(VALU_DEP_1) | instskip(NEXT) | instid1(VALU_DEP_1)
	v_div_fmas_f32 v9, v9, v11, v13
	v_div_fixup_f32 v5, v9, v6, v5
	s_delay_alu instid0(VALU_DEP_1) | instskip(NEXT) | instid1(VALU_DEP_1)
	v_minmax_f32 v5, v5, s7, 0xc3600000
	v_and_b32_e32 v6, 0x7fffffff, v5
	s_delay_alu instid0(VALU_DEP_1)
	v_cmpx_gt_u32_e32 0x43800000, v6
	s_cbranch_execz .LBB58_106
; %bb.101:                              ;   in Loop: Header=BB58_57 Depth=1
	v_cmp_lt_u32_e32 vcc_lo, 0x3bffffff, v6
	s_mov_b32 s13, 0
                                        ; implicit-def: $vgpr6
	s_and_saveexec_b32 s14, vcc_lo
	s_delay_alu instid0(SALU_CYCLE_1)
	s_xor_b32 s14, exec_lo, s14
	s_cbranch_execnz .LBB58_168
; %bb.102:                              ;   in Loop: Header=BB58_57 Depth=1
	s_or_saveexec_b32 s14, s14
                                        ; implicit-def: $sgpr15
	s_delay_alu instid0(SALU_CYCLE_1)
	s_xor_b32 exec_lo, exec_lo, s14
	s_cbranch_execnz .LBB58_169
.LBB58_103:                             ;   in Loop: Header=BB58_57 Depth=1
	s_or_b32 exec_lo, exec_lo, s14
	v_mov_b32_e32 v4, s15
	s_and_saveexec_b32 s14, s13
.LBB58_104:                             ;   in Loop: Header=BB58_57 Depth=1
	v_lshrrev_b32_e32 v4, 24, v5
	s_delay_alu instid0(VALU_DEP_1)
	v_and_or_b32 v4, 0x80, v4, v6
.LBB58_105:                             ;   in Loop: Header=BB58_57 Depth=1
	s_or_b32 exec_lo, exec_lo, s14
.LBB58_106:                             ;   in Loop: Header=BB58_57 Depth=1
	s_delay_alu instid0(SALU_CYCLE_1)
	s_or_b32 exec_lo, exec_lo, s12
	v_lshlrev_b32_e32 v9, 16, v10
	v_lshlrev_b32_e32 v7, 8, v7
	v_lshlrev_b64 v[5:6], 2, v[2:3]
	v_and_b32_e32 v8, 0xff, v8
	v_add_nc_u32_e32 v3, s5, v0
	v_perm_b32 v9, v4, v9, 0x4020c0c
	v_and_b32_e32 v7, 0xff00, v7
	s_mov_b32 s13, -1
	v_add_co_u32 v4, vcc_lo, s2, v5
	v_add_co_ci_u32_e32 v5, vcc_lo, s3, v6, vcc_lo
	s_delay_alu instid0(VALU_DEP_3)
	v_or3_b32 v6, v9, v7, v8
	s_mov_b32 s12, exec_lo
	global_store_b32 v[4:5], v6, off
	v_cmpx_gt_u32_e64 s8, v3
	s_cbranch_execz .LBB58_55
; %bb.107:                              ;   in Loop: Header=BB58_57 Depth=1
	v_mov_b32_e32 v4, v1
	s_mov_b32 s13, exec_lo
	s_delay_alu instid0(VALU_DEP_1) | instskip(NEXT) | instid1(VALU_DEP_1)
	v_lshlrev_b64 v[5:6], 3, v[3:4]
	v_add_co_u32 v7, vcc_lo, s28, v5
	s_delay_alu instid0(VALU_DEP_2)
	v_add_co_ci_u32_e32 v8, vcc_lo, s29, v6, vcc_lo
	v_add_co_u32 v15, vcc_lo, s30, v5
	v_add_co_ci_u32_e32 v16, vcc_lo, s31, v6, vcc_lo
	v_add_co_u32 v5, vcc_lo, s10, v5
	global_load_b64 v[8:9], v[7:8], off
	global_load_b64 v[10:11], v[15:16], off
	v_add_co_ci_u32_e32 v6, vcc_lo, s11, v6, vcc_lo
	v_lshrrev_b32_e32 v7, 2, v3
	global_load_b64 v[5:6], v[5:6], off
	v_and_b32_e32 v7, 0xffffffc, v7
	global_load_b32 v7, v7, s[0:1]
	s_waitcnt vmcnt(3)
	v_cvt_f32_f16_e32 v12, v8
	s_waitcnt vmcnt(2)
	v_cvt_f32_f16_e32 v13, v10
	v_lshrrev_b32_e32 v8, 16, v8
	v_lshrrev_b32_e32 v10, 16, v10
	s_delay_alu instid0(VALU_DEP_3) | instskip(NEXT) | instid1(VALU_DEP_3)
	v_add_f32_e32 v14, v12, v13
	v_cvt_f32_f16_e32 v8, v8
	s_delay_alu instid0(VALU_DEP_2) | instskip(SKIP_1) | instid1(VALU_DEP_1)
	v_fma_mixlo_f16 v12, v28, v14, 0
	s_waitcnt vmcnt(1)
	v_mul_f16_e32 v12, v5, v12
	s_delay_alu instid0(VALU_DEP_1) | instskip(SKIP_1) | instid1(VALU_DEP_1)
	v_cvt_f32_f16_e32 v12, v12
	s_waitcnt vmcnt(0)
	v_div_scale_f32 v13, null, v7, v7, v12
	v_div_scale_f32 v19, vcc_lo, v12, v7, v12
	s_delay_alu instid0(VALU_DEP_2) | instskip(SKIP_2) | instid1(VALU_DEP_1)
	v_rcp_f32_e32 v17, v13
	s_waitcnt_depctr 0xfff
	v_fma_f32 v18, -v13, v17, 1.0
	v_fmac_f32_e32 v17, v18, v17
	s_delay_alu instid0(VALU_DEP_1) | instskip(NEXT) | instid1(VALU_DEP_1)
	v_mul_f32_e32 v18, v19, v17
	v_fma_f32 v20, -v13, v18, v19
	s_delay_alu instid0(VALU_DEP_1) | instskip(SKIP_2) | instid1(VALU_DEP_3)
	v_fmac_f32_e32 v18, v20, v17
	v_lshrrev_b32_e32 v20, 16, v9
	v_cvt_f32_f16_e32 v9, v9
	v_fma_f32 v13, -v13, v18, v19
	v_lshrrev_b32_e32 v19, 16, v11
	v_cvt_f32_f16_e32 v11, v11
	s_delay_alu instid0(VALU_DEP_3) | instskip(SKIP_1) | instid1(VALU_DEP_4)
	v_div_fmas_f32 v13, v13, v17, v18
	v_cvt_f32_f16_e32 v17, v20
	v_cvt_f32_f16_e32 v18, v19
	;; [unrolled: 1-line block ×3, first 2 shown]
	v_add_f32_e32 v11, v9, v11
	v_div_fixup_f32 v13, v13, v7, v12
	v_cvt_f16_f32_e32 v9, v14
	v_add_f32_e32 v10, v17, v18
	v_add_f32_e32 v12, v8, v19
	v_cvt_f16_f32_e32 v17, v11
	v_minmax_f32 v13, v13, s7, 0xc3600000
	v_mov_b32_e32 v8, 0x80
	v_cvt_f16_f32_e32 v18, v10
	v_cvt_f16_f32_e32 v19, v12
	s_delay_alu instid0(VALU_DEP_4) | instskip(NEXT) | instid1(VALU_DEP_3)
	v_and_b32_e32 v14, 0x7fffffff, v13
	v_pack_b32_f16 v18, v17, v18
	s_delay_alu instid0(VALU_DEP_3)
	v_pack_b32_f16 v17, v9, v19
	v_mov_b32_e32 v9, 0x80
	global_store_b64 v[15:16], v[17:18], off
	v_cmpx_gt_u32_e32 0x43800000, v14
	s_cbranch_execz .LBB58_113
; %bb.108:                              ;   in Loop: Header=BB58_57 Depth=1
	v_cmp_lt_u32_e32 vcc_lo, 0x3bffffff, v14
	s_mov_b32 s14, 0
                                        ; implicit-def: $vgpr14
	s_and_saveexec_b32 s15, vcc_lo
	s_delay_alu instid0(SALU_CYCLE_1)
	s_xor_b32 s15, exec_lo, s15
	s_cbranch_execnz .LBB58_170
; %bb.109:                              ;   in Loop: Header=BB58_57 Depth=1
	s_or_saveexec_b32 s15, s15
                                        ; implicit-def: $sgpr16
	s_delay_alu instid0(SALU_CYCLE_1)
	s_xor_b32 exec_lo, exec_lo, s15
	s_cbranch_execnz .LBB58_171
.LBB58_110:                             ;   in Loop: Header=BB58_57 Depth=1
	s_or_b32 exec_lo, exec_lo, s15
	v_mov_b32_e32 v9, s16
	s_and_saveexec_b32 s15, s14
.LBB58_111:                             ;   in Loop: Header=BB58_57 Depth=1
	v_lshrrev_b32_e32 v9, 24, v13
	s_delay_alu instid0(VALU_DEP_1)
	v_and_or_b32 v9, 0x80, v9, v14
.LBB58_112:                             ;   in Loop: Header=BB58_57 Depth=1
	s_or_b32 exec_lo, exec_lo, s15
.LBB58_113:                             ;   in Loop: Header=BB58_57 Depth=1
	s_delay_alu instid0(SALU_CYCLE_1) | instskip(SKIP_3) | instid1(VALU_DEP_1)
	s_or_b32 exec_lo, exec_lo, s13
	v_lshrrev_b32_e32 v5, 16, v5
	v_fma_mixlo_f16 v12, v28, v12, 0
	s_mov_b32 s13, exec_lo
	v_mul_f16_e32 v5, v5, v12
	s_delay_alu instid0(VALU_DEP_1) | instskip(NEXT) | instid1(VALU_DEP_1)
	v_cvt_f32_f16_e32 v5, v5
	v_div_scale_f32 v12, null, v7, v7, v5
	s_delay_alu instid0(VALU_DEP_1) | instskip(SKIP_2) | instid1(VALU_DEP_1)
	v_rcp_f32_e32 v13, v12
	s_waitcnt_depctr 0xfff
	v_fma_f32 v14, -v12, v13, 1.0
	v_fmac_f32_e32 v13, v14, v13
	v_div_scale_f32 v14, vcc_lo, v5, v7, v5
	s_delay_alu instid0(VALU_DEP_1) | instskip(NEXT) | instid1(VALU_DEP_1)
	v_mul_f32_e32 v15, v14, v13
	v_fma_f32 v16, -v12, v15, v14
	s_delay_alu instid0(VALU_DEP_1) | instskip(NEXT) | instid1(VALU_DEP_1)
	v_fmac_f32_e32 v15, v16, v13
	v_fma_f32 v12, -v12, v15, v14
	s_delay_alu instid0(VALU_DEP_1) | instskip(NEXT) | instid1(VALU_DEP_1)
	v_div_fmas_f32 v12, v12, v13, v15
	v_div_fixup_f32 v5, v12, v7, v5
	s_delay_alu instid0(VALU_DEP_1) | instskip(NEXT) | instid1(VALU_DEP_1)
	v_minmax_f32 v5, v5, s7, 0xc3600000
	v_and_b32_e32 v12, 0x7fffffff, v5
	s_delay_alu instid0(VALU_DEP_1)
	v_cmpx_gt_u32_e32 0x43800000, v12
	s_cbranch_execz .LBB58_119
; %bb.114:                              ;   in Loop: Header=BB58_57 Depth=1
	v_cmp_lt_u32_e32 vcc_lo, 0x3bffffff, v12
	s_mov_b32 s14, 0
                                        ; implicit-def: $vgpr12
	s_and_saveexec_b32 s15, vcc_lo
	s_delay_alu instid0(SALU_CYCLE_1)
	s_xor_b32 s15, exec_lo, s15
	s_cbranch_execnz .LBB58_172
; %bb.115:                              ;   in Loop: Header=BB58_57 Depth=1
	s_or_saveexec_b32 s15, s15
                                        ; implicit-def: $sgpr16
	s_delay_alu instid0(SALU_CYCLE_1)
	s_xor_b32 exec_lo, exec_lo, s15
	s_cbranch_execnz .LBB58_173
.LBB58_116:                             ;   in Loop: Header=BB58_57 Depth=1
	s_or_b32 exec_lo, exec_lo, s15
	v_mov_b32_e32 v8, s16
	s_and_saveexec_b32 s15, s14
.LBB58_117:                             ;   in Loop: Header=BB58_57 Depth=1
	v_lshrrev_b32_e32 v5, 24, v5
	s_delay_alu instid0(VALU_DEP_1)
	v_and_or_b32 v8, 0x80, v5, v12
.LBB58_118:                             ;   in Loop: Header=BB58_57 Depth=1
	s_or_b32 exec_lo, exec_lo, s15
.LBB58_119:                             ;   in Loop: Header=BB58_57 Depth=1
	s_delay_alu instid0(SALU_CYCLE_1) | instskip(SKIP_2) | instid1(VALU_DEP_1)
	s_or_b32 exec_lo, exec_lo, s13
	v_fma_mixlo_f16 v5, v28, v11, 0
	s_mov_b32 s13, exec_lo
	v_mul_f16_e32 v5, v6, v5
	s_delay_alu instid0(VALU_DEP_1) | instskip(NEXT) | instid1(VALU_DEP_1)
	v_cvt_f32_f16_e32 v5, v5
	v_div_scale_f32 v11, null, v7, v7, v5
	v_div_scale_f32 v14, vcc_lo, v5, v7, v5
	s_delay_alu instid0(VALU_DEP_2) | instskip(SKIP_2) | instid1(VALU_DEP_1)
	v_rcp_f32_e32 v12, v11
	s_waitcnt_depctr 0xfff
	v_fma_f32 v13, -v11, v12, 1.0
	v_fmac_f32_e32 v12, v13, v12
	s_delay_alu instid0(VALU_DEP_1) | instskip(NEXT) | instid1(VALU_DEP_1)
	v_mul_f32_e32 v13, v14, v12
	v_fma_f32 v15, -v11, v13, v14
	s_delay_alu instid0(VALU_DEP_1) | instskip(NEXT) | instid1(VALU_DEP_1)
	v_fmac_f32_e32 v13, v15, v12
	v_fma_f32 v11, -v11, v13, v14
	s_delay_alu instid0(VALU_DEP_1) | instskip(NEXT) | instid1(VALU_DEP_1)
	v_div_fmas_f32 v11, v11, v12, v13
	v_div_fixup_f32 v5, v11, v7, v5
	v_mov_b32_e32 v11, 0x80
	s_delay_alu instid0(VALU_DEP_2) | instskip(SKIP_1) | instid1(VALU_DEP_2)
	v_minmax_f32 v12, v5, s7, 0xc3600000
	v_mov_b32_e32 v5, 0x80
	v_and_b32_e32 v13, 0x7fffffff, v12
	s_delay_alu instid0(VALU_DEP_1)
	v_cmpx_gt_u32_e32 0x43800000, v13
	s_cbranch_execz .LBB58_125
; %bb.120:                              ;   in Loop: Header=BB58_57 Depth=1
	v_cmp_lt_u32_e32 vcc_lo, 0x3bffffff, v13
	s_mov_b32 s14, 0
                                        ; implicit-def: $vgpr13
	s_and_saveexec_b32 s15, vcc_lo
	s_delay_alu instid0(SALU_CYCLE_1)
	s_xor_b32 s15, exec_lo, s15
	s_cbranch_execnz .LBB58_174
; %bb.121:                              ;   in Loop: Header=BB58_57 Depth=1
	s_or_saveexec_b32 s15, s15
                                        ; implicit-def: $sgpr16
	s_delay_alu instid0(SALU_CYCLE_1)
	s_xor_b32 exec_lo, exec_lo, s15
	s_cbranch_execnz .LBB58_175
.LBB58_122:                             ;   in Loop: Header=BB58_57 Depth=1
	s_or_b32 exec_lo, exec_lo, s15
	v_mov_b32_e32 v11, s16
	s_and_saveexec_b32 s15, s14
.LBB58_123:                             ;   in Loop: Header=BB58_57 Depth=1
	v_lshrrev_b32_e32 v11, 24, v12
	s_delay_alu instid0(VALU_DEP_1)
	v_and_or_b32 v11, 0x80, v11, v13
.LBB58_124:                             ;   in Loop: Header=BB58_57 Depth=1
	s_or_b32 exec_lo, exec_lo, s15
.LBB58_125:                             ;   in Loop: Header=BB58_57 Depth=1
	s_delay_alu instid0(SALU_CYCLE_1) | instskip(SKIP_3) | instid1(VALU_DEP_1)
	s_or_b32 exec_lo, exec_lo, s13
	v_lshrrev_b32_e32 v6, 16, v6
	v_fma_mixlo_f16 v10, v28, v10, 0
	s_mov_b32 s13, exec_lo
	v_mul_f16_e32 v6, v6, v10
	s_delay_alu instid0(VALU_DEP_1) | instskip(NEXT) | instid1(VALU_DEP_1)
	v_cvt_f32_f16_e32 v6, v6
	v_div_scale_f32 v10, null, v7, v7, v6
	s_delay_alu instid0(VALU_DEP_1) | instskip(SKIP_2) | instid1(VALU_DEP_1)
	v_rcp_f32_e32 v12, v10
	s_waitcnt_depctr 0xfff
	v_fma_f32 v13, -v10, v12, 1.0
	v_fmac_f32_e32 v12, v13, v12
	v_div_scale_f32 v13, vcc_lo, v6, v7, v6
	s_delay_alu instid0(VALU_DEP_1) | instskip(NEXT) | instid1(VALU_DEP_1)
	v_mul_f32_e32 v14, v13, v12
	v_fma_f32 v15, -v10, v14, v13
	s_delay_alu instid0(VALU_DEP_1) | instskip(NEXT) | instid1(VALU_DEP_1)
	v_fmac_f32_e32 v14, v15, v12
	v_fma_f32 v10, -v10, v14, v13
	s_delay_alu instid0(VALU_DEP_1) | instskip(NEXT) | instid1(VALU_DEP_1)
	v_div_fmas_f32 v10, v10, v12, v14
	v_div_fixup_f32 v6, v10, v7, v6
	s_delay_alu instid0(VALU_DEP_1) | instskip(NEXT) | instid1(VALU_DEP_1)
	v_minmax_f32 v6, v6, s7, 0xc3600000
	v_and_b32_e32 v7, 0x7fffffff, v6
	s_delay_alu instid0(VALU_DEP_1)
	v_cmpx_gt_u32_e32 0x43800000, v7
	s_cbranch_execz .LBB58_131
; %bb.126:                              ;   in Loop: Header=BB58_57 Depth=1
	v_cmp_lt_u32_e32 vcc_lo, 0x3bffffff, v7
	s_mov_b32 s14, 0
                                        ; implicit-def: $vgpr7
	s_and_saveexec_b32 s15, vcc_lo
	s_delay_alu instid0(SALU_CYCLE_1)
	s_xor_b32 s15, exec_lo, s15
	s_cbranch_execnz .LBB58_176
; %bb.127:                              ;   in Loop: Header=BB58_57 Depth=1
	s_or_saveexec_b32 s15, s15
                                        ; implicit-def: $sgpr16
	s_delay_alu instid0(SALU_CYCLE_1)
	s_xor_b32 exec_lo, exec_lo, s15
	s_cbranch_execnz .LBB58_177
.LBB58_128:                             ;   in Loop: Header=BB58_57 Depth=1
	s_or_b32 exec_lo, exec_lo, s15
	v_mov_b32_e32 v5, s16
	s_and_saveexec_b32 s15, s14
.LBB58_129:                             ;   in Loop: Header=BB58_57 Depth=1
	v_lshrrev_b32_e32 v5, 24, v6
	s_delay_alu instid0(VALU_DEP_1)
	v_and_or_b32 v5, 0x80, v5, v7
.LBB58_130:                             ;   in Loop: Header=BB58_57 Depth=1
	s_or_b32 exec_lo, exec_lo, s15
.LBB58_131:                             ;   in Loop: Header=BB58_57 Depth=1
	s_delay_alu instid0(SALU_CYCLE_1)
	s_or_b32 exec_lo, exec_lo, s13
	v_lshlrev_b32_e32 v6, 16, v11
	v_lshlrev_b32_e32 v7, 8, v8
	v_lshlrev_b64 v[3:4], 2, v[3:4]
	v_and_b32_e32 v8, 0xff, v9
	v_add_nc_u32_e32 v0, s4, v0
	v_perm_b32 v5, v5, v6, 0x4020c0c
	v_and_b32_e32 v6, 0xff00, v7
	s_mov_b32 s14, -1
	v_add_co_u32 v3, vcc_lo, s2, v3
	v_add_co_ci_u32_e32 v4, vcc_lo, s3, v4, vcc_lo
	s_delay_alu instid0(VALU_DEP_3)
	v_or3_b32 v5, v5, v6, v8
	s_mov_b32 s13, exec_lo
	global_store_b32 v[3:4], v5, off
	v_cmpx_gt_u32_e64 s8, v0
	s_cbranch_execz .LBB58_54
; %bb.132:                              ;   in Loop: Header=BB58_57 Depth=1
	v_lshlrev_b64 v[3:4], 3, v[0:1]
	s_mov_b32 s14, exec_lo
	s_delay_alu instid0(VALU_DEP_1) | instskip(NEXT) | instid1(VALU_DEP_2)
	v_add_co_u32 v5, vcc_lo, s28, v3
	v_add_co_ci_u32_e32 v6, vcc_lo, s29, v4, vcc_lo
	v_add_co_u32 v13, vcc_lo, s30, v3
	v_add_co_ci_u32_e32 v14, vcc_lo, s31, v4, vcc_lo
	v_add_co_u32 v3, vcc_lo, s10, v3
	global_load_b64 v[6:7], v[5:6], off
	global_load_b64 v[8:9], v[13:14], off
	v_add_co_ci_u32_e32 v4, vcc_lo, s11, v4, vcc_lo
	v_lshrrev_b32_e32 v5, 2, v0
	global_load_b64 v[3:4], v[3:4], off
	s_waitcnt vmcnt(2)
	v_cvt_f32_f16_e32 v10, v6
	s_waitcnt vmcnt(1)
	v_cvt_f32_f16_e32 v11, v8
	v_and_b32_e32 v5, 0xffffffc, v5
	v_lshrrev_b32_e32 v6, 16, v6
	v_lshrrev_b32_e32 v8, 16, v8
	s_delay_alu instid0(VALU_DEP_4) | instskip(SKIP_4) | instid1(VALU_DEP_1)
	v_add_f32_e32 v12, v10, v11
	global_load_b32 v5, v5, s[0:1]
	v_cvt_f32_f16_e32 v6, v6
	v_fma_mixlo_f16 v10, v28, v12, 0
	s_waitcnt vmcnt(1)
	v_mul_f16_e32 v10, v3, v10
	s_delay_alu instid0(VALU_DEP_1) | instskip(SKIP_1) | instid1(VALU_DEP_1)
	v_cvt_f32_f16_e32 v10, v10
	s_waitcnt vmcnt(0)
	v_div_scale_f32 v11, null, v5, v5, v10
	v_div_scale_f32 v17, vcc_lo, v10, v5, v10
	s_delay_alu instid0(VALU_DEP_2) | instskip(SKIP_2) | instid1(VALU_DEP_1)
	v_rcp_f32_e32 v15, v11
	s_waitcnt_depctr 0xfff
	v_fma_f32 v16, -v11, v15, 1.0
	v_fmac_f32_e32 v15, v16, v15
	s_delay_alu instid0(VALU_DEP_1) | instskip(NEXT) | instid1(VALU_DEP_1)
	v_mul_f32_e32 v16, v17, v15
	v_fma_f32 v18, -v11, v16, v17
	s_delay_alu instid0(VALU_DEP_1) | instskip(SKIP_2) | instid1(VALU_DEP_3)
	v_fmac_f32_e32 v16, v18, v15
	v_lshrrev_b32_e32 v18, 16, v7
	v_cvt_f32_f16_e32 v7, v7
	v_fma_f32 v11, -v11, v16, v17
	v_lshrrev_b32_e32 v17, 16, v9
	v_cvt_f32_f16_e32 v9, v9
	s_delay_alu instid0(VALU_DEP_1)
	v_add_f32_e32 v9, v7, v9
	v_mov_b32_e32 v7, 0x80
	v_div_fmas_f32 v11, v11, v15, v16
	v_cvt_f32_f16_e32 v15, v18
	v_cvt_f32_f16_e32 v16, v17
	;; [unrolled: 1-line block ×3, first 2 shown]
	s_delay_alu instid0(VALU_DEP_4) | instskip(NEXT) | instid1(VALU_DEP_3)
	v_div_fixup_f32 v11, v11, v5, v10
	v_add_f32_e32 v8, v15, v16
	s_delay_alu instid0(VALU_DEP_3) | instskip(SKIP_1) | instid1(VALU_DEP_4)
	v_add_f32_e32 v10, v6, v17
	v_cvt_f16_f32_e32 v6, v12
	v_minmax_f32 v11, v11, s7, 0xc3600000
	v_cvt_f16_f32_e32 v15, v9
	v_cvt_f16_f32_e32 v16, v8
	;; [unrolled: 1-line block ×3, first 2 shown]
	s_delay_alu instid0(VALU_DEP_4) | instskip(NEXT) | instid1(VALU_DEP_3)
	v_and_b32_e32 v12, 0x7fffffff, v11
	v_pack_b32_f16 v16, v15, v16
	s_delay_alu instid0(VALU_DEP_3)
	v_pack_b32_f16 v15, v6, v17
	v_mov_b32_e32 v6, 0x80
	global_store_b64 v[13:14], v[15:16], off
	v_cmpx_gt_u32_e32 0x43800000, v12
	s_cbranch_execz .LBB58_138
; %bb.133:                              ;   in Loop: Header=BB58_57 Depth=1
	v_cmp_lt_u32_e32 vcc_lo, 0x3bffffff, v12
	s_mov_b32 s15, 0
                                        ; implicit-def: $vgpr12
	s_and_saveexec_b32 s16, vcc_lo
	s_delay_alu instid0(SALU_CYCLE_1)
	s_xor_b32 s16, exec_lo, s16
	s_cbranch_execnz .LBB58_178
; %bb.134:                              ;   in Loop: Header=BB58_57 Depth=1
	s_or_saveexec_b32 s16, s16
                                        ; implicit-def: $sgpr17
	s_delay_alu instid0(SALU_CYCLE_1)
	s_xor_b32 exec_lo, exec_lo, s16
	s_cbranch_execnz .LBB58_179
.LBB58_135:                             ;   in Loop: Header=BB58_57 Depth=1
	s_or_b32 exec_lo, exec_lo, s16
	v_mov_b32_e32 v6, s17
	s_and_saveexec_b32 s16, s15
.LBB58_136:                             ;   in Loop: Header=BB58_57 Depth=1
	v_lshrrev_b32_e32 v6, 24, v11
	s_delay_alu instid0(VALU_DEP_1)
	v_and_or_b32 v6, 0x80, v6, v12
.LBB58_137:                             ;   in Loop: Header=BB58_57 Depth=1
	s_or_b32 exec_lo, exec_lo, s16
.LBB58_138:                             ;   in Loop: Header=BB58_57 Depth=1
	s_delay_alu instid0(SALU_CYCLE_1) | instskip(SKIP_3) | instid1(VALU_DEP_1)
	s_or_b32 exec_lo, exec_lo, s14
	v_lshrrev_b32_e32 v3, 16, v3
	v_fma_mixlo_f16 v10, v28, v10, 0
	s_mov_b32 s14, exec_lo
	v_mul_f16_e32 v3, v3, v10
	s_delay_alu instid0(VALU_DEP_1) | instskip(NEXT) | instid1(VALU_DEP_1)
	v_cvt_f32_f16_e32 v3, v3
	v_div_scale_f32 v10, null, v5, v5, v3
	s_delay_alu instid0(VALU_DEP_1) | instskip(SKIP_2) | instid1(VALU_DEP_1)
	v_rcp_f32_e32 v11, v10
	s_waitcnt_depctr 0xfff
	v_fma_f32 v12, -v10, v11, 1.0
	v_fmac_f32_e32 v11, v12, v11
	v_div_scale_f32 v12, vcc_lo, v3, v5, v3
	s_delay_alu instid0(VALU_DEP_1) | instskip(NEXT) | instid1(VALU_DEP_1)
	v_mul_f32_e32 v13, v12, v11
	v_fma_f32 v14, -v10, v13, v12
	s_delay_alu instid0(VALU_DEP_1) | instskip(NEXT) | instid1(VALU_DEP_1)
	v_fmac_f32_e32 v13, v14, v11
	v_fma_f32 v10, -v10, v13, v12
	s_delay_alu instid0(VALU_DEP_1) | instskip(NEXT) | instid1(VALU_DEP_1)
	v_div_fmas_f32 v10, v10, v11, v13
	v_div_fixup_f32 v3, v10, v5, v3
	s_delay_alu instid0(VALU_DEP_1) | instskip(NEXT) | instid1(VALU_DEP_1)
	v_minmax_f32 v3, v3, s7, 0xc3600000
	v_and_b32_e32 v10, 0x7fffffff, v3
	s_delay_alu instid0(VALU_DEP_1)
	v_cmpx_gt_u32_e32 0x43800000, v10
	s_cbranch_execz .LBB58_144
; %bb.139:                              ;   in Loop: Header=BB58_57 Depth=1
	v_cmp_lt_u32_e32 vcc_lo, 0x3bffffff, v10
	s_mov_b32 s15, 0
                                        ; implicit-def: $vgpr10
	s_and_saveexec_b32 s16, vcc_lo
	s_delay_alu instid0(SALU_CYCLE_1)
	s_xor_b32 s16, exec_lo, s16
	s_cbranch_execnz .LBB58_180
; %bb.140:                              ;   in Loop: Header=BB58_57 Depth=1
	s_or_saveexec_b32 s16, s16
                                        ; implicit-def: $sgpr17
	s_delay_alu instid0(SALU_CYCLE_1)
	s_xor_b32 exec_lo, exec_lo, s16
	s_cbranch_execnz .LBB58_181
.LBB58_141:                             ;   in Loop: Header=BB58_57 Depth=1
	s_or_b32 exec_lo, exec_lo, s16
	v_mov_b32_e32 v7, s17
	s_and_saveexec_b32 s16, s15
.LBB58_142:                             ;   in Loop: Header=BB58_57 Depth=1
	v_lshrrev_b32_e32 v3, 24, v3
	s_delay_alu instid0(VALU_DEP_1)
	v_and_or_b32 v7, 0x80, v3, v10
.LBB58_143:                             ;   in Loop: Header=BB58_57 Depth=1
	s_or_b32 exec_lo, exec_lo, s16
.LBB58_144:                             ;   in Loop: Header=BB58_57 Depth=1
	s_delay_alu instid0(SALU_CYCLE_1) | instskip(SKIP_2) | instid1(VALU_DEP_1)
	s_or_b32 exec_lo, exec_lo, s14
	v_fma_mixlo_f16 v3, v28, v9, 0
	s_mov_b32 s14, exec_lo
	v_mul_f16_e32 v3, v4, v3
	s_delay_alu instid0(VALU_DEP_1) | instskip(NEXT) | instid1(VALU_DEP_1)
	v_cvt_f32_f16_e32 v3, v3
	v_div_scale_f32 v9, null, v5, v5, v3
	v_div_scale_f32 v12, vcc_lo, v3, v5, v3
	s_delay_alu instid0(VALU_DEP_2) | instskip(SKIP_2) | instid1(VALU_DEP_1)
	v_rcp_f32_e32 v10, v9
	s_waitcnt_depctr 0xfff
	v_fma_f32 v11, -v9, v10, 1.0
	v_fmac_f32_e32 v10, v11, v10
	s_delay_alu instid0(VALU_DEP_1) | instskip(NEXT) | instid1(VALU_DEP_1)
	v_mul_f32_e32 v11, v12, v10
	v_fma_f32 v13, -v9, v11, v12
	s_delay_alu instid0(VALU_DEP_1) | instskip(NEXT) | instid1(VALU_DEP_1)
	v_fmac_f32_e32 v11, v13, v10
	v_fma_f32 v9, -v9, v11, v12
	s_delay_alu instid0(VALU_DEP_1) | instskip(NEXT) | instid1(VALU_DEP_1)
	v_div_fmas_f32 v9, v9, v10, v11
	v_div_fixup_f32 v3, v9, v5, v3
	v_mov_b32_e32 v9, 0x80
	s_delay_alu instid0(VALU_DEP_2) | instskip(SKIP_1) | instid1(VALU_DEP_2)
	v_minmax_f32 v10, v3, s7, 0xc3600000
	v_mov_b32_e32 v3, 0x80
	v_and_b32_e32 v11, 0x7fffffff, v10
	s_delay_alu instid0(VALU_DEP_1)
	v_cmpx_gt_u32_e32 0x43800000, v11
	s_cbranch_execz .LBB58_150
; %bb.145:                              ;   in Loop: Header=BB58_57 Depth=1
	v_cmp_lt_u32_e32 vcc_lo, 0x3bffffff, v11
	s_mov_b32 s15, 0
                                        ; implicit-def: $vgpr11
	s_and_saveexec_b32 s16, vcc_lo
	s_delay_alu instid0(SALU_CYCLE_1)
	s_xor_b32 s16, exec_lo, s16
	s_cbranch_execnz .LBB58_182
; %bb.146:                              ;   in Loop: Header=BB58_57 Depth=1
	s_or_saveexec_b32 s16, s16
                                        ; implicit-def: $sgpr17
	s_delay_alu instid0(SALU_CYCLE_1)
	s_xor_b32 exec_lo, exec_lo, s16
	s_cbranch_execnz .LBB58_183
.LBB58_147:                             ;   in Loop: Header=BB58_57 Depth=1
	s_or_b32 exec_lo, exec_lo, s16
	v_mov_b32_e32 v9, s17
	s_and_saveexec_b32 s16, s15
.LBB58_148:                             ;   in Loop: Header=BB58_57 Depth=1
	v_lshrrev_b32_e32 v9, 24, v10
	s_delay_alu instid0(VALU_DEP_1)
	v_and_or_b32 v9, 0x80, v9, v11
.LBB58_149:                             ;   in Loop: Header=BB58_57 Depth=1
	s_or_b32 exec_lo, exec_lo, s16
.LBB58_150:                             ;   in Loop: Header=BB58_57 Depth=1
	s_delay_alu instid0(SALU_CYCLE_1) | instskip(SKIP_3) | instid1(VALU_DEP_1)
	s_or_b32 exec_lo, exec_lo, s14
	v_lshrrev_b32_e32 v4, 16, v4
	v_fma_mixlo_f16 v8, v28, v8, 0
	s_mov_b32 s14, exec_lo
	v_mul_f16_e32 v4, v4, v8
	s_delay_alu instid0(VALU_DEP_1) | instskip(NEXT) | instid1(VALU_DEP_1)
	v_cvt_f32_f16_e32 v4, v4
	v_div_scale_f32 v8, null, v5, v5, v4
	s_delay_alu instid0(VALU_DEP_1) | instskip(SKIP_2) | instid1(VALU_DEP_1)
	v_rcp_f32_e32 v10, v8
	s_waitcnt_depctr 0xfff
	v_fma_f32 v11, -v8, v10, 1.0
	v_fmac_f32_e32 v10, v11, v10
	v_div_scale_f32 v11, vcc_lo, v4, v5, v4
	s_delay_alu instid0(VALU_DEP_1) | instskip(NEXT) | instid1(VALU_DEP_1)
	v_mul_f32_e32 v12, v11, v10
	v_fma_f32 v13, -v8, v12, v11
	s_delay_alu instid0(VALU_DEP_1) | instskip(NEXT) | instid1(VALU_DEP_1)
	v_fmac_f32_e32 v12, v13, v10
	v_fma_f32 v8, -v8, v12, v11
	s_delay_alu instid0(VALU_DEP_1) | instskip(NEXT) | instid1(VALU_DEP_1)
	v_div_fmas_f32 v8, v8, v10, v12
	v_div_fixup_f32 v4, v8, v5, v4
	s_delay_alu instid0(VALU_DEP_1) | instskip(NEXT) | instid1(VALU_DEP_1)
	v_minmax_f32 v4, v4, s7, 0xc3600000
	v_and_b32_e32 v5, 0x7fffffff, v4
	s_delay_alu instid0(VALU_DEP_1)
	v_cmpx_gt_u32_e32 0x43800000, v5
	s_cbranch_execz .LBB58_53
; %bb.151:                              ;   in Loop: Header=BB58_57 Depth=1
	v_cmp_lt_u32_e32 vcc_lo, 0x3bffffff, v5
	s_mov_b32 s15, 0
                                        ; implicit-def: $vgpr5
	s_and_saveexec_b32 s16, vcc_lo
	s_delay_alu instid0(SALU_CYCLE_1)
	s_xor_b32 s16, exec_lo, s16
	s_cbranch_execnz .LBB58_184
; %bb.152:                              ;   in Loop: Header=BB58_57 Depth=1
	s_or_saveexec_b32 s16, s16
                                        ; implicit-def: $sgpr17
	s_delay_alu instid0(SALU_CYCLE_1)
	s_xor_b32 exec_lo, exec_lo, s16
	s_cbranch_execnz .LBB58_185
.LBB58_153:                             ;   in Loop: Header=BB58_57 Depth=1
	s_or_b32 exec_lo, exec_lo, s16
	v_mov_b32_e32 v3, s17
	s_and_saveexec_b32 s16, s15
	s_cbranch_execz .LBB58_52
	s_branch .LBB58_186
.LBB58_154:                             ;   in Loop: Header=BB58_57 Depth=1
	v_bfe_u32 v6, v10, 20, 1
	s_mov_b32 s12, exec_lo
	s_delay_alu instid0(VALU_DEP_1) | instskip(NEXT) | instid1(VALU_DEP_1)
	v_add3_u32 v6, v10, v6, 0x487ffff
	v_lshrrev_b32_e32 v11, 20, v6
	s_or_saveexec_b32 s13, s13
                                        ; implicit-def: $sgpr14
	s_delay_alu instid0(SALU_CYCLE_1)
	s_xor_b32 exec_lo, exec_lo, s13
	s_cbranch_execz .LBB58_60
.LBB58_155:                             ;   in Loop: Header=BB58_57 Depth=1
	v_add_f32_e64 v6, 0x46000000, |v10|
	s_and_not1_b32 s12, s12, exec_lo
	s_mov_b32 s14, 0
	s_delay_alu instid0(VALU_DEP_1) | instskip(NEXT) | instid1(VALU_DEP_1)
	v_and_b32_e32 v11, 0xff, v6
	v_cmp_ne_u32_e32 vcc_lo, 0, v11
	s_and_b32 s15, vcc_lo, exec_lo
	s_delay_alu instid0(SALU_CYCLE_1)
	s_or_b32 s12, s12, s15
	s_or_b32 exec_lo, exec_lo, s13
	v_mov_b32_e32 v6, s14
	s_and_saveexec_b32 s13, s12
	s_cbranch_execnz .LBB58_61
	s_branch .LBB58_62
.LBB58_156:                             ;   in Loop: Header=BB58_57 Depth=1
	v_bfe_u32 v5, v2, 20, 1
	s_mov_b32 s12, exec_lo
	s_delay_alu instid0(VALU_DEP_1) | instskip(NEXT) | instid1(VALU_DEP_1)
	v_add3_u32 v5, v2, v5, 0x487ffff
	v_lshrrev_b32_e32 v9, 20, v5
	s_or_saveexec_b32 s13, s13
                                        ; implicit-def: $sgpr14
	s_delay_alu instid0(SALU_CYCLE_1)
	s_xor_b32 exec_lo, exec_lo, s13
	s_cbranch_execz .LBB58_66
.LBB58_157:                             ;   in Loop: Header=BB58_57 Depth=1
	v_add_f32_e64 v5, 0x46000000, |v2|
	s_and_not1_b32 s12, s12, exec_lo
	s_mov_b32 s14, 0
	s_delay_alu instid0(VALU_DEP_1) | instskip(NEXT) | instid1(VALU_DEP_1)
	v_and_b32_e32 v9, 0xff, v5
	v_cmp_ne_u32_e32 vcc_lo, 0, v9
	s_and_b32 s15, vcc_lo, exec_lo
	s_delay_alu instid0(SALU_CYCLE_1)
	s_or_b32 s12, s12, s15
	s_or_b32 exec_lo, exec_lo, s13
	v_mov_b32_e32 v5, s14
	s_and_saveexec_b32 s13, s12
	s_cbranch_execnz .LBB58_67
	s_branch .LBB58_68
.LBB58_158:                             ;   in Loop: Header=BB58_57 Depth=1
	v_bfe_u32 v8, v9, 20, 1
	s_mov_b32 s12, exec_lo
	s_delay_alu instid0(VALU_DEP_1) | instskip(NEXT) | instid1(VALU_DEP_1)
	v_add3_u32 v8, v9, v8, 0x487ffff
	v_lshrrev_b32_e32 v10, 20, v8
	s_or_saveexec_b32 s13, s13
                                        ; implicit-def: $sgpr14
	s_delay_alu instid0(SALU_CYCLE_1)
	s_xor_b32 exec_lo, exec_lo, s13
	s_cbranch_execz .LBB58_72
.LBB58_159:                             ;   in Loop: Header=BB58_57 Depth=1
	v_add_f32_e64 v8, 0x46000000, |v9|
	s_and_not1_b32 s12, s12, exec_lo
	s_mov_b32 s14, 0
	s_delay_alu instid0(VALU_DEP_1) | instskip(NEXT) | instid1(VALU_DEP_1)
	v_and_b32_e32 v10, 0xff, v8
	v_cmp_ne_u32_e32 vcc_lo, 0, v10
	s_and_b32 s15, vcc_lo, exec_lo
	s_delay_alu instid0(SALU_CYCLE_1)
	s_or_b32 s12, s12, s15
	s_or_b32 exec_lo, exec_lo, s13
	v_mov_b32_e32 v8, s14
	s_and_saveexec_b32 s13, s12
	s_cbranch_execnz .LBB58_73
	s_branch .LBB58_74
.LBB58_160:                             ;   in Loop: Header=BB58_57 Depth=1
	v_bfe_u32 v2, v3, 20, 1
	s_mov_b32 s12, exec_lo
	s_delay_alu instid0(VALU_DEP_1) | instskip(NEXT) | instid1(VALU_DEP_1)
	v_add3_u32 v2, v3, v2, 0x487ffff
	v_lshrrev_b32_e32 v4, 20, v2
	s_or_saveexec_b32 s13, s13
                                        ; implicit-def: $sgpr14
	s_delay_alu instid0(SALU_CYCLE_1)
	s_xor_b32 exec_lo, exec_lo, s13
	s_cbranch_execz .LBB58_78
.LBB58_161:                             ;   in Loop: Header=BB58_57 Depth=1
	v_add_f32_e64 v2, 0x46000000, |v3|
	s_and_not1_b32 s12, s12, exec_lo
	s_mov_b32 s14, 0
	s_delay_alu instid0(VALU_DEP_1) | instskip(NEXT) | instid1(VALU_DEP_1)
	v_and_b32_e32 v4, 0xff, v2
	v_cmp_ne_u32_e32 vcc_lo, 0, v4
	s_and_b32 s15, vcc_lo, exec_lo
	s_delay_alu instid0(SALU_CYCLE_1)
	s_or_b32 s12, s12, s15
	s_or_b32 exec_lo, exec_lo, s13
	v_mov_b32_e32 v2, s14
	s_and_saveexec_b32 s13, s12
	s_cbranch_execnz .LBB58_79
	s_branch .LBB58_80
.LBB58_162:                             ;   in Loop: Header=BB58_57 Depth=1
	v_bfe_u32 v8, v12, 20, 1
	s_mov_b32 s13, exec_lo
	s_delay_alu instid0(VALU_DEP_1) | instskip(NEXT) | instid1(VALU_DEP_1)
	v_add3_u32 v8, v12, v8, 0x487ffff
	v_lshrrev_b32_e32 v13, 20, v8
	s_or_saveexec_b32 s14, s14
                                        ; implicit-def: $sgpr15
	s_delay_alu instid0(SALU_CYCLE_1)
	s_xor_b32 exec_lo, exec_lo, s14
	s_cbranch_execz .LBB58_85
.LBB58_163:                             ;   in Loop: Header=BB58_57 Depth=1
	v_add_f32_e64 v8, 0x46000000, |v12|
	s_and_not1_b32 s13, s13, exec_lo
	s_mov_b32 s15, 0
	s_delay_alu instid0(VALU_DEP_1) | instskip(NEXT) | instid1(VALU_DEP_1)
	v_and_b32_e32 v13, 0xff, v8
	v_cmp_ne_u32_e32 vcc_lo, 0, v13
	s_and_b32 s16, vcc_lo, exec_lo
	s_delay_alu instid0(SALU_CYCLE_1)
	s_or_b32 s13, s13, s16
	s_or_b32 exec_lo, exec_lo, s14
	v_mov_b32_e32 v8, s15
	s_and_saveexec_b32 s14, s13
	s_cbranch_execnz .LBB58_86
	s_branch .LBB58_87
.LBB58_164:                             ;   in Loop: Header=BB58_57 Depth=1
	v_bfe_u32 v7, v4, 20, 1
	s_mov_b32 s13, exec_lo
	s_delay_alu instid0(VALU_DEP_1) | instskip(NEXT) | instid1(VALU_DEP_1)
	v_add3_u32 v7, v4, v7, 0x487ffff
	v_lshrrev_b32_e32 v11, 20, v7
	s_or_saveexec_b32 s14, s14
                                        ; implicit-def: $sgpr15
	s_delay_alu instid0(SALU_CYCLE_1)
	s_xor_b32 exec_lo, exec_lo, s14
	s_cbranch_execz .LBB58_91
.LBB58_165:                             ;   in Loop: Header=BB58_57 Depth=1
	v_add_f32_e64 v7, 0x46000000, |v4|
	s_and_not1_b32 s13, s13, exec_lo
	s_mov_b32 s15, 0
	s_delay_alu instid0(VALU_DEP_1) | instskip(NEXT) | instid1(VALU_DEP_1)
	v_and_b32_e32 v11, 0xff, v7
	v_cmp_ne_u32_e32 vcc_lo, 0, v11
	s_and_b32 s16, vcc_lo, exec_lo
	s_delay_alu instid0(SALU_CYCLE_1)
	s_or_b32 s13, s13, s16
	s_or_b32 exec_lo, exec_lo, s14
	v_mov_b32_e32 v7, s15
	s_and_saveexec_b32 s14, s13
	s_cbranch_execnz .LBB58_92
	s_branch .LBB58_93
.LBB58_166:                             ;   in Loop: Header=BB58_57 Depth=1
	v_bfe_u32 v10, v11, 20, 1
	s_mov_b32 s13, exec_lo
	s_delay_alu instid0(VALU_DEP_1) | instskip(NEXT) | instid1(VALU_DEP_1)
	v_add3_u32 v10, v11, v10, 0x487ffff
	v_lshrrev_b32_e32 v12, 20, v10
	s_or_saveexec_b32 s14, s14
                                        ; implicit-def: $sgpr15
	s_delay_alu instid0(SALU_CYCLE_1)
	s_xor_b32 exec_lo, exec_lo, s14
	s_cbranch_execz .LBB58_97
.LBB58_167:                             ;   in Loop: Header=BB58_57 Depth=1
	v_add_f32_e64 v10, 0x46000000, |v11|
	s_and_not1_b32 s13, s13, exec_lo
	s_mov_b32 s15, 0
	s_delay_alu instid0(VALU_DEP_1) | instskip(NEXT) | instid1(VALU_DEP_1)
	v_and_b32_e32 v12, 0xff, v10
	v_cmp_ne_u32_e32 vcc_lo, 0, v12
	s_and_b32 s16, vcc_lo, exec_lo
	s_delay_alu instid0(SALU_CYCLE_1)
	s_or_b32 s13, s13, s16
	s_or_b32 exec_lo, exec_lo, s14
	v_mov_b32_e32 v10, s15
	s_and_saveexec_b32 s14, s13
	s_cbranch_execnz .LBB58_98
	s_branch .LBB58_99
.LBB58_168:                             ;   in Loop: Header=BB58_57 Depth=1
	v_bfe_u32 v4, v5, 20, 1
	s_mov_b32 s13, exec_lo
	s_delay_alu instid0(VALU_DEP_1) | instskip(NEXT) | instid1(VALU_DEP_1)
	v_add3_u32 v4, v5, v4, 0x487ffff
	v_lshrrev_b32_e32 v6, 20, v4
	s_or_saveexec_b32 s14, s14
                                        ; implicit-def: $sgpr15
	s_delay_alu instid0(SALU_CYCLE_1)
	s_xor_b32 exec_lo, exec_lo, s14
	s_cbranch_execz .LBB58_103
.LBB58_169:                             ;   in Loop: Header=BB58_57 Depth=1
	v_add_f32_e64 v4, 0x46000000, |v5|
	s_and_not1_b32 s13, s13, exec_lo
	s_mov_b32 s15, 0
	s_delay_alu instid0(VALU_DEP_1) | instskip(NEXT) | instid1(VALU_DEP_1)
	v_and_b32_e32 v6, 0xff, v4
	v_cmp_ne_u32_e32 vcc_lo, 0, v6
	s_and_b32 s16, vcc_lo, exec_lo
	s_delay_alu instid0(SALU_CYCLE_1)
	s_or_b32 s13, s13, s16
	s_or_b32 exec_lo, exec_lo, s14
	v_mov_b32_e32 v4, s15
	s_and_saveexec_b32 s14, s13
	s_cbranch_execnz .LBB58_104
	s_branch .LBB58_105
.LBB58_170:                             ;   in Loop: Header=BB58_57 Depth=1
	v_bfe_u32 v9, v13, 20, 1
	s_mov_b32 s14, exec_lo
	s_delay_alu instid0(VALU_DEP_1) | instskip(NEXT) | instid1(VALU_DEP_1)
	v_add3_u32 v9, v13, v9, 0x487ffff
	v_lshrrev_b32_e32 v14, 20, v9
	s_or_saveexec_b32 s15, s15
                                        ; implicit-def: $sgpr16
	s_delay_alu instid0(SALU_CYCLE_1)
	s_xor_b32 exec_lo, exec_lo, s15
	s_cbranch_execz .LBB58_110
.LBB58_171:                             ;   in Loop: Header=BB58_57 Depth=1
	v_add_f32_e64 v9, 0x46000000, |v13|
	s_and_not1_b32 s14, s14, exec_lo
	s_mov_b32 s16, 0
	s_delay_alu instid0(VALU_DEP_1) | instskip(NEXT) | instid1(VALU_DEP_1)
	v_and_b32_e32 v14, 0xff, v9
	v_cmp_ne_u32_e32 vcc_lo, 0, v14
	s_and_b32 s17, vcc_lo, exec_lo
	s_delay_alu instid0(SALU_CYCLE_1)
	s_or_b32 s14, s14, s17
	s_or_b32 exec_lo, exec_lo, s15
	v_mov_b32_e32 v9, s16
	s_and_saveexec_b32 s15, s14
	s_cbranch_execnz .LBB58_111
	s_branch .LBB58_112
.LBB58_172:                             ;   in Loop: Header=BB58_57 Depth=1
	v_bfe_u32 v8, v5, 20, 1
	s_mov_b32 s14, exec_lo
	s_delay_alu instid0(VALU_DEP_1) | instskip(NEXT) | instid1(VALU_DEP_1)
	v_add3_u32 v8, v5, v8, 0x487ffff
	v_lshrrev_b32_e32 v12, 20, v8
	s_or_saveexec_b32 s15, s15
                                        ; implicit-def: $sgpr16
	s_delay_alu instid0(SALU_CYCLE_1)
	s_xor_b32 exec_lo, exec_lo, s15
	s_cbranch_execz .LBB58_116
.LBB58_173:                             ;   in Loop: Header=BB58_57 Depth=1
	v_add_f32_e64 v8, 0x46000000, |v5|
	s_and_not1_b32 s14, s14, exec_lo
	s_mov_b32 s16, 0
	s_delay_alu instid0(VALU_DEP_1) | instskip(NEXT) | instid1(VALU_DEP_1)
	v_and_b32_e32 v12, 0xff, v8
	v_cmp_ne_u32_e32 vcc_lo, 0, v12
	s_and_b32 s17, vcc_lo, exec_lo
	s_delay_alu instid0(SALU_CYCLE_1)
	s_or_b32 s14, s14, s17
	s_or_b32 exec_lo, exec_lo, s15
	v_mov_b32_e32 v8, s16
	s_and_saveexec_b32 s15, s14
	s_cbranch_execnz .LBB58_117
	s_branch .LBB58_118
.LBB58_174:                             ;   in Loop: Header=BB58_57 Depth=1
	v_bfe_u32 v11, v12, 20, 1
	s_mov_b32 s14, exec_lo
	s_delay_alu instid0(VALU_DEP_1) | instskip(NEXT) | instid1(VALU_DEP_1)
	v_add3_u32 v11, v12, v11, 0x487ffff
	v_lshrrev_b32_e32 v13, 20, v11
	s_or_saveexec_b32 s15, s15
                                        ; implicit-def: $sgpr16
	s_delay_alu instid0(SALU_CYCLE_1)
	s_xor_b32 exec_lo, exec_lo, s15
	s_cbranch_execz .LBB58_122
.LBB58_175:                             ;   in Loop: Header=BB58_57 Depth=1
	v_add_f32_e64 v11, 0x46000000, |v12|
	s_and_not1_b32 s14, s14, exec_lo
	s_mov_b32 s16, 0
	s_delay_alu instid0(VALU_DEP_1) | instskip(NEXT) | instid1(VALU_DEP_1)
	v_and_b32_e32 v13, 0xff, v11
	v_cmp_ne_u32_e32 vcc_lo, 0, v13
	s_and_b32 s17, vcc_lo, exec_lo
	s_delay_alu instid0(SALU_CYCLE_1)
	s_or_b32 s14, s14, s17
	s_or_b32 exec_lo, exec_lo, s15
	v_mov_b32_e32 v11, s16
	s_and_saveexec_b32 s15, s14
	s_cbranch_execnz .LBB58_123
	s_branch .LBB58_124
.LBB58_176:                             ;   in Loop: Header=BB58_57 Depth=1
	v_bfe_u32 v5, v6, 20, 1
	s_mov_b32 s14, exec_lo
	s_delay_alu instid0(VALU_DEP_1) | instskip(NEXT) | instid1(VALU_DEP_1)
	v_add3_u32 v5, v6, v5, 0x487ffff
	v_lshrrev_b32_e32 v7, 20, v5
	s_or_saveexec_b32 s15, s15
                                        ; implicit-def: $sgpr16
	s_delay_alu instid0(SALU_CYCLE_1)
	s_xor_b32 exec_lo, exec_lo, s15
	s_cbranch_execz .LBB58_128
.LBB58_177:                             ;   in Loop: Header=BB58_57 Depth=1
	v_add_f32_e64 v5, 0x46000000, |v6|
	s_and_not1_b32 s14, s14, exec_lo
	s_mov_b32 s16, 0
	s_delay_alu instid0(VALU_DEP_1) | instskip(NEXT) | instid1(VALU_DEP_1)
	v_and_b32_e32 v7, 0xff, v5
	v_cmp_ne_u32_e32 vcc_lo, 0, v7
	s_and_b32 s17, vcc_lo, exec_lo
	s_delay_alu instid0(SALU_CYCLE_1)
	s_or_b32 s14, s14, s17
	s_or_b32 exec_lo, exec_lo, s15
	v_mov_b32_e32 v5, s16
	s_and_saveexec_b32 s15, s14
	s_cbranch_execnz .LBB58_129
	s_branch .LBB58_130
.LBB58_178:                             ;   in Loop: Header=BB58_57 Depth=1
	v_bfe_u32 v6, v11, 20, 1
	s_mov_b32 s15, exec_lo
	s_delay_alu instid0(VALU_DEP_1) | instskip(NEXT) | instid1(VALU_DEP_1)
	v_add3_u32 v6, v11, v6, 0x487ffff
	v_lshrrev_b32_e32 v12, 20, v6
	s_or_saveexec_b32 s16, s16
                                        ; implicit-def: $sgpr17
	s_delay_alu instid0(SALU_CYCLE_1)
	s_xor_b32 exec_lo, exec_lo, s16
	s_cbranch_execz .LBB58_135
.LBB58_179:                             ;   in Loop: Header=BB58_57 Depth=1
	v_add_f32_e64 v6, 0x46000000, |v11|
	s_and_not1_b32 s15, s15, exec_lo
	s_mov_b32 s17, 0
	s_delay_alu instid0(VALU_DEP_1) | instskip(NEXT) | instid1(VALU_DEP_1)
	v_and_b32_e32 v12, 0xff, v6
	v_cmp_ne_u32_e32 vcc_lo, 0, v12
	s_and_b32 s18, vcc_lo, exec_lo
	s_delay_alu instid0(SALU_CYCLE_1)
	s_or_b32 s15, s15, s18
	s_or_b32 exec_lo, exec_lo, s16
	v_mov_b32_e32 v6, s17
	s_and_saveexec_b32 s16, s15
	s_cbranch_execnz .LBB58_136
	s_branch .LBB58_137
.LBB58_180:                             ;   in Loop: Header=BB58_57 Depth=1
	v_bfe_u32 v7, v3, 20, 1
	s_mov_b32 s15, exec_lo
	s_delay_alu instid0(VALU_DEP_1) | instskip(NEXT) | instid1(VALU_DEP_1)
	v_add3_u32 v7, v3, v7, 0x487ffff
	v_lshrrev_b32_e32 v10, 20, v7
	s_or_saveexec_b32 s16, s16
                                        ; implicit-def: $sgpr17
	s_delay_alu instid0(SALU_CYCLE_1)
	s_xor_b32 exec_lo, exec_lo, s16
	s_cbranch_execz .LBB58_141
.LBB58_181:                             ;   in Loop: Header=BB58_57 Depth=1
	v_add_f32_e64 v7, 0x46000000, |v3|
	s_and_not1_b32 s15, s15, exec_lo
	s_mov_b32 s17, 0
	s_delay_alu instid0(VALU_DEP_1) | instskip(NEXT) | instid1(VALU_DEP_1)
	v_and_b32_e32 v10, 0xff, v7
	v_cmp_ne_u32_e32 vcc_lo, 0, v10
	s_and_b32 s18, vcc_lo, exec_lo
	s_delay_alu instid0(SALU_CYCLE_1)
	s_or_b32 s15, s15, s18
	s_or_b32 exec_lo, exec_lo, s16
	v_mov_b32_e32 v7, s17
	s_and_saveexec_b32 s16, s15
	s_cbranch_execnz .LBB58_142
	s_branch .LBB58_143
.LBB58_182:                             ;   in Loop: Header=BB58_57 Depth=1
	v_bfe_u32 v9, v10, 20, 1
	s_mov_b32 s15, exec_lo
	s_delay_alu instid0(VALU_DEP_1) | instskip(NEXT) | instid1(VALU_DEP_1)
	v_add3_u32 v9, v10, v9, 0x487ffff
	v_lshrrev_b32_e32 v11, 20, v9
	s_or_saveexec_b32 s16, s16
                                        ; implicit-def: $sgpr17
	s_delay_alu instid0(SALU_CYCLE_1)
	s_xor_b32 exec_lo, exec_lo, s16
	s_cbranch_execz .LBB58_147
.LBB58_183:                             ;   in Loop: Header=BB58_57 Depth=1
	v_add_f32_e64 v9, 0x46000000, |v10|
	s_and_not1_b32 s15, s15, exec_lo
	s_mov_b32 s17, 0
	s_delay_alu instid0(VALU_DEP_1) | instskip(NEXT) | instid1(VALU_DEP_1)
	v_and_b32_e32 v11, 0xff, v9
	v_cmp_ne_u32_e32 vcc_lo, 0, v11
	s_and_b32 s18, vcc_lo, exec_lo
	s_delay_alu instid0(SALU_CYCLE_1)
	s_or_b32 s15, s15, s18
	s_or_b32 exec_lo, exec_lo, s16
	v_mov_b32_e32 v9, s17
	s_and_saveexec_b32 s16, s15
	s_cbranch_execnz .LBB58_148
	s_branch .LBB58_149
.LBB58_184:                             ;   in Loop: Header=BB58_57 Depth=1
	v_bfe_u32 v3, v4, 20, 1
	s_mov_b32 s15, exec_lo
	s_delay_alu instid0(VALU_DEP_1) | instskip(NEXT) | instid1(VALU_DEP_1)
	v_add3_u32 v3, v4, v3, 0x487ffff
	v_lshrrev_b32_e32 v5, 20, v3
	s_or_saveexec_b32 s16, s16
                                        ; implicit-def: $sgpr17
	s_delay_alu instid0(SALU_CYCLE_1)
	s_xor_b32 exec_lo, exec_lo, s16
	s_cbranch_execz .LBB58_153
.LBB58_185:                             ;   in Loop: Header=BB58_57 Depth=1
	v_add_f32_e64 v3, 0x46000000, |v4|
	s_and_not1_b32 s15, s15, exec_lo
	s_mov_b32 s17, 0
	s_delay_alu instid0(VALU_DEP_1) | instskip(NEXT) | instid1(VALU_DEP_1)
	v_and_b32_e32 v5, 0xff, v3
	v_cmp_ne_u32_e32 vcc_lo, 0, v5
	s_and_b32 s18, vcc_lo, exec_lo
	s_delay_alu instid0(SALU_CYCLE_1)
	s_or_b32 s15, s15, s18
	s_or_b32 exec_lo, exec_lo, s16
	v_mov_b32_e32 v3, s17
	s_and_saveexec_b32 s16, s15
	s_cbranch_execz .LBB58_52
.LBB58_186:                             ;   in Loop: Header=BB58_57 Depth=1
	v_lshrrev_b32_e32 v3, 24, v4
	s_delay_alu instid0(VALU_DEP_1)
	v_and_or_b32 v3, 0x80, v3, v5
	s_branch .LBB58_52
.LBB58_187:
	s_nop 0
	s_sendmsg sendmsg(MSG_DEALLOC_VGPRS)
	s_endpgm
	.section	.rodata,"a",@progbits
	.p2align	6, 0x0
	.amdhsa_kernel _ZN4vllm31rms_norm_per_block_quant_kernelIN3c104HalfENS1_15Float8_e4m3fnuzELb1ELb0ELi64EEEvPT0_PfPKT_S9_PKffiiPS7_l
		.amdhsa_group_segment_fixed_size 4228
		.amdhsa_private_segment_fixed_size 0
		.amdhsa_kernarg_size 328
		.amdhsa_user_sgpr_count 15
		.amdhsa_user_sgpr_dispatch_ptr 0
		.amdhsa_user_sgpr_queue_ptr 0
		.amdhsa_user_sgpr_kernarg_segment_ptr 1
		.amdhsa_user_sgpr_dispatch_id 0
		.amdhsa_user_sgpr_private_segment_size 0
		.amdhsa_wavefront_size32 1
		.amdhsa_uses_dynamic_stack 0
		.amdhsa_enable_private_segment 0
		.amdhsa_system_sgpr_workgroup_id_x 1
		.amdhsa_system_sgpr_workgroup_id_y 0
		.amdhsa_system_sgpr_workgroup_id_z 0
		.amdhsa_system_sgpr_workgroup_info 0
		.amdhsa_system_vgpr_workitem_id 0
		.amdhsa_next_free_vgpr 35
		.amdhsa_next_free_sgpr 40
		.amdhsa_reserve_vcc 1
		.amdhsa_float_round_mode_32 0
		.amdhsa_float_round_mode_16_64 0
		.amdhsa_float_denorm_mode_32 3
		.amdhsa_float_denorm_mode_16_64 3
		.amdhsa_dx10_clamp 1
		.amdhsa_ieee_mode 1
		.amdhsa_fp16_overflow 0
		.amdhsa_workgroup_processor_mode 1
		.amdhsa_memory_ordered 1
		.amdhsa_forward_progress 0
		.amdhsa_shared_vgpr_count 0
		.amdhsa_exception_fp_ieee_invalid_op 0
		.amdhsa_exception_fp_denorm_src 0
		.amdhsa_exception_fp_ieee_div_zero 0
		.amdhsa_exception_fp_ieee_overflow 0
		.amdhsa_exception_fp_ieee_underflow 0
		.amdhsa_exception_fp_ieee_inexact 0
		.amdhsa_exception_int_div_zero 0
	.end_amdhsa_kernel
	.section	.text._ZN4vllm31rms_norm_per_block_quant_kernelIN3c104HalfENS1_15Float8_e4m3fnuzELb1ELb0ELi64EEEvPT0_PfPKT_S9_PKffiiPS7_l,"axG",@progbits,_ZN4vllm31rms_norm_per_block_quant_kernelIN3c104HalfENS1_15Float8_e4m3fnuzELb1ELb0ELi64EEEvPT0_PfPKT_S9_PKffiiPS7_l,comdat
.Lfunc_end58:
	.size	_ZN4vllm31rms_norm_per_block_quant_kernelIN3c104HalfENS1_15Float8_e4m3fnuzELb1ELb0ELi64EEEvPT0_PfPKT_S9_PKffiiPS7_l, .Lfunc_end58-_ZN4vllm31rms_norm_per_block_quant_kernelIN3c104HalfENS1_15Float8_e4m3fnuzELb1ELb0ELi64EEEvPT0_PfPKT_S9_PKffiiPS7_l
                                        ; -- End function
	.section	.AMDGPU.csdata,"",@progbits
; Kernel info:
; codeLenInByte = 12308
; NumSgprs: 42
; NumVgprs: 35
; ScratchSize: 0
; MemoryBound: 0
; FloatMode: 240
; IeeeMode: 1
; LDSByteSize: 4228 bytes/workgroup (compile time only)
; SGPRBlocks: 5
; VGPRBlocks: 4
; NumSGPRsForWavesPerEU: 42
; NumVGPRsForWavesPerEU: 35
; Occupancy: 16
; WaveLimiterHint : 0
; COMPUTE_PGM_RSRC2:SCRATCH_EN: 0
; COMPUTE_PGM_RSRC2:USER_SGPR: 15
; COMPUTE_PGM_RSRC2:TRAP_HANDLER: 0
; COMPUTE_PGM_RSRC2:TGID_X_EN: 1
; COMPUTE_PGM_RSRC2:TGID_Y_EN: 0
; COMPUTE_PGM_RSRC2:TGID_Z_EN: 0
; COMPUTE_PGM_RSRC2:TIDIG_COMP_CNT: 0
	.section	.text._ZN4vllm31rms_norm_per_block_quant_kernelIN3c104HalfEaLb1ELb0ELi64EEEvPT0_PfPKT_S8_PKffiiPS6_l,"axG",@progbits,_ZN4vllm31rms_norm_per_block_quant_kernelIN3c104HalfEaLb1ELb0ELi64EEEvPT0_PfPKT_S8_PKffiiPS6_l,comdat
	.protected	_ZN4vllm31rms_norm_per_block_quant_kernelIN3c104HalfEaLb1ELb0ELi64EEEvPT0_PfPKT_S8_PKffiiPS6_l ; -- Begin function _ZN4vllm31rms_norm_per_block_quant_kernelIN3c104HalfEaLb1ELb0ELi64EEEvPT0_PfPKT_S8_PKffiiPS6_l
	.globl	_ZN4vllm31rms_norm_per_block_quant_kernelIN3c104HalfEaLb1ELb0ELi64EEEvPT0_PfPKT_S8_PKffiiPS6_l
	.p2align	8
	.type	_ZN4vllm31rms_norm_per_block_quant_kernelIN3c104HalfEaLb1ELb0ELi64EEEvPT0_PfPKT_S8_PKffiiPS6_l,@function
_ZN4vllm31rms_norm_per_block_quant_kernelIN3c104HalfEaLb1ELb0ELi64EEEvPT0_PfPKT_S8_PKffiiPS6_l: ; @_ZN4vllm31rms_norm_per_block_quant_kernelIN3c104HalfEaLb1ELb0ELi64EEEvPT0_PfPKT_S8_PKffiiPS6_l
; %bb.0:
	s_clause 0x2
	s_load_b128 s[16:19], s[0:1], 0x28
	s_load_b256 s[4:11], s[0:1], 0x0
	s_load_b64 s[2:3], s[0:1], 0x38
	v_mov_b32_e32 v6, 0
	s_waitcnt lgkmcnt(0)
	s_ashr_i32 s12, s18, 31
	s_mul_hi_u32 s13, s18, s15
	s_mul_i32 s20, s18, s15
	s_mul_i32 s18, s12, s15
	s_ashr_i32 s19, s17, 31
	s_add_i32 s21, s13, s18
	s_mul_hi_u32 s14, s17, s15
	s_mul_i32 s13, s19, s15
	s_lshl_b64 s[20:21], s[20:21], 1
	s_mul_i32 s12, s17, s15
	s_add_i32 s13, s14, s13
	s_add_u32 s28, s8, s20
	s_addc_u32 s29, s9, s21
	s_lshl_b64 s[8:9], s[12:13], 1
	s_mov_b32 s18, s17
	s_add_u32 s30, s2, s8
	s_addc_u32 s31, s3, s9
	s_ashr_i32 s8, s17, 2
	s_add_u32 s20, s0, 0x48
	v_cmp_gt_u32_e64 s2, s8, v0
	s_mov_b32 s3, 0
	s_addc_u32 s21, s1, 0
	s_delay_alu instid0(VALU_DEP_1)
	s_and_saveexec_b32 s9, s2
	s_cbranch_execz .LBB59_10
; %bb.1:
	s_load_b32 s14, s[20:21], 0x0
	v_dual_mov_b32 v2, 0 :: v_dual_mov_b32 v1, v0
	s_waitcnt lgkmcnt(0)
	s_cmp_lt_u32 s15, s14
	s_cselect_b32 s14, 12, 18
	s_delay_alu instid0(SALU_CYCLE_1)
	s_add_u32 s22, s20, s14
	s_addc_u32 s23, s21, 0
                                        ; implicit-def: $sgpr14
	global_load_u16 v7, v2, s[22:23]
	s_waitcnt vmcnt(0)
	v_lshlrev_b32_e32 v9, 1, v7
	v_mul_lo_u32 v8, v7, 3
	v_add_nc_u32_e32 v10, v7, v7
	v_mov_b32_e32 v6, v2
	s_branch .LBB59_5
.LBB59_2:                               ;   in Loop: Header=BB59_5 Depth=1
	s_or_b32 exec_lo, exec_lo, s23
	s_delay_alu instid0(SALU_CYCLE_1)
	s_or_not1_b32 s23, s24, exec_lo
.LBB59_3:                               ;   in Loop: Header=BB59_5 Depth=1
	s_or_b32 exec_lo, exec_lo, s22
	s_delay_alu instid0(SALU_CYCLE_1) | instskip(SKIP_1) | instid1(SALU_CYCLE_1)
	s_and_not1_b32 s14, s14, exec_lo
	s_and_b32 s22, s23, exec_lo
	s_or_b32 s14, s14, s22
.LBB59_4:                               ;   in Loop: Header=BB59_5 Depth=1
	s_or_b32 exec_lo, exec_lo, s17
	s_delay_alu instid0(SALU_CYCLE_1) | instskip(NEXT) | instid1(SALU_CYCLE_1)
	s_and_b32 s17, exec_lo, s14
	s_or_b32 s3, s17, s3
	s_delay_alu instid0(SALU_CYCLE_1)
	s_and_not1_b32 exec_lo, exec_lo, s3
	s_cbranch_execz .LBB59_9
.LBB59_5:                               ; =>This Inner Loop Header: Depth=1
	v_lshlrev_b64 v[3:4], 3, v[1:2]
	s_or_b32 s14, s14, exec_lo
	s_mov_b32 s17, exec_lo
	s_delay_alu instid0(VALU_DEP_1) | instskip(NEXT) | instid1(VALU_DEP_2)
	v_add_co_u32 v11, vcc_lo, s28, v3
	v_add_co_ci_u32_e32 v12, vcc_lo, s29, v4, vcc_lo
	v_add_co_u32 v3, vcc_lo, s30, v3
	v_add_co_ci_u32_e32 v4, vcc_lo, s31, v4, vcc_lo
	global_load_b64 v[11:12], v[11:12], off
	global_load_b64 v[3:4], v[3:4], off
	s_waitcnt vmcnt(1)
	v_lshrrev_b32_e32 v5, 16, v11
	s_waitcnt vmcnt(0)
	v_lshrrev_b32_e32 v13, 16, v3
	v_cvt_f32_f16_e32 v11, v11
	v_cvt_f32_f16_e32 v3, v3
	v_lshrrev_b32_e32 v14, 16, v12
	v_cvt_f32_f16_e32 v5, v5
	v_cvt_f32_f16_e32 v13, v13
	s_delay_alu instid0(VALU_DEP_1) | instskip(SKIP_4) | instid1(VALU_DEP_4)
	v_add_f32_e32 v5, v5, v13
	v_add_f32_e32 v3, v11, v3
	v_cvt_f32_f16_e32 v11, v12
	v_lshrrev_b32_e32 v12, 16, v4
	v_cvt_f32_f16_e32 v4, v4
	v_fmac_f32_e32 v6, v3, v3
	v_cvt_f32_f16_e32 v3, v14
	s_delay_alu instid0(VALU_DEP_3) | instskip(SKIP_1) | instid1(VALU_DEP_1)
	v_add_f32_e32 v4, v11, v4
	v_cvt_f32_f16_e32 v11, v12
	v_dual_fmac_f32 v6, v5, v5 :: v_dual_add_f32 v5, v3, v11
	s_delay_alu instid0(VALU_DEP_1) | instskip(NEXT) | instid1(VALU_DEP_1)
	v_dual_fmac_f32 v6, v4, v4 :: v_dual_add_nc_u32 v3, v1, v7
	v_fmac_f32_e32 v6, v5, v5
	s_delay_alu instid0(VALU_DEP_2)
	v_cmpx_gt_u32_e64 s8, v3
	s_cbranch_execz .LBB59_4
; %bb.6:                                ;   in Loop: Header=BB59_5 Depth=1
	v_mov_b32_e32 v4, v2
	s_mov_b32 s23, -1
	s_mov_b32 s22, exec_lo
	s_delay_alu instid0(VALU_DEP_1) | instskip(NEXT) | instid1(VALU_DEP_1)
	v_lshlrev_b64 v[4:5], 3, v[3:4]
	v_add_co_u32 v11, vcc_lo, s28, v4
	s_delay_alu instid0(VALU_DEP_2)
	v_add_co_ci_u32_e32 v12, vcc_lo, s29, v5, vcc_lo
	v_add_co_u32 v4, vcc_lo, s30, v4
	v_add_co_ci_u32_e32 v5, vcc_lo, s31, v5, vcc_lo
	global_load_b64 v[11:12], v[11:12], off
	global_load_b64 v[4:5], v[4:5], off
	s_waitcnt vmcnt(1)
	v_lshrrev_b32_e32 v13, 16, v11
	v_cvt_f32_f16_e32 v11, v11
	s_waitcnt vmcnt(0)
	v_lshrrev_b32_e32 v14, 16, v4
	v_cvt_f32_f16_e32 v4, v4
	v_lshrrev_b32_e32 v15, 16, v12
	v_cvt_f32_f16_e32 v13, v13
	s_delay_alu instid0(VALU_DEP_4) | instskip(NEXT) | instid1(VALU_DEP_4)
	v_cvt_f32_f16_e32 v14, v14
	v_add_f32_e32 v4, v11, v4
	v_cvt_f32_f16_e32 v11, v12
	v_lshrrev_b32_e32 v12, 16, v5
	v_cvt_f32_f16_e32 v5, v5
	s_delay_alu instid0(VALU_DEP_4) | instskip(SKIP_1) | instid1(VALU_DEP_3)
	v_dual_add_f32 v13, v13, v14 :: v_dual_fmac_f32 v6, v4, v4
	v_cvt_f32_f16_e32 v4, v15
	v_add_f32_e32 v5, v11, v5
	v_cvt_f32_f16_e32 v11, v12
	s_delay_alu instid0(VALU_DEP_1) | instskip(NEXT) | instid1(VALU_DEP_1)
	v_dual_fmac_f32 v6, v13, v13 :: v_dual_add_f32 v11, v4, v11
	v_fmac_f32_e32 v6, v5, v5
	v_add_nc_u32_e32 v4, v9, v1
	s_delay_alu instid0(VALU_DEP_2) | instskip(NEXT) | instid1(VALU_DEP_2)
	v_fmac_f32_e32 v6, v11, v11
	v_cmpx_gt_u32_e64 s8, v4
	s_cbranch_execz .LBB59_3
; %bb.7:                                ;   in Loop: Header=BB59_5 Depth=1
	v_mov_b32_e32 v5, v2
	v_add_nc_u32_e32 v1, v8, v1
	s_mov_b32 s24, -1
	s_mov_b32 s23, exec_lo
	s_delay_alu instid0(VALU_DEP_2) | instskip(NEXT) | instid1(VALU_DEP_1)
	v_lshlrev_b64 v[4:5], 3, v[4:5]
	v_add_co_u32 v11, vcc_lo, s28, v4
	s_delay_alu instid0(VALU_DEP_2)
	v_add_co_ci_u32_e32 v12, vcc_lo, s29, v5, vcc_lo
	v_add_co_u32 v4, vcc_lo, s30, v4
	v_add_co_ci_u32_e32 v5, vcc_lo, s31, v5, vcc_lo
	global_load_b64 v[11:12], v[11:12], off
	global_load_b64 v[4:5], v[4:5], off
	s_waitcnt vmcnt(1)
	v_lshrrev_b32_e32 v13, 16, v11
	v_cvt_f32_f16_e32 v11, v11
	s_waitcnt vmcnt(0)
	v_lshrrev_b32_e32 v14, 16, v4
	v_cvt_f32_f16_e32 v4, v4
	v_lshrrev_b32_e32 v15, 16, v12
	v_cvt_f32_f16_e32 v13, v13
	s_delay_alu instid0(VALU_DEP_4) | instskip(NEXT) | instid1(VALU_DEP_4)
	v_cvt_f32_f16_e32 v14, v14
	v_add_f32_e32 v4, v11, v4
	v_cvt_f32_f16_e32 v11, v12
	v_lshrrev_b32_e32 v12, 16, v5
	v_cvt_f32_f16_e32 v5, v5
	s_delay_alu instid0(VALU_DEP_4) | instskip(SKIP_1) | instid1(VALU_DEP_3)
	v_dual_add_f32 v13, v13, v14 :: v_dual_fmac_f32 v6, v4, v4
	v_cvt_f32_f16_e32 v4, v15
	v_add_f32_e32 v5, v11, v5
	v_cvt_f32_f16_e32 v11, v12
	s_delay_alu instid0(VALU_DEP_4) | instskip(NEXT) | instid1(VALU_DEP_2)
	v_fmac_f32_e32 v6, v13, v13
	v_add_f32_e32 v4, v4, v11
	s_delay_alu instid0(VALU_DEP_2) | instskip(NEXT) | instid1(VALU_DEP_1)
	v_fmac_f32_e32 v6, v5, v5
	v_fmac_f32_e32 v6, v4, v4
	v_cmpx_gt_u32_e64 s8, v1
	s_xor_b32 s23, exec_lo, s23
	s_cbranch_execz .LBB59_2
; %bb.8:                                ;   in Loop: Header=BB59_5 Depth=1
	v_lshlrev_b64 v[4:5], 3, v[1:2]
	s_delay_alu instid0(VALU_DEP_1) | instskip(NEXT) | instid1(VALU_DEP_2)
	v_add_co_u32 v11, vcc_lo, s28, v4
	v_add_co_ci_u32_e32 v12, vcc_lo, s29, v5, vcc_lo
	v_add_co_u32 v4, vcc_lo, s30, v4
	v_add_co_ci_u32_e32 v5, vcc_lo, s31, v5, vcc_lo
	global_load_b64 v[11:12], v[11:12], off
	global_load_b64 v[4:5], v[4:5], off
	s_waitcnt vmcnt(1)
	v_lshrrev_b32_e32 v1, 16, v11
	v_cvt_f32_f16_e32 v11, v11
	s_waitcnt vmcnt(0)
	v_lshrrev_b32_e32 v13, 16, v4
	v_cvt_f32_f16_e32 v4, v4
	v_lshrrev_b32_e32 v14, 16, v12
	v_cvt_f32_f16_e32 v1, v1
	s_delay_alu instid0(VALU_DEP_4) | instskip(NEXT) | instid1(VALU_DEP_4)
	v_cvt_f32_f16_e32 v13, v13
	v_add_f32_e32 v4, v11, v4
	v_cvt_f32_f16_e32 v11, v12
	v_lshrrev_b32_e32 v12, 16, v5
	v_cvt_f32_f16_e32 v5, v5
	s_delay_alu instid0(VALU_DEP_4) | instskip(SKIP_1) | instid1(VALU_DEP_3)
	v_dual_add_f32 v1, v1, v13 :: v_dual_fmac_f32 v6, v4, v4
	v_cvt_f32_f16_e32 v4, v14
	v_add_f32_e32 v5, v11, v5
	v_cvt_f32_f16_e32 v11, v12
	s_delay_alu instid0(VALU_DEP_4) | instskip(SKIP_1) | instid1(VALU_DEP_2)
	v_fmac_f32_e32 v6, v1, v1
	v_add3_u32 v1, v10, v7, v3
	v_dual_add_f32 v3, v4, v11 :: v_dual_fmac_f32 v6, v5, v5
	s_delay_alu instid0(VALU_DEP_2) | instskip(NEXT) | instid1(VALU_DEP_2)
	v_cmp_le_u32_e32 vcc_lo, s8, v1
	v_fmac_f32_e32 v6, v3, v3
	s_or_not1_b32 s24, vcc_lo, exec_lo
	s_branch .LBB59_2
.LBB59_9:
	s_or_b32 exec_lo, exec_lo, s3
.LBB59_10:
	s_delay_alu instid0(SALU_CYCLE_1) | instskip(SKIP_3) | instid1(VALU_DEP_2)
	s_or_b32 exec_lo, exec_lo, s9
	v_mbcnt_lo_u32_b32 v1, -1, 0
	s_load_b32 s3, s[20:21], 0xc
	v_and_b32_e32 v7, 0x3e0, v0
	v_cmp_ne_u32_e32 vcc_lo, 31, v1
	v_add_nc_u32_e32 v3, 1, v1
	v_add_co_ci_u32_e32 v2, vcc_lo, 0, v1, vcc_lo
	v_cmp_gt_u32_e32 vcc_lo, 30, v1
	s_delay_alu instid0(VALU_DEP_2)
	v_lshlrev_b32_e32 v2, 2, v2
	v_cndmask_b32_e64 v5, 0, 1, vcc_lo
	ds_bpermute_b32 v4, v2, v6
	s_waitcnt lgkmcnt(0)
	s_and_b32 s33, s3, 0xffff
	v_lshlrev_b32_e32 v5, 1, v5
	v_sub_nc_u32_e64 v12, s33, v7 clamp
	s_mov_b32 s3, exec_lo
	s_delay_alu instid0(VALU_DEP_1) | instskip(SKIP_2) | instid1(VALU_DEP_2)
	v_cmp_lt_u32_e32 vcc_lo, v3, v12
	v_add_f32_e32 v7, v6, v4
	v_add_lshl_u32 v4, v5, v1, 2
	v_cndmask_b32_e32 v7, v6, v7, vcc_lo
	v_cmp_gt_u32_e32 vcc_lo, 28, v1
	v_cndmask_b32_e64 v5, 0, 1, vcc_lo
	s_delay_alu instid0(VALU_DEP_1) | instskip(SKIP_2) | instid1(VALU_DEP_1)
	v_lshlrev_b32_e32 v8, 2, v5
	ds_bpermute_b32 v6, v4, v7
	v_add_nc_u32_e32 v5, 2, v1
	v_cmp_lt_u32_e32 vcc_lo, v5, v12
	s_waitcnt lgkmcnt(0)
	v_add_f32_e32 v9, v7, v6
	v_add_lshl_u32 v6, v8, v1, 2
	s_delay_alu instid0(VALU_DEP_2) | instskip(SKIP_3) | instid1(VALU_DEP_1)
	v_cndmask_b32_e32 v9, v7, v9, vcc_lo
	v_cmp_gt_u32_e32 vcc_lo, 24, v1
	ds_bpermute_b32 v8, v6, v9
	v_cndmask_b32_e64 v7, 0, 1, vcc_lo
	v_lshlrev_b32_e32 v10, 3, v7
	v_add_nc_u32_e32 v7, 4, v1
	s_delay_alu instid0(VALU_DEP_1) | instskip(SKIP_3) | instid1(VALU_DEP_2)
	v_cmp_lt_u32_e32 vcc_lo, v7, v12
	s_waitcnt lgkmcnt(0)
	v_add_f32_e32 v11, v9, v8
	v_add_lshl_u32 v8, v10, v1, 2
	v_cndmask_b32_e32 v11, v9, v11, vcc_lo
	v_cmp_gt_u32_e32 vcc_lo, 16, v1
	ds_bpermute_b32 v10, v8, v11
	v_cndmask_b32_e64 v9, 0, 1, vcc_lo
	s_delay_alu instid0(VALU_DEP_1) | instskip(SKIP_1) | instid1(VALU_DEP_1)
	v_lshlrev_b32_e32 v13, 4, v9
	v_add_nc_u32_e32 v9, 8, v1
	v_cmp_lt_u32_e32 vcc_lo, v9, v12
	s_waitcnt lgkmcnt(0)
	v_add_f32_e32 v14, v11, v10
	v_add_lshl_u32 v10, v13, v1, 2
	s_delay_alu instid0(VALU_DEP_2)
	v_cndmask_b32_e32 v13, v11, v14, vcc_lo
	v_add_nc_u32_e32 v11, 16, v1
	ds_bpermute_b32 v14, v10, v13
	v_cmp_lt_u32_e32 vcc_lo, v11, v12
	s_waitcnt lgkmcnt(0)
	v_add_f32_e32 v14, v13, v14
	s_delay_alu instid0(VALU_DEP_1)
	v_cndmask_b32_e32 v12, v13, v14, vcc_lo
	v_cmpx_eq_u32_e32 0, v1
	s_cbranch_execz .LBB59_12
; %bb.11:
	v_lshrrev_b32_e32 v13, 3, v0
	s_delay_alu instid0(VALU_DEP_1)
	v_and_b32_e32 v13, 0x7c, v13
	ds_store_b32 v13, v12 offset:4096
.LBB59_12:
	s_or_b32 exec_lo, exec_lo, s3
	s_delay_alu instid0(SALU_CYCLE_1)
	s_mov_b32 s3, exec_lo
	s_waitcnt lgkmcnt(0)
	s_barrier
	buffer_gl0_inv
	v_cmpx_gt_u32_e32 32, v0
	s_cbranch_execz .LBB59_14
; %bb.13:
	v_lshlrev_b32_e32 v1, 2, v1
	s_add_i32 s9, s33, 31
	s_delay_alu instid0(SALU_CYCLE_1) | instskip(NEXT) | instid1(SALU_CYCLE_1)
	s_lshr_b32 s9, s9, 5
	v_cmp_gt_u32_e32 vcc_lo, s9, v3
	ds_load_b32 v1, v1 offset:4096
	s_waitcnt lgkmcnt(0)
	ds_bpermute_b32 v2, v2, v1
	s_waitcnt lgkmcnt(0)
	v_add_f32_e32 v2, v1, v2
	s_delay_alu instid0(VALU_DEP_1) | instskip(SKIP_4) | instid1(VALU_DEP_1)
	v_cndmask_b32_e32 v1, v1, v2, vcc_lo
	v_cmp_gt_u32_e32 vcc_lo, s9, v5
	ds_bpermute_b32 v2, v4, v1
	s_waitcnt lgkmcnt(0)
	v_add_f32_e32 v2, v1, v2
	v_cndmask_b32_e32 v1, v1, v2, vcc_lo
	v_cmp_gt_u32_e32 vcc_lo, s9, v7
	ds_bpermute_b32 v2, v6, v1
	s_waitcnt lgkmcnt(0)
	v_add_f32_e32 v2, v1, v2
	s_delay_alu instid0(VALU_DEP_1) | instskip(SKIP_4) | instid1(VALU_DEP_1)
	v_cndmask_b32_e32 v1, v1, v2, vcc_lo
	v_cmp_gt_u32_e32 vcc_lo, s9, v9
	ds_bpermute_b32 v2, v8, v1
	s_waitcnt lgkmcnt(0)
	v_add_f32_e32 v2, v1, v2
	v_cndmask_b32_e32 v1, v1, v2, vcc_lo
	v_cmp_gt_u32_e32 vcc_lo, s9, v11
	ds_bpermute_b32 v2, v10, v1
	s_waitcnt lgkmcnt(0)
	v_add_f32_e32 v2, v1, v2
	s_delay_alu instid0(VALU_DEP_1)
	v_cndmask_b32_e32 v12, v1, v2, vcc_lo
.LBB59_14:
	s_or_b32 exec_lo, exec_lo, s3
	s_delay_alu instid0(SALU_CYCLE_1)
	s_mov_b32 s3, exec_lo
	v_cmpx_eq_u32_e32 0, v0
	s_cbranch_execz .LBB59_16
; %bb.15:
	v_cvt_f32_i32_e32 v1, s18
	s_delay_alu instid0(VALU_DEP_1) | instskip(SKIP_1) | instid1(VALU_DEP_2)
	v_div_scale_f32 v2, null, v1, v1, v12
	v_div_scale_f32 v5, vcc_lo, v12, v1, v12
	v_rcp_f32_e32 v3, v2
	s_waitcnt_depctr 0xfff
	v_fma_f32 v4, -v2, v3, 1.0
	s_delay_alu instid0(VALU_DEP_1) | instskip(NEXT) | instid1(VALU_DEP_1)
	v_fmac_f32_e32 v3, v4, v3
	v_mul_f32_e32 v4, v5, v3
	s_delay_alu instid0(VALU_DEP_1) | instskip(NEXT) | instid1(VALU_DEP_1)
	v_fma_f32 v6, -v2, v4, v5
	v_fmac_f32_e32 v4, v6, v3
	s_delay_alu instid0(VALU_DEP_1) | instskip(NEXT) | instid1(VALU_DEP_1)
	v_fma_f32 v2, -v2, v4, v5
	v_div_fmas_f32 v2, v2, v3, v4
	s_delay_alu instid0(VALU_DEP_1) | instskip(NEXT) | instid1(VALU_DEP_1)
	v_div_fixup_f32 v1, v2, v1, v12
	v_add_f32_e32 v1, s16, v1
	s_delay_alu instid0(VALU_DEP_1) | instskip(SKIP_1) | instid1(VALU_DEP_2)
	v_mul_f32_e32 v2, 0x4b800000, v1
	v_cmp_gt_f32_e32 vcc_lo, 0x800000, v1
	v_cndmask_b32_e32 v1, v1, v2, vcc_lo
	s_delay_alu instid0(VALU_DEP_1) | instskip(SKIP_2) | instid1(VALU_DEP_1)
	v_rsq_f32_e32 v1, v1
	s_waitcnt_depctr 0xfff
	v_mul_f32_e32 v2, 0x45800000, v1
	v_dual_cndmask_b32 v1, v1, v2 :: v_dual_mov_b32 v2, 0
	ds_store_b32 v2, v1 offset:4224
.LBB59_16:
	s_or_b32 exec_lo, exec_lo, s3
	s_ashr_i32 s3, s18, 31
	s_waitcnt lgkmcnt(0)
	s_lshr_b32 s3, s3, 26
	s_barrier
	s_add_i32 s3, s18, s3
	buffer_gl0_inv
	s_ashr_i32 s16, s3, 6
	s_ashr_i32 s3, s3, 31
	s_abs_i32 s9, s16
	s_delay_alu instid0(SALU_CYCLE_1) | instskip(SKIP_1) | instid1(VALU_DEP_1)
	v_cvt_f32_u32_e32 v1, s9
	s_sub_i32 s17, 0, s9
	v_rcp_iflag_f32_e32 v1, v1
	s_waitcnt_depctr 0xfff
	v_mul_f32_e32 v1, 0x4f7ffffe, v1
	s_delay_alu instid0(VALU_DEP_1) | instskip(NEXT) | instid1(VALU_DEP_1)
	v_cvt_u32_f32_e32 v1, v1
	v_readfirstlane_b32 s14, v1
	s_delay_alu instid0(VALU_DEP_1) | instskip(NEXT) | instid1(SALU_CYCLE_1)
	s_mul_i32 s17, s17, s14
	s_mul_hi_u32 s17, s14, s17
	s_delay_alu instid0(SALU_CYCLE_1) | instskip(NEXT) | instid1(SALU_CYCLE_1)
	s_add_i32 s14, s14, s17
	s_mul_hi_u32 s14, s33, s14
	s_delay_alu instid0(SALU_CYCLE_1) | instskip(SKIP_2) | instid1(SALU_CYCLE_1)
	s_mul_i32 s17, s14, s9
	s_add_i32 s20, s14, 1
	s_sub_i32 s17, s33, s17
	s_sub_i32 s21, s17, s9
	s_cmp_ge_u32 s17, s9
	s_cselect_b32 s14, s20, s14
	s_cselect_b32 s17, s21, s17
	s_add_i32 s20, s14, 1
	s_cmp_ge_u32 s17, s9
	s_cselect_b32 s9, s20, s14
	s_delay_alu instid0(SALU_CYCLE_1) | instskip(NEXT) | instid1(SALU_CYCLE_1)
	s_xor_b32 s9, s9, s3
	s_sub_i32 s20, s9, s3
	s_delay_alu instid0(SALU_CYCLE_1) | instskip(SKIP_3) | instid1(VALU_DEP_1)
	s_abs_i32 s3, s20
	s_ashr_i32 s21, s20, 31
	v_cvt_f32_u32_e32 v1, s3
	s_sub_i32 s9, 0, s3
	v_rcp_iflag_f32_e32 v1, v1
	s_waitcnt_depctr 0xfff
	v_mul_f32_e32 v1, 0x4f7ffffe, v1
	s_delay_alu instid0(VALU_DEP_1) | instskip(NEXT) | instid1(VALU_DEP_1)
	v_cvt_u32_f32_e32 v1, v1
	v_mul_lo_u32 v2, s9, v1
	s_ashr_i32 s9, s8, 31
	s_delay_alu instid0(VALU_DEP_1) | instskip(NEXT) | instid1(VALU_DEP_1)
	v_mul_hi_u32 v2, v1, v2
	v_add_nc_u32_e32 v1, v1, v2
	s_delay_alu instid0(VALU_DEP_1) | instskip(NEXT) | instid1(VALU_DEP_1)
	v_mul_hi_u32 v1, v0, v1
	v_mul_lo_u32 v2, v1, s3
	v_add_nc_u32_e32 v3, 1, v1
	s_delay_alu instid0(VALU_DEP_2) | instskip(NEXT) | instid1(VALU_DEP_1)
	v_sub_nc_u32_e32 v2, v0, v2
	v_subrev_nc_u32_e32 v4, s3, v2
	v_cmp_le_u32_e32 vcc_lo, s3, v2
	s_delay_alu instid0(VALU_DEP_2) | instskip(NEXT) | instid1(VALU_DEP_1)
	v_dual_cndmask_b32 v1, v1, v3 :: v_dual_cndmask_b32 v2, v2, v4
	v_dual_mov_b32 v4, 0 :: v_dual_add_nc_u32 v3, 1, v1
	s_delay_alu instid0(VALU_DEP_2) | instskip(SKIP_2) | instid1(VALU_DEP_1)
	v_cmp_le_u32_e32 vcc_lo, s3, v2
	ds_load_b32 v28, v4 offset:4224
	v_cndmask_b32_e32 v1, v1, v3, vcc_lo
	v_xor_b32_e32 v1, s21, v1
	s_delay_alu instid0(VALU_DEP_1) | instskip(NEXT) | instid1(VALU_DEP_1)
	v_subrev_nc_u32_e32 v1, s21, v1
	v_ashrrev_i32_e32 v2, 31, v1
	v_mul_lo_u32 v3, v1, s20
	s_delay_alu instid0(VALU_DEP_2) | instskip(NEXT) | instid1(VALU_DEP_2)
	v_lshlrev_b64 v[7:8], 4, v[1:2]
	v_sub_nc_u32_e32 v3, v0, v3
	s_delay_alu instid0(VALU_DEP_2) | instskip(NEXT) | instid1(VALU_DEP_3)
	v_add_co_u32 v5, vcc_lo, v7, 16
	v_add_co_ci_u32_e32 v6, vcc_lo, 0, v8, vcc_lo
	s_delay_alu instid0(VALU_DEP_1) | instskip(SKIP_4) | instid1(VALU_DEP_3)
	v_cmp_gt_i64_e32 vcc_lo, s[8:9], v[5:6]
	v_cndmask_b32_e32 v6, s9, v6, vcc_lo
	v_cndmask_b32_e32 v5, s8, v5, vcc_lo
	v_add_co_u32 v7, vcc_lo, v7, v3
	v_add_co_ci_u32_e32 v8, vcc_lo, 0, v8, vcc_lo
	v_ashrrev_i32_e32 v10, 31, v5
	v_mov_b32_e32 v9, v5
	s_mov_b32 s9, exec_lo
	s_delay_alu instid0(VALU_DEP_1)
	v_cmpx_lt_i64_e64 v[7:8], v[9:10]
	s_cbranch_execz .LBB59_26
; %bb.17:
	v_lshlrev_b64 v[11:12], 7, v[1:2]
	v_lshlrev_b64 v[13:14], 3, v[3:4]
	v_mov_b32_e32 v4, 0
	s_lshl_b64 s[22:23], s[20:21], 5
	s_mul_hi_i32 s14, s20, 3
	s_mul_i32 s17, s20, 3
	s_lshl_b64 s[24:25], s[20:21], 1
	v_add_co_u32 v21, vcc_lo, v11, v13
	v_add_co_ci_u32_e32 v22, vcc_lo, v12, v14, vcc_lo
	v_dual_mov_b32 v12, v8 :: v_dual_mov_b32 v11, v7
	s_lshl_b64 s[26:27], s[20:21], 3
	s_mov_b32 s34, 0
                                        ; implicit-def: $sgpr35
	s_branch .LBB59_21
.LBB59_18:                              ;   in Loop: Header=BB59_21 Depth=1
	s_or_b32 exec_lo, exec_lo, s38
	s_delay_alu instid0(SALU_CYCLE_1)
	s_or_not1_b32 s3, s3, exec_lo
.LBB59_19:                              ;   in Loop: Header=BB59_21 Depth=1
	s_or_b32 exec_lo, exec_lo, s37
	s_delay_alu instid0(SALU_CYCLE_1) | instskip(SKIP_1) | instid1(SALU_CYCLE_1)
	s_and_not1_b32 s35, s35, exec_lo
	s_and_b32 s3, s3, exec_lo
	s_or_b32 s35, s35, s3
.LBB59_20:                              ;   in Loop: Header=BB59_21 Depth=1
	s_or_b32 exec_lo, exec_lo, s36
	s_delay_alu instid0(SALU_CYCLE_1) | instskip(NEXT) | instid1(SALU_CYCLE_1)
	s_and_b32 s3, exec_lo, s35
	s_or_b32 s34, s3, s34
	s_delay_alu instid0(SALU_CYCLE_1)
	s_and_not1_b32 exec_lo, exec_lo, s34
	s_cbranch_execz .LBB59_25
.LBB59_21:                              ; =>This Inner Loop Header: Depth=1
	v_add_co_u32 v15, vcc_lo, s28, v21
	v_add_co_ci_u32_e32 v16, vcc_lo, s29, v22, vcc_lo
	v_add_co_u32 v19, vcc_lo, s30, v21
	v_add_co_ci_u32_e32 v20, vcc_lo, s31, v22, vcc_lo
	v_add_co_u32 v17, vcc_lo, s10, v21
	global_load_b64 v[13:14], v[15:16], off
	global_load_b64 v[23:24], v[19:20], off
	v_add_co_ci_u32_e32 v18, vcc_lo, s11, v22, vcc_lo
	s_or_b32 s35, s35, exec_lo
	s_mov_b32 s36, exec_lo
	global_load_b64 v[25:26], v[17:18], off
	s_waitcnt vmcnt(2)
	v_lshrrev_b32_e32 v27, 16, v13
	s_waitcnt vmcnt(1)
	v_lshrrev_b32_e32 v30, 16, v23
	v_lshrrev_b32_e32 v29, 16, v14
	v_cvt_f32_f16_e32 v13, v13
	v_lshrrev_b32_e32 v31, 16, v24
	v_cvt_f32_f16_e32 v23, v23
	v_cvt_f32_f16_e32 v27, v27
	;; [unrolled: 1-line block ×6, first 2 shown]
	v_add_f32_e32 v13, v13, v23
	v_cvt_f32_f16_e32 v23, v31
	s_delay_alu instid0(VALU_DEP_4)
	v_dual_add_f32 v27, v27, v30 :: v_dual_add_f32 v14, v14, v24
	s_waitcnt vmcnt(0)
	v_lshrrev_b32_e32 v30, 16, v25
	s_waitcnt lgkmcnt(0)
	v_fma_mixlo_f16 v13, v28, v13, 0
	v_add_f32_e32 v23, v29, v23
	v_fma_mixlo_f16 v24, v28, v27, 0
	v_lshrrev_b32_e32 v27, 16, v26
	v_fma_mixlo_f16 v14, v28, v14, 0
	v_mul_f16_e32 v13, v25, v13
	v_fma_mixlo_f16 v23, v28, v23, 0
	v_mul_f16_e32 v24, v30, v24
	s_delay_alu instid0(VALU_DEP_4) | instskip(NEXT) | instid1(VALU_DEP_4)
	v_mul_f16_e32 v25, v26, v14
	v_cvt_f32_f16_e64 v26, |v13|
	s_delay_alu instid0(VALU_DEP_4) | instskip(NEXT) | instid1(VALU_DEP_4)
	v_mul_f16_e32 v23, v27, v23
	v_cvt_f32_f16_e64 v24, |v24|
	v_add_co_u32 v13, vcc_lo, v11, s20
	v_cvt_f32_f16_e64 v25, |v25|
	s_delay_alu instid0(VALU_DEP_4) | instskip(NEXT) | instid1(VALU_DEP_4)
	v_cvt_f32_f16_e64 v23, |v23|
	v_max3_f32 v4, v4, v26, v24
	v_add_co_ci_u32_e32 v14, vcc_lo, s21, v12, vcc_lo
	s_delay_alu instid0(VALU_DEP_2) | instskip(NEXT) | instid1(VALU_DEP_2)
	v_max3_f32 v4, v4, v25, v23
	v_cmpx_lt_i64_e64 v[13:14], v[9:10]
	s_cbranch_execz .LBB59_20
; %bb.22:                               ;   in Loop: Header=BB59_21 Depth=1
	v_add_co_u32 v15, vcc_lo, v15, s26
	v_add_co_ci_u32_e32 v16, vcc_lo, s27, v16, vcc_lo
	v_add_co_u32 v19, vcc_lo, v19, s26
	v_add_co_ci_u32_e32 v20, vcc_lo, s27, v20, vcc_lo
	v_add_co_u32 v17, vcc_lo, v17, s26
	global_load_b64 v[23:24], v[15:16], off
	global_load_b64 v[25:26], v[19:20], off
	v_add_co_ci_u32_e32 v18, vcc_lo, s27, v18, vcc_lo
	s_mov_b32 s3, -1
	s_mov_b32 s37, exec_lo
	global_load_b64 v[29:30], v[17:18], off
	s_waitcnt vmcnt(2)
	v_lshrrev_b32_e32 v27, 16, v23
	s_waitcnt vmcnt(1)
	v_lshrrev_b32_e32 v32, 16, v25
	v_lshrrev_b32_e32 v31, 16, v24
	v_cvt_f32_f16_e32 v23, v23
	v_lshrrev_b32_e32 v33, 16, v26
	v_cvt_f32_f16_e32 v25, v25
	v_cvt_f32_f16_e32 v27, v27
	;; [unrolled: 1-line block ×6, first 2 shown]
	v_add_f32_e32 v23, v23, v25
	v_cvt_f32_f16_e32 v25, v33
	s_delay_alu instid0(VALU_DEP_4)
	v_dual_add_f32 v27, v27, v32 :: v_dual_add_f32 v24, v24, v26
	s_waitcnt vmcnt(0)
	v_lshrrev_b32_e32 v32, 16, v29
	v_fma_mixlo_f16 v23, v28, v23, 0
	v_add_f32_e32 v25, v31, v25
	v_fma_mixlo_f16 v26, v28, v27, 0
	v_lshrrev_b32_e32 v27, 16, v30
	v_fma_mixlo_f16 v24, v28, v24, 0
	v_mul_f16_e32 v23, v29, v23
	v_fma_mixlo_f16 v25, v28, v25, 0
	v_mul_f16_e32 v26, v32, v26
	s_delay_alu instid0(VALU_DEP_4) | instskip(NEXT) | instid1(VALU_DEP_4)
	v_mul_f16_e32 v29, v30, v24
	v_cvt_f32_f16_e64 v30, |v23|
	s_delay_alu instid0(VALU_DEP_4) | instskip(NEXT) | instid1(VALU_DEP_4)
	v_mul_f16_e32 v25, v27, v25
	v_cvt_f32_f16_e64 v26, |v26|
	v_add_co_u32 v23, vcc_lo, s24, v11
	v_cvt_f32_f16_e64 v27, |v29|
	s_delay_alu instid0(VALU_DEP_4) | instskip(NEXT) | instid1(VALU_DEP_4)
	v_cvt_f32_f16_e64 v25, |v25|
	v_max3_f32 v4, v4, v30, v26
	v_add_co_ci_u32_e32 v24, vcc_lo, s25, v12, vcc_lo
	s_delay_alu instid0(VALU_DEP_2) | instskip(NEXT) | instid1(VALU_DEP_2)
	v_max3_f32 v4, v4, v27, v25
	v_cmpx_lt_i64_e64 v[23:24], v[9:10]
	s_cbranch_execz .LBB59_19
; %bb.23:                               ;   in Loop: Header=BB59_21 Depth=1
	v_add_co_u32 v15, vcc_lo, v15, s26
	v_add_co_ci_u32_e32 v16, vcc_lo, s27, v16, vcc_lo
	v_add_co_u32 v19, vcc_lo, v19, s26
	v_add_co_ci_u32_e32 v20, vcc_lo, s27, v20, vcc_lo
	v_add_co_u32 v17, vcc_lo, v17, s26
	global_load_b64 v[23:24], v[15:16], off
	global_load_b64 v[25:26], v[19:20], off
	v_add_co_ci_u32_e32 v18, vcc_lo, s27, v18, vcc_lo
	v_add_co_u32 v11, vcc_lo, s17, v11
	v_add_co_ci_u32_e32 v12, vcc_lo, s14, v12, vcc_lo
	global_load_b64 v[29:30], v[17:18], off
	v_cmp_lt_i64_e32 vcc_lo, v[11:12], v[9:10]
                                        ; implicit-def: $vgpr11_vgpr12
	s_waitcnt vmcnt(2)
	v_lshrrev_b32_e32 v27, 16, v23
	s_waitcnt vmcnt(1)
	v_lshrrev_b32_e32 v32, 16, v25
	v_lshrrev_b32_e32 v31, 16, v24
	v_cvt_f32_f16_e32 v23, v23
	v_lshrrev_b32_e32 v33, 16, v26
	v_cvt_f32_f16_e32 v25, v25
	v_cvt_f32_f16_e32 v27, v27
	;; [unrolled: 1-line block ×6, first 2 shown]
	v_add_f32_e32 v23, v23, v25
	v_cvt_f32_f16_e32 v25, v33
	s_delay_alu instid0(VALU_DEP_4)
	v_dual_add_f32 v27, v27, v32 :: v_dual_add_f32 v24, v24, v26
	s_waitcnt vmcnt(0)
	v_lshrrev_b32_e32 v32, 16, v29
	v_fma_mixlo_f16 v23, v28, v23, 0
	v_add_f32_e32 v25, v31, v25
	v_fma_mixlo_f16 v26, v28, v27, 0
	v_lshrrev_b32_e32 v27, 16, v30
	v_fma_mixlo_f16 v24, v28, v24, 0
	v_mul_f16_e32 v23, v29, v23
	v_fma_mixlo_f16 v25, v28, v25, 0
	v_mul_f16_e32 v26, v32, v26
	s_delay_alu instid0(VALU_DEP_4) | instskip(NEXT) | instid1(VALU_DEP_4)
	v_mul_f16_e32 v24, v30, v24
	v_cvt_f32_f16_e64 v23, |v23|
	s_delay_alu instid0(VALU_DEP_4) | instskip(NEXT) | instid1(VALU_DEP_4)
	v_mul_f16_e32 v25, v27, v25
	v_cvt_f32_f16_e64 v26, |v26|
	s_delay_alu instid0(VALU_DEP_4) | instskip(NEXT) | instid1(VALU_DEP_2)
	v_cvt_f32_f16_e64 v24, |v24|
	v_max3_f32 v4, v4, v23, v26
	s_delay_alu instid0(VALU_DEP_4) | instskip(NEXT) | instid1(VALU_DEP_1)
	v_cvt_f32_f16_e64 v23, |v25|
	v_max3_f32 v4, v4, v24, v23
	s_and_saveexec_b32 s38, vcc_lo
	s_delay_alu instid0(SALU_CYCLE_1)
	s_xor_b32 s38, exec_lo, s38
	s_cbranch_execz .LBB59_18
; %bb.24:                               ;   in Loop: Header=BB59_21 Depth=1
	v_add_co_u32 v11, vcc_lo, v15, s26
	v_add_co_ci_u32_e32 v12, vcc_lo, s27, v16, vcc_lo
	v_add_co_u32 v15, vcc_lo, v19, s26
	v_add_co_ci_u32_e32 v16, vcc_lo, s27, v20, vcc_lo
	v_add_co_u32 v17, vcc_lo, v17, s26
	global_load_b64 v[11:12], v[11:12], off
	global_load_b64 v[15:16], v[15:16], off
	v_add_co_ci_u32_e32 v18, vcc_lo, s27, v18, vcc_lo
	s_add_u32 s3, s20, s20
	s_addc_u32 s39, s21, s21
	s_add_u32 s3, s3, s20
	global_load_b64 v[17:18], v[17:18], off
	s_addc_u32 s39, s39, s21
	s_waitcnt vmcnt(2)
	v_lshrrev_b32_e32 v19, 16, v11
	s_waitcnt vmcnt(1)
	v_lshrrev_b32_e32 v23, 16, v15
	v_lshrrev_b32_e32 v20, 16, v12
	v_cvt_f32_f16_e32 v11, v11
	v_lshrrev_b32_e32 v24, 16, v16
	v_cvt_f32_f16_e32 v15, v15
	v_cvt_f32_f16_e32 v19, v19
	;; [unrolled: 1-line block ×6, first 2 shown]
	v_add_f32_e32 v11, v11, v15
	v_cvt_f32_f16_e32 v15, v24
	s_delay_alu instid0(VALU_DEP_4)
	v_dual_add_f32 v19, v19, v23 :: v_dual_add_f32 v12, v12, v16
	s_waitcnt vmcnt(0)
	v_lshrrev_b32_e32 v23, 16, v17
	v_fma_mixlo_f16 v11, v28, v11, 0
	v_add_f32_e32 v15, v20, v15
	v_fma_mixlo_f16 v16, v28, v19, 0
	v_lshrrev_b32_e32 v19, 16, v18
	v_fma_mixlo_f16 v12, v28, v12, 0
	v_mul_f16_e32 v11, v17, v11
	v_fma_mixlo_f16 v15, v28, v15, 0
	v_mul_f16_e32 v16, v23, v16
	s_delay_alu instid0(VALU_DEP_4) | instskip(NEXT) | instid1(VALU_DEP_4)
	v_mul_f16_e32 v17, v18, v12
	v_cvt_f32_f16_e64 v18, |v11|
	s_delay_alu instid0(VALU_DEP_4) | instskip(NEXT) | instid1(VALU_DEP_4)
	v_mul_f16_e32 v15, v19, v15
	v_cvt_f32_f16_e64 v16, |v16|
	v_add_co_u32 v11, vcc_lo, s3, v13
	v_add_co_ci_u32_e32 v12, vcc_lo, s39, v14, vcc_lo
	v_cvt_f32_f16_e64 v13, |v17|
	v_cvt_f32_f16_e64 v14, |v15|
	v_max3_f32 v4, v4, v18, v16
	s_delay_alu instid0(VALU_DEP_4) | instskip(SKIP_1) | instid1(VALU_DEP_1)
	v_cmp_ge_i64_e32 vcc_lo, v[11:12], v[9:10]
	v_add_co_u32 v21, s3, v21, s22
	v_add_co_ci_u32_e64 v22, s3, s23, v22, s3
	s_delay_alu instid0(VALU_DEP_4)
	v_max3_f32 v4, v4, v13, v14
	s_or_not1_b32 s3, vcc_lo, exec_lo
	s_branch .LBB59_18
.LBB59_25:
	s_or_b32 exec_lo, exec_lo, s34
.LBB59_26:
	s_delay_alu instid0(SALU_CYCLE_1)
	s_or_b32 exec_lo, exec_lo, s9
	s_lshr_b32 s9, s33, 5
	v_lshlrev_b32_e32 v29, 2, v0
	v_cvt_f32_u32_e32 v9, s9
	s_sub_i32 s14, 0, s9
	s_add_i32 s17, s16, s9
	s_delay_alu instid0(SALU_CYCLE_1) | instskip(NEXT) | instid1(VALU_DEP_1)
	s_add_i32 s22, s17, -1
	v_rcp_iflag_f32_e32 v9, v9
	s_abs_i32 s23, s22
	s_ashr_i32 s17, s16, 31
	s_ashr_i32 s22, s22, 31
	ds_store_b32 v29, v4
	s_waitcnt lgkmcnt(0)
	s_barrier
	buffer_gl0_inv
	v_mul_f32_e32 v9, 0x4f7ffffe, v9
	s_delay_alu instid0(VALU_DEP_1) | instskip(NEXT) | instid1(VALU_DEP_1)
	v_cvt_u32_f32_e32 v9, v9
	v_readfirstlane_b32 s3, v9
	s_delay_alu instid0(VALU_DEP_1) | instskip(NEXT) | instid1(SALU_CYCLE_1)
	s_mul_i32 s14, s14, s3
	s_mul_hi_u32 s14, s3, s14
	s_delay_alu instid0(SALU_CYCLE_1) | instskip(NEXT) | instid1(SALU_CYCLE_1)
	s_add_i32 s3, s3, s14
	s_mul_hi_u32 s3, s23, s3
	s_delay_alu instid0(SALU_CYCLE_1) | instskip(NEXT) | instid1(SALU_CYCLE_1)
	s_mul_i32 s14, s3, s9
	s_sub_i32 s14, s23, s14
	s_add_i32 s23, s3, 1
	s_sub_i32 s24, s14, s9
	s_cmp_ge_u32 s14, s9
	s_cselect_b32 s3, s23, s3
	s_cselect_b32 s14, s24, s14
	s_add_i32 s23, s3, 1
	s_cmp_ge_u32 s14, s9
	s_cselect_b32 s3, s23, s3
	s_delay_alu instid0(SALU_CYCLE_1) | instskip(NEXT) | instid1(SALU_CYCLE_1)
	s_xor_b32 s3, s3, s22
	s_sub_i32 s22, s3, s22
	s_delay_alu instid0(SALU_CYCLE_1) | instskip(NEXT) | instid1(SALU_CYCLE_1)
	s_ashr_i32 s23, s22, 31
	v_cmp_lt_i64_e64 s3, s[22:23], 1
	s_delay_alu instid0(VALU_DEP_1)
	s_and_b32 vcc_lo, exec_lo, s3
	s_cbranch_vccnz .LBB59_46
; %bb.27:
	v_lshrrev_b32_e32 v9, 5, v0
	v_and_b32_e32 v4, 31, v0
	s_mov_b64 s[24:25], 0
	s_mov_b64 s[26:27], src_shared_base
	s_delay_alu instid0(VALU_DEP_2) | instskip(NEXT) | instid1(VALU_DEP_2)
	v_mul_lo_u32 v19, s20, v9
	v_add_co_u32 v11, s3, v4, 16
	s_delay_alu instid0(VALU_DEP_1) | instskip(SKIP_1) | instid1(VALU_DEP_1)
	v_add_co_ci_u32_e64 v12, null, 0, 0, s3
	v_add_co_u32 v13, s3, v4, 8
	v_add_co_ci_u32_e64 v14, null, 0, 0, s3
	v_add_co_u32 v15, s3, v4, 4
	v_dual_mov_b32 v10, 0 :: v_dual_lshlrev_b32 v21, 2, v19
	v_lshlrev_b32_e32 v22, 2, v4
	v_add_co_ci_u32_e64 v16, null, 0, 0, s3
	v_add_co_u32 v17, s3, v4, 2
	s_delay_alu instid0(VALU_DEP_1) | instskip(SKIP_1) | instid1(VALU_DEP_1)
	v_add_co_ci_u32_e64 v18, null, 0, 0, s3
	v_add_co_u32 v19, s3, v4, 1
	v_add_co_ci_u32_e64 v20, null, 0, 0, s3
	v_add3_u32 v30, v21, v22, 0x80
	s_mul_i32 s3, s20, s9
	s_delay_alu instid0(SALU_CYCLE_1)
	s_lshl_b32 s14, s3, 2
	s_branch .LBB59_30
.LBB59_28:                              ;   in Loop: Header=BB59_30 Depth=1
	s_or_b32 exec_lo, exec_lo, s3
	v_mov_b32_e32 v22, s27
	flat_load_b32 v21, v[21:22] glc dlc
	s_waitcnt vmcnt(0)
.LBB59_29:                              ;   in Loop: Header=BB59_30 Depth=1
	s_or_b32 exec_lo, exec_lo, s26
	s_add_u32 s24, s24, 1
	v_add_nc_u32_e32 v30, s14, v30
	s_addc_u32 s25, s25, 0
	s_delay_alu instid0(SALU_CYCLE_1)
	s_cmp_eq_u64 s[24:25], s[22:23]
	s_cbranch_scc1 .LBB59_46
.LBB59_30:                              ; =>This Loop Header: Depth=1
                                        ;     Child Loop BB59_33 Depth 2
	s_waitcnt lgkmcnt(0)
	v_mad_u64_u32 v[21:22], null, s24, s9, v[9:10]
	s_mov_b32 s26, exec_lo
	s_delay_alu instid0(VALU_DEP_1) | instskip(NEXT) | instid1(VALU_DEP_1)
	v_mad_u64_u32 v[23:24], null, s25, s9, v[22:23]
	v_mov_b32_e32 v22, v23
	s_delay_alu instid0(VALU_DEP_1)
	v_cmpx_gt_i64_e64 s[16:17], v[21:22]
	s_cbranch_execz .LBB59_29
; %bb.31:                               ;   in Loop: Header=BB59_30 Depth=1
	v_mul_lo_u32 v24, v22, s20
	v_mul_lo_u32 v25, v21, s21
	v_mad_u64_u32 v[22:23], null, v21, s20, 0
	s_delay_alu instid0(VALU_DEP_1) | instskip(NEXT) | instid1(VALU_DEP_2)
	v_add3_u32 v23, v23, v25, v24
	v_add_co_u32 v24, vcc_lo, v22, s20
	v_add_co_u32 v31, s3, v22, v4
	s_delay_alu instid0(VALU_DEP_3) | instskip(SKIP_2) | instid1(VALU_DEP_2)
	v_add_co_ci_u32_e32 v25, vcc_lo, s21, v23, vcc_lo
	v_add_co_ci_u32_e64 v21, s3, 0, v23, s3
	s_mov_b32 s3, exec_lo
	v_cmp_gt_i64_e32 vcc_lo, s[18:19], v[24:25]
	v_cndmask_b32_e32 v25, s19, v25, vcc_lo
	v_cndmask_b32_e32 v24, s18, v24, vcc_lo
	v_add_co_u32 v26, vcc_lo, v31, 32
	v_add_co_ci_u32_e32 v27, vcc_lo, 0, v21, vcc_lo
	v_lshlrev_b32_e32 v21, 2, v31
	s_delay_alu instid0(VALU_DEP_2)
	v_cmpx_lt_i64_e64 v[26:27], v[24:25]
	s_cbranch_execz .LBB59_34
; %bb.32:                               ;   in Loop: Header=BB59_30 Depth=1
	ds_load_b32 v33, v21
	v_mov_b32_e32 v32, v30
	s_mov_b32 s34, 0
.LBB59_33:                              ;   Parent Loop BB59_30 Depth=1
                                        ; =>  This Inner Loop Header: Depth=2
	ds_load_b32 v34, v32
	v_add_co_u32 v26, vcc_lo, v26, 32
	v_add_co_ci_u32_e32 v27, vcc_lo, 0, v27, vcc_lo
	s_waitcnt lgkmcnt(1)
	v_dual_max_f32 v33, v33, v33 :: v_dual_add_nc_u32 v32, 0x80, v32
	s_delay_alu instid0(VALU_DEP_2) | instskip(SKIP_3) | instid1(VALU_DEP_1)
	v_cmp_ge_i64_e32 vcc_lo, v[26:27], v[24:25]
	s_or_b32 s34, vcc_lo, s34
	s_waitcnt lgkmcnt(0)
	v_max_f32_e32 v34, v34, v34
	v_max_f32_e32 v33, v33, v34
	ds_store_b32 v21, v33
	s_and_not1_b32 exec_lo, exec_lo, s34
	s_cbranch_execnz .LBB59_33
.LBB59_34:                              ;   in Loop: Header=BB59_30 Depth=1
	s_or_b32 exec_lo, exec_lo, s3
	v_sub_co_u32 v22, vcc_lo, v24, v22
	v_sub_co_ci_u32_e32 v23, vcc_lo, v25, v23, vcc_lo
	s_mov_b32 s3, exec_lo
	s_delay_alu instid0(VALU_DEP_1) | instskip(SKIP_1) | instid1(VALU_DEP_1)
	v_cmp_gt_i64_e32 vcc_lo, 32, v[22:23]
	v_dual_cndmask_b32 v24, 0, v23 :: v_dual_cndmask_b32 v23, 32, v22
	v_cmpx_lt_i64_e64 v[11:12], v[23:24]
	s_cbranch_execz .LBB59_36
; %bb.35:                               ;   in Loop: Header=BB59_30 Depth=1
	v_dual_mov_b32 v22, s27 :: v_dual_add_nc_u32 v25, 64, v21
	v_mov_b32_e32 v26, s27
	flat_load_b32 v27, v[21:22] glc dlc
	s_waitcnt vmcnt(0)
	flat_load_b32 v25, v[25:26] glc dlc
	s_waitcnt vmcnt(0) lgkmcnt(0)
	v_dual_max_f32 v26, v27, v27 :: v_dual_max_f32 v25, v25, v25
	s_delay_alu instid0(VALU_DEP_1)
	v_max_f32_e32 v25, v26, v25
	flat_store_b32 v[21:22], v25 dlc
	s_waitcnt_vscnt null, 0x0
.LBB59_36:                              ;   in Loop: Header=BB59_30 Depth=1
	s_or_b32 exec_lo, exec_lo, s3
	s_delay_alu instid0(SALU_CYCLE_1)
	s_mov_b32 s3, exec_lo
	v_cmpx_lt_i64_e64 v[13:14], v[23:24]
	s_cbranch_execz .LBB59_38
; %bb.37:                               ;   in Loop: Header=BB59_30 Depth=1
	v_dual_mov_b32 v22, s27 :: v_dual_add_nc_u32 v25, 32, v21
	v_mov_b32_e32 v26, s27
	flat_load_b32 v27, v[21:22] glc dlc
	s_waitcnt vmcnt(0)
	flat_load_b32 v25, v[25:26] glc dlc
	s_waitcnt vmcnt(0) lgkmcnt(0)
	v_dual_max_f32 v26, v27, v27 :: v_dual_max_f32 v25, v25, v25
	s_delay_alu instid0(VALU_DEP_1)
	v_max_f32_e32 v25, v26, v25
	flat_store_b32 v[21:22], v25 dlc
	s_waitcnt_vscnt null, 0x0
.LBB59_38:                              ;   in Loop: Header=BB59_30 Depth=1
	s_or_b32 exec_lo, exec_lo, s3
	s_delay_alu instid0(SALU_CYCLE_1)
	s_mov_b32 s3, exec_lo
	v_cmpx_ge_i64_e64 v[15:16], v[23:24]
	s_xor_b32 s3, exec_lo, s3
; %bb.39:                               ;   in Loop: Header=BB59_30 Depth=1
                                        ; implicit-def: $vgpr21
; %bb.40:                               ;   in Loop: Header=BB59_30 Depth=1
	s_delay_alu instid0(SALU_CYCLE_1)
	s_and_not1_saveexec_b32 s3, s3
	s_cbranch_execz .LBB59_42
; %bb.41:                               ;   in Loop: Header=BB59_30 Depth=1
	v_dual_mov_b32 v22, s27 :: v_dual_add_nc_u32 v25, 16, v21
	v_mov_b32_e32 v26, s27
	flat_load_b32 v27, v[21:22] glc dlc
	s_waitcnt vmcnt(0)
	flat_load_b32 v25, v[25:26] glc dlc
	s_waitcnt vmcnt(0) lgkmcnt(0)
	v_dual_max_f32 v26, v27, v27 :: v_dual_max_f32 v25, v25, v25
	s_delay_alu instid0(VALU_DEP_1)
	v_max_f32_e32 v25, v26, v25
	flat_store_b32 v[21:22], v25 dlc
	s_waitcnt_vscnt null, 0x0
.LBB59_42:                              ;   in Loop: Header=BB59_30 Depth=1
	s_or_b32 exec_lo, exec_lo, s3
	v_lshlrev_b32_e32 v21, 2, v31
	s_mov_b32 s3, exec_lo
	v_cmpx_lt_i64_e64 v[17:18], v[23:24]
	s_cbranch_execz .LBB59_44
; %bb.43:                               ;   in Loop: Header=BB59_30 Depth=1
	s_delay_alu instid0(VALU_DEP_2)
	v_dual_mov_b32 v22, s27 :: v_dual_add_nc_u32 v25, 8, v21
	v_mov_b32_e32 v26, s27
	flat_load_b32 v27, v[21:22] glc dlc
	s_waitcnt vmcnt(0)
	flat_load_b32 v25, v[25:26] glc dlc
	s_waitcnt vmcnt(0) lgkmcnt(0)
	v_dual_max_f32 v26, v27, v27 :: v_dual_max_f32 v25, v25, v25
	s_delay_alu instid0(VALU_DEP_1)
	v_max_f32_e32 v25, v26, v25
	flat_store_b32 v[21:22], v25 dlc
	s_waitcnt_vscnt null, 0x0
.LBB59_44:                              ;   in Loop: Header=BB59_30 Depth=1
	s_or_b32 exec_lo, exec_lo, s3
	s_delay_alu instid0(SALU_CYCLE_1)
	s_mov_b32 s3, exec_lo
	v_cmpx_lt_i64_e64 v[19:20], v[23:24]
	s_cbranch_execz .LBB59_28
; %bb.45:                               ;   in Loop: Header=BB59_30 Depth=1
	v_dual_mov_b32 v22, s27 :: v_dual_add_nc_u32 v23, 4, v21
	v_mov_b32_e32 v24, s27
	flat_load_b32 v25, v[21:22] glc dlc
	s_waitcnt vmcnt(0)
	flat_load_b32 v23, v[23:24] glc dlc
	s_waitcnt vmcnt(0) lgkmcnt(0)
	v_dual_max_f32 v24, v25, v25 :: v_dual_max_f32 v23, v23, v23
	s_delay_alu instid0(VALU_DEP_1)
	v_max_f32_e32 v23, v24, v23
	flat_store_b32 v[21:22], v23 dlc
	s_waitcnt_vscnt null, 0x0
	s_branch .LBB59_28
.LBB59_46:
	v_cmp_lt_i64_e32 vcc_lo, v[7:8], v[5:6]
	v_cmp_eq_u32_e64 s3, 0, v3
	s_mul_i32 s9, s17, s15
	s_mul_hi_u32 s17, s16, s15
	s_mul_i32 s14, s16, s15
	s_waitcnt lgkmcnt(0)
	s_and_b32 s18, s3, vcc_lo
	s_barrier
	buffer_gl0_inv
	s_and_saveexec_b32 s3, s18
	s_cbranch_execz .LBB59_50
; %bb.47:
	s_load_b64 s[0:1], s[0:1], 0x20
	ds_load_b32 v3, v29
	s_waitcnt lgkmcnt(0)
	s_cmp_eq_u64 s[0:1], 0
	s_cbranch_scc1 .LBB59_49
; %bb.48:
	s_load_b32 s0, s[0:1], 0x0
	v_max_f32_e32 v3, v3, v3
	s_waitcnt lgkmcnt(0)
	v_max_f32_e64 v4, s0, s0
	s_delay_alu instid0(VALU_DEP_1)
	v_min_f32_e32 v3, v3, v4
.LBB59_49:
	s_delay_alu instid0(VALU_DEP_1) | instskip(SKIP_2) | instid1(VALU_DEP_2)
	v_div_scale_f32 v4, null, 0x42fe0000, 0x42fe0000, v3
	v_div_scale_f32 v7, vcc_lo, v3, 0x42fe0000, v3
	s_add_i32 s15, s17, s9
	v_rcp_f32_e32 v5, v4
	v_lshlrev_b64 v[1:2], 2, v[1:2]
	s_lshl_b64 s[0:1], s[14:15], 2
	s_delay_alu instid0(SALU_CYCLE_1) | instskip(SKIP_3) | instid1(VALU_DEP_1)
	s_add_u32 s0, s6, s0
	s_addc_u32 s1, s7, s1
	s_waitcnt_depctr 0xfff
	v_fma_f32 v6, -v4, v5, 1.0
	v_fmac_f32_e32 v5, v6, v5
	s_delay_alu instid0(VALU_DEP_1) | instskip(NEXT) | instid1(VALU_DEP_1)
	v_mul_f32_e32 v6, v7, v5
	v_fma_f32 v8, -v4, v6, v7
	s_delay_alu instid0(VALU_DEP_1) | instskip(NEXT) | instid1(VALU_DEP_1)
	v_fmac_f32_e32 v6, v8, v5
	v_fma_f32 v4, -v4, v6, v7
	s_delay_alu instid0(VALU_DEP_1) | instskip(SKIP_2) | instid1(VALU_DEP_3)
	v_div_fmas_f32 v4, v4, v5, v6
	v_add_co_u32 v1, vcc_lo, s0, v1
	v_add_co_ci_u32_e32 v2, vcc_lo, s1, v2, vcc_lo
	v_div_fixup_f32 v3, v4, 0x42fe0000, v3
	s_delay_alu instid0(VALU_DEP_1)
	v_max_f32_e32 v3, 0x34000000, v3
	global_store_b32 v[1:2], v3, off
.LBB59_50:
	s_or_b32 exec_lo, exec_lo, s3
	s_waitcnt_vscnt null, 0x0
	s_barrier
	buffer_gl0_inv
	s_and_saveexec_b32 s0, s2
	s_cbranch_execz .LBB59_59
; %bb.51:
	s_add_u32 s2, s4, s12
	s_addc_u32 s3, s5, s13
	s_add_i32 s15, s17, s9
	v_mov_b32_e32 v1, 0
	s_lshl_b64 s[0:1], s[14:15], 2
	s_mul_i32 s4, s33, 3
	s_add_u32 s0, s6, s0
	s_addc_u32 s1, s7, s1
	s_lshl_b32 s5, s33, 1
	s_mov_b32 s6, 0
	s_add_i32 s7, s33, s33
                                        ; implicit-def: $sgpr9
	s_branch .LBB59_55
.LBB59_52:                              ;   in Loop: Header=BB59_55 Depth=1
	s_or_b32 exec_lo, exec_lo, s14
	s_delay_alu instid0(SALU_CYCLE_1)
	s_or_not1_b32 s14, s15, exec_lo
.LBB59_53:                              ;   in Loop: Header=BB59_55 Depth=1
	s_or_b32 exec_lo, exec_lo, s13
	s_delay_alu instid0(SALU_CYCLE_1) | instskip(SKIP_1) | instid1(SALU_CYCLE_1)
	s_and_not1_b32 s9, s9, exec_lo
	s_and_b32 s13, s14, exec_lo
	s_or_b32 s9, s9, s13
.LBB59_54:                              ;   in Loop: Header=BB59_55 Depth=1
	s_or_b32 exec_lo, exec_lo, s12
	s_delay_alu instid0(SALU_CYCLE_1) | instskip(NEXT) | instid1(SALU_CYCLE_1)
	s_and_b32 s12, exec_lo, s9
	s_or_b32 s6, s12, s6
	s_delay_alu instid0(SALU_CYCLE_1)
	s_and_not1_b32 exec_lo, exec_lo, s6
	s_cbranch_execz .LBB59_59
.LBB59_55:                              ; =>This Inner Loop Header: Depth=1
	v_lshrrev_b32_e32 v2, 2, v0
	v_lshlrev_b64 v[10:11], 2, v[0:1]
	s_or_b32 s9, s9, exec_lo
	s_mov_b32 s12, exec_lo
	s_delay_alu instid0(VALU_DEP_2)
	v_and_b32_e32 v4, 0xffffffc, v2
	v_lshlrev_b64 v[2:3], 3, v[0:1]
	global_load_b32 v12, v4, s[0:1]
	v_add_co_u32 v4, vcc_lo, s28, v2
	v_add_co_ci_u32_e32 v5, vcc_lo, s29, v3, vcc_lo
	v_add_co_u32 v6, vcc_lo, s10, v2
	v_add_co_ci_u32_e32 v7, vcc_lo, s11, v3, vcc_lo
	v_add_co_u32 v8, vcc_lo, s30, v2
	v_add_co_ci_u32_e32 v9, vcc_lo, s31, v3, vcc_lo
	global_load_b64 v[2:3], v[6:7], off
	global_load_b64 v[4:5], v[4:5], off
	;; [unrolled: 1-line block ×3, first 2 shown]
	s_waitcnt vmcnt(3)
	v_div_scale_f32 v13, null, v12, v12, 1.0
	v_div_scale_f32 v15, vcc_lo, 1.0, v12, 1.0
	s_delay_alu instid0(VALU_DEP_2)
	v_rcp_f32_e32 v14, v13
	s_waitcnt vmcnt(2)
	v_lshrrev_b32_e32 v18, 16, v3
	s_waitcnt vmcnt(1)
	v_cvt_f32_f16_e32 v19, v4
	s_waitcnt_depctr 0xfff
	v_fma_f32 v17, -v13, v14, 1.0
	v_lshrrev_b32_e32 v4, 16, v4
	s_waitcnt vmcnt(0)
	v_cvt_f32_f16_e32 v20, v6
	v_lshrrev_b32_e32 v6, 16, v6
	v_cvt_f32_f16_e32 v21, v7
	v_fmac_f32_e32 v14, v17, v14
	v_cvt_f32_f16_e32 v17, v5
	v_add_f32_e32 v19, v19, v20
	v_lshrrev_b32_e32 v5, 16, v5
	v_lshrrev_b32_e32 v7, 16, v7
	v_cvt_f32_f16_e32 v4, v4
	v_cvt_f32_f16_e32 v6, v6
	v_add_f32_e32 v17, v17, v21
	v_cvt_f32_f16_e32 v5, v5
	v_cvt_f32_f16_e32 v7, v7
	v_mul_f32_e32 v22, v15, v14
	v_add_f32_e32 v4, v4, v6
	v_fma_mixlo_f16 v6, v28, v17, 0
	v_lshrrev_b32_e32 v16, 16, v2
	v_add_f32_e32 v5, v5, v7
	v_fma_f32 v23, -v13, v22, v15
	v_fma_mixlo_f16 v7, v28, v19, 0
	v_mul_f16_e32 v3, v3, v6
	v_fma_mixlo_f16 v20, v28, v4, 0
	v_fma_mixlo_f16 v6, v28, v5, 0
	v_cvt_f16_f32_e32 v5, v5
	v_mul_f16_e32 v2, v2, v7
	v_cvt_f32_f16_e32 v3, v3
	v_fmac_f32_e32 v22, v23, v14
	v_mul_f16_e32 v7, v16, v20
	v_mul_f16_e32 v6, v18, v6
	v_cvt_f32_f16_e32 v2, v2
	s_delay_alu instid0(VALU_DEP_4) | instskip(NEXT) | instid1(VALU_DEP_4)
	v_fma_f32 v13, -v13, v22, v15
	v_cvt_f32_f16_e32 v7, v7
	s_delay_alu instid0(VALU_DEP_4) | instskip(NEXT) | instid1(VALU_DEP_3)
	v_cvt_f32_f16_e32 v6, v6
	v_div_fmas_f32 v13, v13, v14, v22
	v_cvt_f16_f32_e32 v14, v17
	s_delay_alu instid0(VALU_DEP_2) | instskip(SKIP_1) | instid1(VALU_DEP_2)
	v_div_fixup_f32 v12, v13, v12, 1.0
	v_cvt_f16_f32_e32 v13, v19
	v_mul_f32_e32 v3, v12, v3
	v_mul_f32_e32 v2, v12, v2
	;; [unrolled: 1-line block ×4, first 2 shown]
	v_cvt_f16_f32_e32 v12, v4
	v_rndne_f32_e32 v3, v3
	v_rndne_f32_e32 v2, v2
	;; [unrolled: 1-line block ×3, first 2 shown]
	s_delay_alu instid0(VALU_DEP_3) | instskip(SKIP_1) | instid1(VALU_DEP_4)
	v_cmp_nlt_f32_e32 vcc_lo, 0x42fe0000, v3
	v_cndmask_b32_e32 v7, 0x42fe0000, v3, vcc_lo
	v_cmp_nlt_f32_e32 vcc_lo, 0x42fe0000, v2
	v_cndmask_b32_e32 v15, 0x42fe0000, v2, vcc_lo
	v_cmp_nlt_f32_e32 vcc_lo, 0x42fe0000, v4
	v_cndmask_b32_e32 v16, 0x42fe0000, v4, vcc_lo
	v_cmp_ngt_f32_e32 vcc_lo, 0xc3000000, v3
	v_cndmask_b32_e32 v3, 0xc3000000, v7, vcc_lo
	s_delay_alu instid0(VALU_DEP_1) | instskip(NEXT) | instid1(VALU_DEP_1)
	v_cvt_i32_f32_e32 v3, v3
	v_and_b32_e32 v3, 0xff, v3
	v_rndne_f32_e32 v6, v6
	s_delay_alu instid0(VALU_DEP_1)
	v_cmp_nlt_f32_e32 vcc_lo, 0x42fe0000, v6
	v_cndmask_b32_e32 v7, 0x42fe0000, v6, vcc_lo
	v_cmp_ngt_f32_e32 vcc_lo, 0xc3000000, v4
	v_cndmask_b32_e32 v4, 0xc3000000, v16, vcc_lo
	v_cmp_ngt_f32_e32 vcc_lo, 0xc3000000, v2
	v_cndmask_b32_e32 v2, 0xc3000000, v15, vcc_lo
	v_lshlrev_b32_e32 v15, 16, v3
	v_cmp_ngt_f32_e32 vcc_lo, 0xc3000000, v6
	v_cvt_i32_f32_e32 v4, v4
	v_pack_b32_f16 v3, v13, v12
	v_cvt_i32_f32_e32 v2, v2
	v_cndmask_b32_e32 v6, 0xc3000000, v7, vcc_lo
	s_delay_alu instid0(VALU_DEP_4) | instskip(SKIP_1) | instid1(VALU_DEP_4)
	v_and_b32_e32 v7, 0xff, v4
	v_pack_b32_f16 v4, v14, v5
	v_and_b32_e32 v12, 0xff, v2
	v_add_co_u32 v5, vcc_lo, s2, v10
	v_cvt_i32_f32_e32 v6, v6
	v_lshlrev_b32_e32 v7, 8, v7
	v_add_nc_u32_e32 v2, s33, v0
	global_store_b64 v[8:9], v[3:4], off
	v_lshl_or_b32 v13, v6, 24, v15
	v_add_co_ci_u32_e32 v6, vcc_lo, s3, v11, vcc_lo
	s_delay_alu instid0(VALU_DEP_2)
	v_or3_b32 v7, v13, v7, v12
	global_store_b32 v[5:6], v7, off
	v_cmpx_gt_u32_e64 s8, v2
	s_cbranch_execz .LBB59_54
; %bb.56:                               ;   in Loop: Header=BB59_55 Depth=1
	v_lshrrev_b32_e32 v4, 2, v2
	v_mov_b32_e32 v3, v1
	s_mov_b32 s14, -1
	s_mov_b32 s13, exec_lo
	s_delay_alu instid0(VALU_DEP_2) | instskip(NEXT) | instid1(VALU_DEP_2)
	v_and_b32_e32 v6, 0xffffffc, v4
	v_lshlrev_b64 v[4:5], 3, v[2:3]
	v_lshlrev_b64 v[12:13], 2, v[2:3]
	global_load_b32 v14, v6, s[0:1]
	v_add_co_u32 v6, vcc_lo, s28, v4
	v_add_co_ci_u32_e32 v7, vcc_lo, s29, v5, vcc_lo
	v_add_co_u32 v8, vcc_lo, s10, v4
	v_add_co_ci_u32_e32 v9, vcc_lo, s11, v5, vcc_lo
	;; [unrolled: 2-line block ×3, first 2 shown]
	global_load_b64 v[8:9], v[8:9], off
	global_load_b64 v[6:7], v[6:7], off
	;; [unrolled: 1-line block ×3, first 2 shown]
	s_waitcnt vmcnt(3)
	v_div_scale_f32 v15, null, v14, v14, 1.0
	v_div_scale_f32 v3, vcc_lo, 1.0, v14, 1.0
	s_delay_alu instid0(VALU_DEP_2)
	v_rcp_f32_e32 v16, v15
	s_waitcnt vmcnt(2)
	v_lshrrev_b32_e32 v17, 16, v8
	s_waitcnt vmcnt(1)
	v_cvt_f32_f16_e32 v20, v6
	s_waitcnt_depctr 0xfff
	v_fma_f32 v18, -v15, v16, 1.0
	s_waitcnt vmcnt(0)
	v_cvt_f32_f16_e32 v22, v11
	v_lshrrev_b32_e32 v11, 16, v11
	v_lshrrev_b32_e32 v6, 16, v6
	v_cvt_f32_f16_e32 v21, v10
	v_lshrrev_b32_e32 v10, 16, v10
	v_lshrrev_b32_e32 v19, 16, v9
	v_cvt_f32_f16_e32 v11, v11
	v_fmac_f32_e32 v16, v18, v16
	v_cvt_f32_f16_e32 v18, v7
	v_lshrrev_b32_e32 v7, 16, v7
	v_cvt_f32_f16_e32 v6, v6
	v_cvt_f32_f16_e32 v10, v10
	s_delay_alu instid0(VALU_DEP_4) | instskip(NEXT) | instid1(VALU_DEP_4)
	v_add_f32_e32 v18, v18, v22
	v_cvt_f32_f16_e32 v7, v7
	s_delay_alu instid0(VALU_DEP_1) | instskip(SKIP_1) | instid1(VALU_DEP_1)
	v_add_f32_e32 v7, v7, v11
	v_mul_f32_e32 v23, v3, v16
	v_fma_f32 v24, -v15, v23, v3
	v_add_f32_e32 v6, v6, v10
	v_fma_mixlo_f16 v10, v28, v18, 0
	s_delay_alu instid0(VALU_DEP_3) | instskip(NEXT) | instid1(VALU_DEP_2)
	v_fmac_f32_e32 v23, v24, v16
	v_mul_f16_e32 v9, v9, v10
	v_fma_mixlo_f16 v10, v28, v7, 0
	v_cvt_f16_f32_e32 v7, v7
	s_delay_alu instid0(VALU_DEP_4) | instskip(SKIP_3) | instid1(VALU_DEP_4)
	v_fma_f32 v3, -v15, v23, v3
	v_cvt_f16_f32_e32 v15, v18
	v_cvt_f32_f16_e32 v9, v9
	v_mul_f16_e32 v10, v19, v10
	v_div_fmas_f32 v3, v3, v16, v23
	s_delay_alu instid0(VALU_DEP_4) | instskip(NEXT) | instid1(VALU_DEP_3)
	v_pack_b32_f16 v7, v15, v7
	v_cvt_f32_f16_e32 v10, v10
	s_delay_alu instid0(VALU_DEP_3) | instskip(SKIP_3) | instid1(VALU_DEP_3)
	v_div_fixup_f32 v3, v3, v14, 1.0
	v_add_f32_e32 v20, v20, v21
	v_fma_mixlo_f16 v21, v28, v6, 0
	v_cvt_f16_f32_e32 v6, v6
	v_fma_mixlo_f16 v11, v28, v20, 0
	s_delay_alu instid0(VALU_DEP_1) | instskip(NEXT) | instid1(VALU_DEP_4)
	v_mul_f16_e32 v8, v8, v11
	v_mul_f16_e32 v11, v17, v21
	s_delay_alu instid0(VALU_DEP_2) | instskip(NEXT) | instid1(VALU_DEP_2)
	v_cvt_f32_f16_e32 v8, v8
	v_cvt_f32_f16_e32 v11, v11
	s_delay_alu instid0(VALU_DEP_2) | instskip(NEXT) | instid1(VALU_DEP_2)
	v_mul_f32_e32 v8, v3, v8
	v_mul_f32_e32 v11, v3, v11
	v_cvt_f16_f32_e32 v14, v20
	s_delay_alu instid0(VALU_DEP_3) | instskip(SKIP_4) | instid1(VALU_DEP_4)
	v_rndne_f32_e32 v8, v8
	v_mul_f32_e32 v9, v3, v9
	v_mul_f32_e32 v3, v3, v10
	v_rndne_f32_e32 v10, v11
	v_pack_b32_f16 v6, v14, v6
	v_rndne_f32_e32 v9, v9
	s_delay_alu instid0(VALU_DEP_4)
	v_rndne_f32_e32 v3, v3
	global_store_b64 v[4:5], v[6:7], off
	v_cmp_nlt_f32_e32 vcc_lo, 0x42fe0000, v9
	v_cndmask_b32_e32 v11, 0x42fe0000, v9, vcc_lo
	v_cmp_nlt_f32_e32 vcc_lo, 0x42fe0000, v8
	v_cndmask_b32_e32 v16, 0x42fe0000, v8, vcc_lo
	;; [unrolled: 2-line block ×3, first 2 shown]
	v_cmp_ngt_f32_e32 vcc_lo, 0xc3000000, v9
	v_cndmask_b32_e32 v9, 0xc3000000, v11, vcc_lo
	v_cmp_nlt_f32_e32 vcc_lo, 0x42fe0000, v3
	v_cndmask_b32_e32 v11, 0x42fe0000, v3, vcc_lo
	v_cmp_ngt_f32_e32 vcc_lo, 0xc3000000, v10
	v_cndmask_b32_e32 v10, 0xc3000000, v17, vcc_lo
	v_cmp_ngt_f32_e32 vcc_lo, 0xc3000000, v8
	s_delay_alu instid0(VALU_DEP_2) | instskip(NEXT) | instid1(VALU_DEP_1)
	v_cvt_i32_f32_e32 v10, v10
	v_and_b32_e32 v10, 0xff, v10
	s_delay_alu instid0(VALU_DEP_1) | instskip(SKIP_1) | instid1(VALU_DEP_1)
	v_lshlrev_b32_e32 v10, 8, v10
	v_cvt_i32_f32_e32 v9, v9
	v_and_b32_e32 v9, 0xff, v9
	v_cndmask_b32_e32 v8, 0xc3000000, v16, vcc_lo
	v_cmp_ngt_f32_e32 vcc_lo, 0xc3000000, v3
	s_delay_alu instid0(VALU_DEP_3) | instskip(NEXT) | instid1(VALU_DEP_3)
	v_lshlrev_b32_e32 v9, 16, v9
	v_cvt_i32_f32_e32 v8, v8
	v_cndmask_b32_e32 v3, 0xc3000000, v11, vcc_lo
	s_delay_alu instid0(VALU_DEP_2) | instskip(NEXT) | instid1(VALU_DEP_2)
	v_and_b32_e32 v11, 0xff, v8
	v_cvt_i32_f32_e32 v3, v3
	v_add_co_u32 v8, vcc_lo, s2, v12
	s_delay_alu instid0(VALU_DEP_2) | instskip(SKIP_2) | instid1(VALU_DEP_3)
	v_lshl_or_b32 v14, v3, 24, v9
	v_add_nc_u32_e32 v3, s5, v0
	v_add_co_ci_u32_e32 v9, vcc_lo, s3, v13, vcc_lo
	v_or3_b32 v10, v14, v10, v11
	global_store_b32 v[8:9], v10, off
	v_cmpx_gt_u32_e64 s8, v3
	s_cbranch_execz .LBB59_53
; %bb.57:                               ;   in Loop: Header=BB59_55 Depth=1
	v_lshrrev_b32_e32 v5, 2, v3
	v_mov_b32_e32 v4, v1
	v_add_nc_u32_e32 v0, s4, v0
	s_mov_b32 s15, -1
	s_mov_b32 s14, exec_lo
	v_and_b32_e32 v7, 0xffffffc, v5
	v_lshlrev_b64 v[5:6], 3, v[3:4]
	v_lshlrev_b64 v[3:4], 2, v[3:4]
	global_load_b32 v13, v7, s[0:1]
	v_add_co_u32 v7, vcc_lo, s28, v5
	v_add_co_ci_u32_e32 v8, vcc_lo, s29, v6, vcc_lo
	v_add_co_u32 v9, vcc_lo, s10, v5
	v_add_co_ci_u32_e32 v10, vcc_lo, s11, v6, vcc_lo
	;; [unrolled: 2-line block ×3, first 2 shown]
	global_load_b64 v[9:10], v[9:10], off
	global_load_b64 v[7:8], v[7:8], off
	;; [unrolled: 1-line block ×3, first 2 shown]
	s_waitcnt vmcnt(3)
	v_div_scale_f32 v14, null, v13, v13, 1.0
	v_div_scale_f32 v16, vcc_lo, 1.0, v13, 1.0
	s_delay_alu instid0(VALU_DEP_2)
	v_rcp_f32_e32 v15, v14
	s_waitcnt vmcnt(2)
	v_lshrrev_b32_e32 v19, 16, v10
	s_waitcnt vmcnt(1)
	v_cvt_f32_f16_e32 v20, v7
	s_waitcnt_depctr 0xfff
	v_fma_f32 v18, -v14, v15, 1.0
	v_lshrrev_b32_e32 v7, 16, v7
	s_waitcnt vmcnt(0)
	v_cvt_f32_f16_e32 v21, v11
	v_lshrrev_b32_e32 v11, 16, v11
	v_cvt_f32_f16_e32 v22, v12
	v_fmac_f32_e32 v15, v18, v15
	v_cvt_f32_f16_e32 v18, v8
	v_add_f32_e32 v20, v20, v21
	v_lshrrev_b32_e32 v8, 16, v8
	v_lshrrev_b32_e32 v12, 16, v12
	s_delay_alu instid0(VALU_DEP_4)
	v_dual_mul_f32 v23, v16, v15 :: v_dual_add_f32 v18, v18, v22
	v_cvt_f32_f16_e32 v7, v7
	v_cvt_f32_f16_e32 v11, v11
	;; [unrolled: 1-line block ×4, first 2 shown]
	v_fma_f32 v24, -v14, v23, v16
	v_lshrrev_b32_e32 v17, 16, v9
	v_add_f32_e32 v7, v7, v11
	v_fma_mixlo_f16 v11, v28, v18, 0
	v_add_f32_e32 v8, v8, v12
	v_fma_mixlo_f16 v12, v28, v20, 0
	s_delay_alu instid0(VALU_DEP_4) | instskip(NEXT) | instid1(VALU_DEP_4)
	v_fma_mixlo_f16 v21, v28, v7, 0
	v_mul_f16_e32 v10, v10, v11
	s_delay_alu instid0(VALU_DEP_4) | instskip(NEXT) | instid1(VALU_DEP_4)
	v_fma_mixlo_f16 v11, v28, v8, 0
	v_mul_f16_e32 v9, v9, v12
	v_cvt_f16_f32_e32 v7, v7
	v_mul_f16_e32 v12, v17, v21
	v_cvt_f32_f16_e32 v10, v10
	v_fmac_f32_e32 v23, v24, v15
	v_cvt_f32_f16_e32 v9, v9
	v_mul_f16_e32 v11, v19, v11
	v_cvt_f32_f16_e32 v12, v12
	v_cvt_f16_f32_e32 v8, v8
	v_fma_f32 v14, -v14, v23, v16
	s_delay_alu instid0(VALU_DEP_4) | instskip(NEXT) | instid1(VALU_DEP_2)
	v_cvt_f32_f16_e32 v11, v11
	v_div_fmas_f32 v14, v14, v15, v23
	v_cvt_f16_f32_e32 v15, v18
	s_delay_alu instid0(VALU_DEP_2) | instskip(SKIP_1) | instid1(VALU_DEP_3)
	v_div_fixup_f32 v13, v14, v13, 1.0
	v_cvt_f16_f32_e32 v14, v20
	v_pack_b32_f16 v8, v15, v8
	s_delay_alu instid0(VALU_DEP_3) | instskip(SKIP_1) | instid1(VALU_DEP_4)
	v_mul_f32_e32 v10, v13, v10
	v_mul_f32_e32 v9, v13, v9
	v_pack_b32_f16 v7, v14, v7
	s_delay_alu instid0(VALU_DEP_3) | instskip(NEXT) | instid1(VALU_DEP_3)
	v_rndne_f32_e32 v10, v10
	v_rndne_f32_e32 v9, v9
	v_mul_f32_e32 v11, v13, v11
	global_store_b64 v[5:6], v[7:8], off
	v_cmp_nlt_f32_e32 vcc_lo, 0x42fe0000, v10
	v_dual_mul_f32 v12, v13, v12 :: v_dual_cndmask_b32 v13, 0x42fe0000, v10
	s_delay_alu instid0(VALU_DEP_1) | instskip(SKIP_2) | instid1(VALU_DEP_3)
	v_rndne_f32_e32 v12, v12
	v_cmp_nlt_f32_e32 vcc_lo, 0x42fe0000, v9
	v_cndmask_b32_e32 v16, 0x42fe0000, v9, vcc_lo
	v_cmp_nlt_f32_e32 vcc_lo, 0x42fe0000, v12
	v_rndne_f32_e32 v11, v11
	v_cndmask_b32_e32 v17, 0x42fe0000, v12, vcc_lo
	v_cmp_ngt_f32_e32 vcc_lo, 0xc3000000, v10
	v_cndmask_b32_e32 v10, 0xc3000000, v13, vcc_lo
	s_delay_alu instid0(VALU_DEP_4) | instskip(NEXT) | instid1(VALU_DEP_2)
	v_cmp_nlt_f32_e32 vcc_lo, 0x42fe0000, v11
	v_cvt_i32_f32_e32 v10, v10
	v_cndmask_b32_e32 v13, 0x42fe0000, v11, vcc_lo
	v_cmp_ngt_f32_e32 vcc_lo, 0xc3000000, v12
	s_delay_alu instid0(VALU_DEP_3) | instskip(NEXT) | instid1(VALU_DEP_1)
	v_and_b32_e32 v10, 0xff, v10
	v_lshlrev_b32_e32 v10, 16, v10
	v_cndmask_b32_e32 v12, 0xc3000000, v17, vcc_lo
	v_cmp_ngt_f32_e32 vcc_lo, 0xc3000000, v9
	s_delay_alu instid0(VALU_DEP_2) | instskip(SKIP_2) | instid1(VALU_DEP_3)
	v_cvt_i32_f32_e32 v12, v12
	v_cndmask_b32_e32 v9, 0xc3000000, v16, vcc_lo
	v_cmp_ngt_f32_e32 vcc_lo, 0xc3000000, v11
	v_and_b32_e32 v12, 0xff, v12
	s_delay_alu instid0(VALU_DEP_3) | instskip(NEXT) | instid1(VALU_DEP_2)
	v_cvt_i32_f32_e32 v9, v9
	v_dual_cndmask_b32 v11, 0xc3000000, v13 :: v_dual_lshlrev_b32 v12, 8, v12
	s_delay_alu instid0(VALU_DEP_2) | instskip(SKIP_2) | instid1(VALU_DEP_4)
	v_and_b32_e32 v9, 0xff, v9
	v_add_co_u32 v3, vcc_lo, s2, v3
	v_add_co_ci_u32_e32 v4, vcc_lo, s3, v4, vcc_lo
	v_cvt_i32_f32_e32 v11, v11
	s_delay_alu instid0(VALU_DEP_1) | instskip(NEXT) | instid1(VALU_DEP_1)
	v_lshl_or_b32 v10, v11, 24, v10
	v_or3_b32 v9, v10, v12, v9
	global_store_b32 v[3:4], v9, off
	v_cmpx_gt_u32_e64 s8, v0
	s_cbranch_execz .LBB59_52
; %bb.58:                               ;   in Loop: Header=BB59_55 Depth=1
	v_lshrrev_b32_e32 v3, 2, v0
	v_lshlrev_b64 v[11:12], 2, v[0:1]
	s_delay_alu instid0(VALU_DEP_2)
	v_and_b32_e32 v5, 0xffffffc, v3
	v_lshlrev_b64 v[3:4], 3, v[0:1]
	v_add3_u32 v0, s7, s33, v2
	global_load_b32 v13, v5, s[0:1]
	v_add_co_u32 v5, vcc_lo, s28, v3
	v_add_co_ci_u32_e32 v6, vcc_lo, s29, v4, vcc_lo
	v_add_co_u32 v7, vcc_lo, s10, v3
	v_add_co_ci_u32_e32 v8, vcc_lo, s11, v4, vcc_lo
	;; [unrolled: 2-line block ×3, first 2 shown]
	global_load_b64 v[7:8], v[7:8], off
	global_load_b64 v[5:6], v[5:6], off
	;; [unrolled: 1-line block ×3, first 2 shown]
	s_waitcnt vmcnt(3)
	v_div_scale_f32 v14, null, v13, v13, 1.0
	v_div_scale_f32 v2, vcc_lo, 1.0, v13, 1.0
	s_delay_alu instid0(VALU_DEP_2)
	v_rcp_f32_e32 v15, v14
	s_waitcnt vmcnt(2)
	v_lshrrev_b32_e32 v18, 16, v8
	s_waitcnt vmcnt(1)
	v_cvt_f32_f16_e32 v19, v5
	s_waitcnt_depctr 0xfff
	v_fma_f32 v17, -v14, v15, 1.0
	v_lshrrev_b32_e32 v5, 16, v5
	s_waitcnt vmcnt(0)
	v_cvt_f32_f16_e32 v20, v9
	v_lshrrev_b32_e32 v9, 16, v9
	v_cvt_f32_f16_e32 v21, v10
	v_fmac_f32_e32 v15, v17, v15
	v_cvt_f32_f16_e32 v17, v6
	v_cvt_f32_f16_e32 v5, v5
	;; [unrolled: 1-line block ×3, first 2 shown]
	v_lshrrev_b32_e32 v6, 16, v6
	s_delay_alu instid0(VALU_DEP_4) | instskip(SKIP_2) | instid1(VALU_DEP_4)
	v_dual_mul_f32 v22, v2, v15 :: v_dual_add_f32 v17, v17, v21
	v_lshrrev_b32_e32 v10, 16, v10
	v_lshrrev_b32_e32 v16, 16, v7
	v_cvt_f32_f16_e32 v6, v6
	s_delay_alu instid0(VALU_DEP_4) | instskip(SKIP_3) | instid1(VALU_DEP_4)
	v_fma_f32 v23, -v14, v22, v2
	v_add_f32_e32 v5, v5, v9
	v_fma_mixlo_f16 v9, v28, v17, 0
	v_cvt_f32_f16_e32 v10, v10
	v_fmac_f32_e32 v22, v23, v15
	s_delay_alu instid0(VALU_DEP_3) | instskip(NEXT) | instid1(VALU_DEP_3)
	v_mul_f16_e32 v8, v8, v9
	v_add_f32_e32 v6, v6, v10
	s_delay_alu instid0(VALU_DEP_3) | instskip(SKIP_1) | instid1(VALU_DEP_4)
	v_fma_f32 v2, -v14, v22, v2
	v_cvt_f16_f32_e32 v14, v17
	v_cvt_f32_f16_e32 v8, v8
	s_delay_alu instid0(VALU_DEP_4) | instskip(SKIP_2) | instid1(VALU_DEP_3)
	v_fma_mixlo_f16 v9, v28, v6, 0
	v_cvt_f16_f32_e32 v6, v6
	v_div_fmas_f32 v2, v2, v15, v22
	v_mul_f16_e32 v9, v18, v9
	s_delay_alu instid0(VALU_DEP_3) | instskip(NEXT) | instid1(VALU_DEP_3)
	v_pack_b32_f16 v6, v14, v6
	v_div_fixup_f32 v2, v2, v13, 1.0
	v_add_f32_e32 v19, v19, v20
	v_fma_mixlo_f16 v20, v28, v5, 0
	v_cvt_f32_f16_e32 v9, v9
	v_cvt_f16_f32_e32 v5, v5
	v_mul_f32_e32 v8, v2, v8
	v_fma_mixlo_f16 v10, v28, v19, 0
	s_delay_alu instid0(VALU_DEP_2) | instskip(NEXT) | instid1(VALU_DEP_2)
	v_rndne_f32_e32 v8, v8
	v_mul_f16_e32 v7, v7, v10
	v_mul_f16_e32 v10, v16, v20
	s_delay_alu instid0(VALU_DEP_3) | instskip(NEXT) | instid1(VALU_DEP_3)
	v_cmp_nlt_f32_e32 vcc_lo, 0x42fe0000, v8
	v_cvt_f32_f16_e32 v7, v7
	s_delay_alu instid0(VALU_DEP_3) | instskip(NEXT) | instid1(VALU_DEP_2)
	v_cvt_f32_f16_e32 v10, v10
	v_mul_f32_e32 v7, v2, v7
	s_delay_alu instid0(VALU_DEP_2) | instskip(SKIP_2) | instid1(VALU_DEP_3)
	v_mul_f32_e32 v10, v2, v10
	v_mul_f32_e32 v2, v2, v9
	v_cvt_f16_f32_e32 v13, v19
	v_rndne_f32_e32 v9, v10
	v_cndmask_b32_e32 v10, 0x42fe0000, v8, vcc_lo
	v_rndne_f32_e32 v7, v7
	s_delay_alu instid0(VALU_DEP_4) | instskip(NEXT) | instid1(VALU_DEP_2)
	v_pack_b32_f16 v5, v13, v5
	v_cmp_nlt_f32_e32 vcc_lo, 0x42fe0000, v7
	global_store_b64 v[3:4], v[5:6], off
	v_cndmask_b32_e32 v15, 0x42fe0000, v7, vcc_lo
	v_cmp_nlt_f32_e32 vcc_lo, 0x42fe0000, v9
	v_rndne_f32_e32 v2, v2
	v_cndmask_b32_e32 v16, 0x42fe0000, v9, vcc_lo
	v_cmp_ngt_f32_e32 vcc_lo, 0xc3000000, v8
	v_cndmask_b32_e32 v8, 0xc3000000, v10, vcc_lo
	s_delay_alu instid0(VALU_DEP_4) | instskip(SKIP_4) | instid1(VALU_DEP_2)
	v_cmp_nlt_f32_e32 vcc_lo, 0x42fe0000, v2
	v_cndmask_b32_e32 v10, 0x42fe0000, v2, vcc_lo
	v_cmp_ngt_f32_e32 vcc_lo, 0xc3000000, v9
	v_cndmask_b32_e32 v9, 0xc3000000, v16, vcc_lo
	v_cmp_ngt_f32_e32 vcc_lo, 0xc3000000, v7
	v_cvt_i32_f32_e32 v9, v9
	s_delay_alu instid0(VALU_DEP_1) | instskip(NEXT) | instid1(VALU_DEP_1)
	v_and_b32_e32 v9, 0xff, v9
	v_lshlrev_b32_e32 v9, 8, v9
	v_cvt_i32_f32_e32 v8, v8
	s_delay_alu instid0(VALU_DEP_1) | instskip(SKIP_2) | instid1(VALU_DEP_3)
	v_and_b32_e32 v8, 0xff, v8
	v_cndmask_b32_e32 v7, 0xc3000000, v15, vcc_lo
	v_cmp_ngt_f32_e32 vcc_lo, 0xc3000000, v2
	v_lshlrev_b32_e32 v8, 16, v8
	s_delay_alu instid0(VALU_DEP_3) | instskip(SKIP_1) | instid1(VALU_DEP_2)
	v_cvt_i32_f32_e32 v7, v7
	v_cndmask_b32_e32 v2, 0xc3000000, v10, vcc_lo
	v_and_b32_e32 v10, 0xff, v7
	s_delay_alu instid0(VALU_DEP_2) | instskip(SKIP_1) | instid1(VALU_DEP_2)
	v_cvt_i32_f32_e32 v2, v2
	v_add_co_u32 v7, vcc_lo, s2, v11
	v_lshl_or_b32 v2, v2, 24, v8
	v_add_co_ci_u32_e32 v8, vcc_lo, s3, v12, vcc_lo
	v_cmp_le_u32_e32 vcc_lo, s8, v0
	s_delay_alu instid0(VALU_DEP_3)
	v_or3_b32 v2, v2, v9, v10
	s_or_not1_b32 s15, vcc_lo, exec_lo
	global_store_b32 v[7:8], v2, off
	s_branch .LBB59_52
.LBB59_59:
	s_nop 0
	s_sendmsg sendmsg(MSG_DEALLOC_VGPRS)
	s_endpgm
	.section	.rodata,"a",@progbits
	.p2align	6, 0x0
	.amdhsa_kernel _ZN4vllm31rms_norm_per_block_quant_kernelIN3c104HalfEaLb1ELb0ELi64EEEvPT0_PfPKT_S8_PKffiiPS6_l
		.amdhsa_group_segment_fixed_size 4228
		.amdhsa_private_segment_fixed_size 0
		.amdhsa_kernarg_size 328
		.amdhsa_user_sgpr_count 15
		.amdhsa_user_sgpr_dispatch_ptr 0
		.amdhsa_user_sgpr_queue_ptr 0
		.amdhsa_user_sgpr_kernarg_segment_ptr 1
		.amdhsa_user_sgpr_dispatch_id 0
		.amdhsa_user_sgpr_private_segment_size 0
		.amdhsa_wavefront_size32 1
		.amdhsa_uses_dynamic_stack 0
		.amdhsa_enable_private_segment 0
		.amdhsa_system_sgpr_workgroup_id_x 1
		.amdhsa_system_sgpr_workgroup_id_y 0
		.amdhsa_system_sgpr_workgroup_id_z 0
		.amdhsa_system_sgpr_workgroup_info 0
		.amdhsa_system_vgpr_workitem_id 0
		.amdhsa_next_free_vgpr 35
		.amdhsa_next_free_sgpr 40
		.amdhsa_reserve_vcc 1
		.amdhsa_float_round_mode_32 0
		.amdhsa_float_round_mode_16_64 0
		.amdhsa_float_denorm_mode_32 3
		.amdhsa_float_denorm_mode_16_64 3
		.amdhsa_dx10_clamp 1
		.amdhsa_ieee_mode 1
		.amdhsa_fp16_overflow 0
		.amdhsa_workgroup_processor_mode 1
		.amdhsa_memory_ordered 1
		.amdhsa_forward_progress 0
		.amdhsa_shared_vgpr_count 0
		.amdhsa_exception_fp_ieee_invalid_op 0
		.amdhsa_exception_fp_denorm_src 0
		.amdhsa_exception_fp_ieee_div_zero 0
		.amdhsa_exception_fp_ieee_overflow 0
		.amdhsa_exception_fp_ieee_underflow 0
		.amdhsa_exception_fp_ieee_inexact 0
		.amdhsa_exception_int_div_zero 0
	.end_amdhsa_kernel
	.section	.text._ZN4vllm31rms_norm_per_block_quant_kernelIN3c104HalfEaLb1ELb0ELi64EEEvPT0_PfPKT_S8_PKffiiPS6_l,"axG",@progbits,_ZN4vllm31rms_norm_per_block_quant_kernelIN3c104HalfEaLb1ELb0ELi64EEEvPT0_PfPKT_S8_PKffiiPS6_l,comdat
.Lfunc_end59:
	.size	_ZN4vllm31rms_norm_per_block_quant_kernelIN3c104HalfEaLb1ELb0ELi64EEEvPT0_PfPKT_S8_PKffiiPS6_l, .Lfunc_end59-_ZN4vllm31rms_norm_per_block_quant_kernelIN3c104HalfEaLb1ELb0ELi64EEEvPT0_PfPKT_S8_PKffiiPS6_l
                                        ; -- End function
	.section	.AMDGPU.csdata,"",@progbits
; Kernel info:
; codeLenInByte = 7872
; NumSgprs: 42
; NumVgprs: 35
; ScratchSize: 0
; MemoryBound: 0
; FloatMode: 240
; IeeeMode: 1
; LDSByteSize: 4228 bytes/workgroup (compile time only)
; SGPRBlocks: 5
; VGPRBlocks: 4
; NumSGPRsForWavesPerEU: 42
; NumVGPRsForWavesPerEU: 35
; Occupancy: 16
; WaveLimiterHint : 0
; COMPUTE_PGM_RSRC2:SCRATCH_EN: 0
; COMPUTE_PGM_RSRC2:USER_SGPR: 15
; COMPUTE_PGM_RSRC2:TRAP_HANDLER: 0
; COMPUTE_PGM_RSRC2:TGID_X_EN: 1
; COMPUTE_PGM_RSRC2:TGID_Y_EN: 0
; COMPUTE_PGM_RSRC2:TGID_Z_EN: 0
; COMPUTE_PGM_RSRC2:TIDIG_COMP_CNT: 0
	.section	.text._ZN4vllm31rms_norm_per_block_quant_kernelIN3c104HalfENS1_13Float8_e4m3fnELb0ELb1ELi64EEEvPT0_PfPKT_S9_PKffiiPS7_l,"axG",@progbits,_ZN4vllm31rms_norm_per_block_quant_kernelIN3c104HalfENS1_13Float8_e4m3fnELb0ELb1ELi64EEEvPT0_PfPKT_S9_PKffiiPS7_l,comdat
	.protected	_ZN4vllm31rms_norm_per_block_quant_kernelIN3c104HalfENS1_13Float8_e4m3fnELb0ELb1ELi64EEEvPT0_PfPKT_S9_PKffiiPS7_l ; -- Begin function _ZN4vllm31rms_norm_per_block_quant_kernelIN3c104HalfENS1_13Float8_e4m3fnELb0ELb1ELi64EEEvPT0_PfPKT_S9_PKffiiPS7_l
	.globl	_ZN4vllm31rms_norm_per_block_quant_kernelIN3c104HalfENS1_13Float8_e4m3fnELb0ELb1ELi64EEEvPT0_PfPKT_S9_PKffiiPS7_l
	.p2align	8
	.type	_ZN4vllm31rms_norm_per_block_quant_kernelIN3c104HalfENS1_13Float8_e4m3fnELb0ELb1ELi64EEEvPT0_PfPKT_S9_PKffiiPS7_l,@function
_ZN4vllm31rms_norm_per_block_quant_kernelIN3c104HalfENS1_13Float8_e4m3fnELb0ELb1ELi64EEEvPT0_PfPKT_S9_PKffiiPS7_l: ; @_ZN4vllm31rms_norm_per_block_quant_kernelIN3c104HalfENS1_13Float8_e4m3fnELb0ELb1ELi64EEEvPT0_PfPKT_S9_PKffiiPS7_l
; %bb.0:
	s_mov_b32 s16, s15
	s_clause 0x2
	s_load_b128 s[12:15], s[0:1], 0x28
	s_load_b256 s[4:11], s[0:1], 0x0
	s_load_b32 s29, s[0:1], 0x48
	v_mov_b32_e32 v6, 0
	s_mov_b32 s17, 0
	s_waitcnt lgkmcnt(0)
	s_ashr_i32 s2, s14, 31
	s_mul_hi_u32 s3, s14, s16
	s_mul_i32 s15, s2, s16
	s_mul_i32 s2, s14, s16
	s_add_i32 s3, s3, s15
	s_mov_b32 s14, s13
	s_lshl_b64 s[2:3], s[2:3], 1
	s_delay_alu instid0(SALU_CYCLE_1)
	s_add_u32 s26, s8, s2
	s_addc_u32 s27, s9, s3
	s_ashr_i32 s8, s13, 2
	s_add_u32 s18, s0, 0x48
	v_cmp_gt_u32_e64 s2, s8, v0
	s_addc_u32 s19, s1, 0
	s_delay_alu instid0(VALU_DEP_1)
	s_and_saveexec_b32 s3, s2
	s_cbranch_execz .LBB60_10
; %bb.1:
	s_cmp_lt_u32 s16, s29
	v_mov_b32_e32 v2, 0
	s_cselect_b32 s9, 12, 18
                                        ; implicit-def: $sgpr15
	v_mov_b32_e32 v1, v0
	s_add_u32 s20, s18, s9
	s_addc_u32 s21, s19, 0
	s_mov_b32 s9, s17
	global_load_u16 v7, v2, s[20:21]
	s_waitcnt vmcnt(0)
	v_lshlrev_b32_e32 v9, 1, v7
	v_mul_lo_u32 v8, v7, 3
	v_add_nc_u32_e32 v10, v7, v7
	v_mov_b32_e32 v6, v2
	s_branch .LBB60_5
.LBB60_2:                               ;   in Loop: Header=BB60_5 Depth=1
	s_or_b32 exec_lo, exec_lo, s22
	s_delay_alu instid0(SALU_CYCLE_1)
	s_or_not1_b32 s22, s23, exec_lo
.LBB60_3:                               ;   in Loop: Header=BB60_5 Depth=1
	s_or_b32 exec_lo, exec_lo, s21
	s_delay_alu instid0(SALU_CYCLE_1) | instskip(SKIP_1) | instid1(SALU_CYCLE_1)
	s_and_not1_b32 s15, s15, exec_lo
	s_and_b32 s21, s22, exec_lo
	s_or_b32 s15, s15, s21
.LBB60_4:                               ;   in Loop: Header=BB60_5 Depth=1
	s_or_b32 exec_lo, exec_lo, s20
	s_delay_alu instid0(SALU_CYCLE_1) | instskip(NEXT) | instid1(SALU_CYCLE_1)
	s_and_b32 s20, exec_lo, s15
	s_or_b32 s9, s20, s9
	s_delay_alu instid0(SALU_CYCLE_1)
	s_and_not1_b32 exec_lo, exec_lo, s9
	s_cbranch_execz .LBB60_9
.LBB60_5:                               ; =>This Inner Loop Header: Depth=1
	v_lshlrev_b64 v[3:4], 3, v[1:2]
	s_or_b32 s15, s15, exec_lo
	s_mov_b32 s20, exec_lo
	s_delay_alu instid0(VALU_DEP_1) | instskip(NEXT) | instid1(VALU_DEP_2)
	v_add_co_u32 v3, vcc_lo, s26, v3
	v_add_co_ci_u32_e32 v4, vcc_lo, s27, v4, vcc_lo
	global_load_b64 v[3:4], v[3:4], off
	s_waitcnt vmcnt(0)
	v_fma_mix_f32 v5, v3, v3, v6 op_sel_hi:[1,1,0]
	s_delay_alu instid0(VALU_DEP_1) | instskip(NEXT) | instid1(VALU_DEP_1)
	v_fma_mix_f32 v3, v3, v3, v5 op_sel:[1,1,0] op_sel_hi:[1,1,0]
	v_fma_mix_f32 v5, v4, v4, v3 op_sel_hi:[1,1,0]
	v_add_nc_u32_e32 v3, v1, v7
	s_delay_alu instid0(VALU_DEP_2) | instskip(NEXT) | instid1(VALU_DEP_2)
	v_fma_mix_f32 v6, v4, v4, v5 op_sel:[1,1,0] op_sel_hi:[1,1,0]
	v_cmpx_gt_u32_e64 s8, v3
	s_cbranch_execz .LBB60_4
; %bb.6:                                ;   in Loop: Header=BB60_5 Depth=1
	v_mov_b32_e32 v4, v2
	s_mov_b32 s22, -1
	s_mov_b32 s21, exec_lo
	s_delay_alu instid0(VALU_DEP_1) | instskip(NEXT) | instid1(VALU_DEP_1)
	v_lshlrev_b64 v[4:5], 3, v[3:4]
	v_add_co_u32 v4, vcc_lo, s26, v4
	s_delay_alu instid0(VALU_DEP_2) | instskip(SKIP_3) | instid1(VALU_DEP_1)
	v_add_co_ci_u32_e32 v5, vcc_lo, s27, v5, vcc_lo
	global_load_b64 v[4:5], v[4:5], off
	s_waitcnt vmcnt(0)
	v_fma_mix_f32 v6, v4, v4, v6 op_sel_hi:[1,1,0]
	v_fma_mix_f32 v4, v4, v4, v6 op_sel:[1,1,0] op_sel_hi:[1,1,0]
	s_delay_alu instid0(VALU_DEP_1) | instskip(SKIP_1) | instid1(VALU_DEP_2)
	v_fma_mix_f32 v6, v5, v5, v4 op_sel_hi:[1,1,0]
	v_add_nc_u32_e32 v4, v9, v1
	v_fma_mix_f32 v6, v5, v5, v6 op_sel:[1,1,0] op_sel_hi:[1,1,0]
	s_delay_alu instid0(VALU_DEP_2)
	v_cmpx_gt_u32_e64 s8, v4
	s_cbranch_execz .LBB60_3
; %bb.7:                                ;   in Loop: Header=BB60_5 Depth=1
	v_mov_b32_e32 v5, v2
	v_add_nc_u32_e32 v1, v8, v1
	s_mov_b32 s23, -1
	s_mov_b32 s22, exec_lo
	s_delay_alu instid0(VALU_DEP_2) | instskip(NEXT) | instid1(VALU_DEP_1)
	v_lshlrev_b64 v[4:5], 3, v[4:5]
	v_add_co_u32 v4, vcc_lo, s26, v4
	s_delay_alu instid0(VALU_DEP_2) | instskip(SKIP_3) | instid1(VALU_DEP_1)
	v_add_co_ci_u32_e32 v5, vcc_lo, s27, v5, vcc_lo
	global_load_b64 v[4:5], v[4:5], off
	s_waitcnt vmcnt(0)
	v_fma_mix_f32 v6, v4, v4, v6 op_sel_hi:[1,1,0]
	v_fma_mix_f32 v4, v4, v4, v6 op_sel:[1,1,0] op_sel_hi:[1,1,0]
	s_delay_alu instid0(VALU_DEP_1) | instskip(NEXT) | instid1(VALU_DEP_1)
	v_fma_mix_f32 v4, v5, v5, v4 op_sel_hi:[1,1,0]
	v_fma_mix_f32 v6, v5, v5, v4 op_sel:[1,1,0] op_sel_hi:[1,1,0]
	v_cmpx_gt_u32_e64 s8, v1
	s_xor_b32 s22, exec_lo, s22
	s_cbranch_execz .LBB60_2
; %bb.8:                                ;   in Loop: Header=BB60_5 Depth=1
	v_lshlrev_b64 v[4:5], 3, v[1:2]
	s_delay_alu instid0(VALU_DEP_1) | instskip(NEXT) | instid1(VALU_DEP_2)
	v_add_co_u32 v4, vcc_lo, s26, v4
	v_add_co_ci_u32_e32 v5, vcc_lo, s27, v5, vcc_lo
	global_load_b64 v[4:5], v[4:5], off
	s_waitcnt vmcnt(0)
	v_fma_mix_f32 v1, v4, v4, v6 op_sel_hi:[1,1,0]
	s_delay_alu instid0(VALU_DEP_1) | instskip(SKIP_1) | instid1(VALU_DEP_2)
	v_fma_mix_f32 v4, v4, v4, v1 op_sel:[1,1,0] op_sel_hi:[1,1,0]
	v_add3_u32 v1, v10, v7, v3
	v_fma_mix_f32 v3, v5, v5, v4 op_sel_hi:[1,1,0]
	s_delay_alu instid0(VALU_DEP_2) | instskip(NEXT) | instid1(VALU_DEP_2)
	v_cmp_le_u32_e32 vcc_lo, s8, v1
	v_fma_mix_f32 v6, v5, v5, v3 op_sel:[1,1,0] op_sel_hi:[1,1,0]
	s_or_not1_b32 s23, vcc_lo, exec_lo
	s_branch .LBB60_2
.LBB60_9:
	s_or_b32 exec_lo, exec_lo, s9
.LBB60_10:
	s_delay_alu instid0(SALU_CYCLE_1) | instskip(SKIP_4) | instid1(VALU_DEP_2)
	s_or_b32 exec_lo, exec_lo, s3
	v_mbcnt_lo_u32_b32 v1, -1, 0
	s_load_b32 s3, s[18:19], 0xc
	v_and_b32_e32 v7, 0x3e0, v0
	s_mov_b32 s9, exec_lo
	v_cmp_ne_u32_e32 vcc_lo, 31, v1
	v_add_nc_u32_e32 v3, 1, v1
	v_add_co_ci_u32_e32 v2, vcc_lo, 0, v1, vcc_lo
	v_cmp_gt_u32_e32 vcc_lo, 30, v1
	s_delay_alu instid0(VALU_DEP_2)
	v_lshlrev_b32_e32 v2, 2, v2
	v_cndmask_b32_e64 v5, 0, 1, vcc_lo
	ds_bpermute_b32 v4, v2, v6
	s_waitcnt lgkmcnt(0)
	s_and_b32 s3, s3, 0xffff
	v_lshlrev_b32_e32 v5, 1, v5
	v_sub_nc_u32_e64 v12, s3, v7 clamp
	s_delay_alu instid0(VALU_DEP_1) | instskip(SKIP_1) | instid1(VALU_DEP_4)
	v_cmp_lt_u32_e32 vcc_lo, v3, v12
	v_add_f32_e32 v7, v6, v4
	v_add_lshl_u32 v4, v5, v1, 2
	s_delay_alu instid0(VALU_DEP_2) | instskip(SKIP_2) | instid1(VALU_DEP_1)
	v_cndmask_b32_e32 v7, v6, v7, vcc_lo
	v_cmp_gt_u32_e32 vcc_lo, 28, v1
	v_cndmask_b32_e64 v5, 0, 1, vcc_lo
	v_lshlrev_b32_e32 v8, 2, v5
	ds_bpermute_b32 v6, v4, v7
	v_add_nc_u32_e32 v5, 2, v1
	s_delay_alu instid0(VALU_DEP_1) | instskip(SKIP_3) | instid1(VALU_DEP_2)
	v_cmp_lt_u32_e32 vcc_lo, v5, v12
	s_waitcnt lgkmcnt(0)
	v_add_f32_e32 v9, v7, v6
	v_add_lshl_u32 v6, v8, v1, 2
	v_cndmask_b32_e32 v9, v7, v9, vcc_lo
	v_cmp_gt_u32_e32 vcc_lo, 24, v1
	ds_bpermute_b32 v8, v6, v9
	v_cndmask_b32_e64 v7, 0, 1, vcc_lo
	s_delay_alu instid0(VALU_DEP_1) | instskip(SKIP_1) | instid1(VALU_DEP_1)
	v_lshlrev_b32_e32 v10, 3, v7
	v_add_nc_u32_e32 v7, 4, v1
	v_cmp_lt_u32_e32 vcc_lo, v7, v12
	s_waitcnt lgkmcnt(0)
	v_add_f32_e32 v11, v9, v8
	v_add_lshl_u32 v8, v10, v1, 2
	s_delay_alu instid0(VALU_DEP_2) | instskip(SKIP_3) | instid1(VALU_DEP_1)
	v_cndmask_b32_e32 v11, v9, v11, vcc_lo
	v_cmp_gt_u32_e32 vcc_lo, 16, v1
	ds_bpermute_b32 v10, v8, v11
	v_cndmask_b32_e64 v9, 0, 1, vcc_lo
	v_lshlrev_b32_e32 v13, 4, v9
	v_add_nc_u32_e32 v9, 8, v1
	s_delay_alu instid0(VALU_DEP_1) | instskip(SKIP_3) | instid1(VALU_DEP_2)
	v_cmp_lt_u32_e32 vcc_lo, v9, v12
	s_waitcnt lgkmcnt(0)
	v_add_f32_e32 v14, v11, v10
	v_add_lshl_u32 v10, v13, v1, 2
	v_cndmask_b32_e32 v13, v11, v14, vcc_lo
	v_add_nc_u32_e32 v11, 16, v1
	ds_bpermute_b32 v14, v10, v13
	v_cmp_lt_u32_e32 vcc_lo, v11, v12
	s_waitcnt lgkmcnt(0)
	v_add_f32_e32 v14, v13, v14
	s_delay_alu instid0(VALU_DEP_1)
	v_cndmask_b32_e32 v12, v13, v14, vcc_lo
	v_cmpx_eq_u32_e32 0, v1
	s_cbranch_execz .LBB60_12
; %bb.11:
	v_lshrrev_b32_e32 v13, 3, v0
	s_delay_alu instid0(VALU_DEP_1)
	v_and_b32_e32 v13, 0x7c, v13
	ds_store_b32 v13, v12 offset:4096
.LBB60_12:
	s_or_b32 exec_lo, exec_lo, s9
	s_delay_alu instid0(SALU_CYCLE_1)
	s_mov_b32 s9, exec_lo
	s_waitcnt lgkmcnt(0)
	s_barrier
	buffer_gl0_inv
	v_cmpx_gt_u32_e32 32, v0
	s_cbranch_execz .LBB60_14
; %bb.13:
	v_lshlrev_b32_e32 v1, 2, v1
	s_add_i32 s3, s3, 31
	s_delay_alu instid0(SALU_CYCLE_1) | instskip(NEXT) | instid1(SALU_CYCLE_1)
	s_lshr_b32 s3, s3, 5
	v_cmp_gt_u32_e32 vcc_lo, s3, v3
	ds_load_b32 v1, v1 offset:4096
	s_waitcnt lgkmcnt(0)
	ds_bpermute_b32 v2, v2, v1
	s_waitcnt lgkmcnt(0)
	v_add_f32_e32 v2, v1, v2
	s_delay_alu instid0(VALU_DEP_1) | instskip(SKIP_4) | instid1(VALU_DEP_1)
	v_cndmask_b32_e32 v1, v1, v2, vcc_lo
	v_cmp_gt_u32_e32 vcc_lo, s3, v5
	ds_bpermute_b32 v2, v4, v1
	s_waitcnt lgkmcnt(0)
	v_add_f32_e32 v2, v1, v2
	v_cndmask_b32_e32 v1, v1, v2, vcc_lo
	v_cmp_gt_u32_e32 vcc_lo, s3, v7
	ds_bpermute_b32 v2, v6, v1
	s_waitcnt lgkmcnt(0)
	v_add_f32_e32 v2, v1, v2
	s_delay_alu instid0(VALU_DEP_1) | instskip(SKIP_4) | instid1(VALU_DEP_1)
	v_cndmask_b32_e32 v1, v1, v2, vcc_lo
	v_cmp_gt_u32_e32 vcc_lo, s3, v9
	ds_bpermute_b32 v2, v8, v1
	s_waitcnt lgkmcnt(0)
	v_add_f32_e32 v2, v1, v2
	v_cndmask_b32_e32 v1, v1, v2, vcc_lo
	v_cmp_gt_u32_e32 vcc_lo, s3, v11
	ds_bpermute_b32 v2, v10, v1
	s_waitcnt lgkmcnt(0)
	v_add_f32_e32 v2, v1, v2
	s_delay_alu instid0(VALU_DEP_1)
	v_cndmask_b32_e32 v12, v1, v2, vcc_lo
.LBB60_14:
	s_or_b32 exec_lo, exec_lo, s9
	s_delay_alu instid0(SALU_CYCLE_1)
	s_mov_b32 s3, exec_lo
	v_cmpx_eq_u32_e32 0, v0
	s_cbranch_execz .LBB60_16
; %bb.15:
	v_cvt_f32_i32_e32 v1, s13
	s_delay_alu instid0(VALU_DEP_1) | instskip(SKIP_1) | instid1(VALU_DEP_2)
	v_div_scale_f32 v2, null, v1, v1, v12
	v_div_scale_f32 v5, vcc_lo, v12, v1, v12
	v_rcp_f32_e32 v3, v2
	s_waitcnt_depctr 0xfff
	v_fma_f32 v4, -v2, v3, 1.0
	s_delay_alu instid0(VALU_DEP_1) | instskip(NEXT) | instid1(VALU_DEP_1)
	v_fmac_f32_e32 v3, v4, v3
	v_mul_f32_e32 v4, v5, v3
	s_delay_alu instid0(VALU_DEP_1) | instskip(NEXT) | instid1(VALU_DEP_1)
	v_fma_f32 v6, -v2, v4, v5
	v_fmac_f32_e32 v4, v6, v3
	s_delay_alu instid0(VALU_DEP_1) | instskip(NEXT) | instid1(VALU_DEP_1)
	v_fma_f32 v2, -v2, v4, v5
	v_div_fmas_f32 v2, v2, v3, v4
	s_delay_alu instid0(VALU_DEP_1) | instskip(NEXT) | instid1(VALU_DEP_1)
	v_div_fixup_f32 v1, v2, v1, v12
	v_add_f32_e32 v1, s12, v1
	s_delay_alu instid0(VALU_DEP_1) | instskip(SKIP_1) | instid1(VALU_DEP_2)
	v_mul_f32_e32 v2, 0x4b800000, v1
	v_cmp_gt_f32_e32 vcc_lo, 0x800000, v1
	v_cndmask_b32_e32 v1, v1, v2, vcc_lo
	s_delay_alu instid0(VALU_DEP_1) | instskip(SKIP_2) | instid1(VALU_DEP_1)
	v_rsq_f32_e32 v1, v1
	s_waitcnt_depctr 0xfff
	v_mul_f32_e32 v2, 0x45800000, v1
	v_dual_cndmask_b32 v1, v1, v2 :: v_dual_mov_b32 v2, 0
	ds_store_b32 v2, v1 offset:4224
.LBB60_16:
	s_or_b32 exec_lo, exec_lo, s3
	s_ashr_i32 s15, s13, 31
	v_mov_b32_e32 v4, 0
	s_lshr_b32 s3, s15, 26
	s_waitcnt lgkmcnt(0)
	s_add_i32 s3, s13, s3
	s_barrier
	s_ashr_i32 s12, s3, 6
	s_cmp_lt_u32 s16, s29
	buffer_gl0_inv
	s_cselect_b32 s9, 12, 18
	ds_load_b32 v28, v4 offset:4224
	s_add_u32 s18, s18, s9
	s_addc_u32 s19, s19, 0
	s_abs_i32 s9, s12
	global_load_u16 v1, v4, s[18:19]
	v_cvt_f32_u32_e32 v2, s9
	s_sub_i32 s18, 0, s9
	s_ashr_i32 s3, s3, 31
	s_delay_alu instid0(VALU_DEP_1) | instskip(SKIP_2) | instid1(VALU_DEP_1)
	v_rcp_iflag_f32_e32 v2, v2
	s_waitcnt_depctr 0xfff
	v_mul_f32_e32 v2, 0x4f7ffffe, v2
	v_cvt_u32_f32_e32 v2, v2
	s_delay_alu instid0(VALU_DEP_1) | instskip(NEXT) | instid1(VALU_DEP_1)
	v_readfirstlane_b32 s13, v2
	s_mul_i32 s18, s18, s13
	s_delay_alu instid0(SALU_CYCLE_1) | instskip(NEXT) | instid1(SALU_CYCLE_1)
	s_mul_hi_u32 s18, s13, s18
	s_add_i32 s13, s13, s18
	s_waitcnt vmcnt(0)
	v_readfirstlane_b32 s28, v1
	s_delay_alu instid0(VALU_DEP_1) | instskip(NEXT) | instid1(SALU_CYCLE_1)
	s_mul_hi_u32 s13, s28, s13
	s_mul_i32 s18, s13, s9
	s_add_i32 s19, s13, 1
	s_sub_i32 s18, s28, s18
	s_delay_alu instid0(SALU_CYCLE_1)
	s_sub_i32 s20, s18, s9
	s_cmp_ge_u32 s18, s9
	s_cselect_b32 s13, s19, s13
	s_cselect_b32 s18, s20, s18
	s_add_i32 s19, s13, 1
	s_cmp_ge_u32 s18, s9
	s_cselect_b32 s9, s19, s13
	s_delay_alu instid0(SALU_CYCLE_1) | instskip(NEXT) | instid1(SALU_CYCLE_1)
	s_xor_b32 s9, s9, s3
	s_sub_i32 s18, s9, s3
	s_delay_alu instid0(SALU_CYCLE_1) | instskip(SKIP_3) | instid1(VALU_DEP_1)
	s_abs_i32 s3, s18
	s_ashr_i32 s19, s18, 31
	v_cvt_f32_u32_e32 v1, s3
	s_sub_i32 s9, 0, s3
	v_rcp_iflag_f32_e32 v1, v1
	s_waitcnt_depctr 0xfff
	v_mul_f32_e32 v1, 0x4f7ffffe, v1
	s_delay_alu instid0(VALU_DEP_1) | instskip(NEXT) | instid1(VALU_DEP_1)
	v_cvt_u32_f32_e32 v1, v1
	v_mul_lo_u32 v2, s9, v1
	s_ashr_i32 s9, s8, 31
	s_delay_alu instid0(VALU_DEP_1) | instskip(NEXT) | instid1(VALU_DEP_1)
	v_mul_hi_u32 v2, v1, v2
	v_add_nc_u32_e32 v1, v1, v2
	s_delay_alu instid0(VALU_DEP_1) | instskip(NEXT) | instid1(VALU_DEP_1)
	v_mul_hi_u32 v1, v0, v1
	v_mul_lo_u32 v2, v1, s3
	v_add_nc_u32_e32 v3, 1, v1
	s_delay_alu instid0(VALU_DEP_2) | instskip(NEXT) | instid1(VALU_DEP_1)
	v_sub_nc_u32_e32 v2, v0, v2
	v_subrev_nc_u32_e32 v5, s3, v2
	v_cmp_le_u32_e32 vcc_lo, s3, v2
	s_delay_alu instid0(VALU_DEP_2) | instskip(NEXT) | instid1(VALU_DEP_1)
	v_dual_cndmask_b32 v2, v2, v5 :: v_dual_cndmask_b32 v1, v1, v3
	v_cmp_le_u32_e32 vcc_lo, s3, v2
	s_delay_alu instid0(VALU_DEP_2) | instskip(NEXT) | instid1(VALU_DEP_1)
	v_add_nc_u32_e32 v3, 1, v1
	v_cndmask_b32_e32 v1, v1, v3, vcc_lo
	s_delay_alu instid0(VALU_DEP_1) | instskip(NEXT) | instid1(VALU_DEP_1)
	v_xor_b32_e32 v1, s19, v1
	v_subrev_nc_u32_e32 v1, s19, v1
	s_delay_alu instid0(VALU_DEP_1) | instskip(SKIP_1) | instid1(VALU_DEP_2)
	v_ashrrev_i32_e32 v2, 31, v1
	v_mul_lo_u32 v3, v1, s18
	v_lshlrev_b64 v[7:8], 4, v[1:2]
	s_delay_alu instid0(VALU_DEP_2) | instskip(NEXT) | instid1(VALU_DEP_2)
	v_sub_nc_u32_e32 v3, v0, v3
	v_add_co_u32 v5, vcc_lo, v7, 16
	s_delay_alu instid0(VALU_DEP_3) | instskip(NEXT) | instid1(VALU_DEP_1)
	v_add_co_ci_u32_e32 v6, vcc_lo, 0, v8, vcc_lo
	v_cmp_gt_i64_e32 vcc_lo, s[8:9], v[5:6]
	v_cndmask_b32_e32 v6, s9, v6, vcc_lo
	v_cndmask_b32_e32 v5, s8, v5, vcc_lo
	v_add_co_u32 v7, vcc_lo, v7, v3
	v_add_co_ci_u32_e32 v8, vcc_lo, 0, v8, vcc_lo
	s_delay_alu instid0(VALU_DEP_3) | instskip(SKIP_2) | instid1(VALU_DEP_1)
	v_ashrrev_i32_e32 v10, 31, v5
	v_mov_b32_e32 v9, v5
	s_mov_b32 s9, exec_lo
	v_cmpx_lt_i64_e64 v[7:8], v[9:10]
	s_cbranch_execz .LBB60_26
; %bb.17:
	v_lshlrev_b64 v[11:12], 7, v[1:2]
	v_lshlrev_b64 v[13:14], 3, v[3:4]
	v_mov_b32_e32 v4, 0
	s_lshl_b64 s[20:21], s[18:19], 5
	s_mul_hi_i32 s13, s18, 3
	s_mul_i32 s30, s18, 3
	s_lshl_b64 s[22:23], s[18:19], 1
	v_add_co_u32 v19, vcc_lo, v11, v13
	v_add_co_ci_u32_e32 v20, vcc_lo, v12, v14, vcc_lo
	v_dual_mov_b32 v12, v8 :: v_dual_mov_b32 v11, v7
	s_lshl_b64 s[24:25], s[18:19], 3
	s_mov_b32 s31, 0
                                        ; implicit-def: $sgpr33
	s_branch .LBB60_21
.LBB60_18:                              ;   in Loop: Header=BB60_21 Depth=1
	s_or_b32 exec_lo, exec_lo, s36
	s_delay_alu instid0(SALU_CYCLE_1)
	s_or_not1_b32 s3, s3, exec_lo
.LBB60_19:                              ;   in Loop: Header=BB60_21 Depth=1
	s_or_b32 exec_lo, exec_lo, s35
	s_delay_alu instid0(SALU_CYCLE_1) | instskip(SKIP_1) | instid1(SALU_CYCLE_1)
	s_and_not1_b32 s33, s33, exec_lo
	s_and_b32 s3, s3, exec_lo
	s_or_b32 s33, s33, s3
.LBB60_20:                              ;   in Loop: Header=BB60_21 Depth=1
	s_or_b32 exec_lo, exec_lo, s34
	s_delay_alu instid0(SALU_CYCLE_1) | instskip(NEXT) | instid1(SALU_CYCLE_1)
	s_and_b32 s3, exec_lo, s33
	s_or_b32 s31, s3, s31
	s_delay_alu instid0(SALU_CYCLE_1)
	s_and_not1_b32 exec_lo, exec_lo, s31
	s_cbranch_execz .LBB60_25
.LBB60_21:                              ; =>This Inner Loop Header: Depth=1
	v_add_co_u32 v17, vcc_lo, s10, v19
	v_add_co_ci_u32_e32 v18, vcc_lo, s11, v20, vcc_lo
	v_add_co_u32 v15, vcc_lo, s26, v19
	v_add_co_ci_u32_e32 v16, vcc_lo, s27, v20, vcc_lo
	s_or_b32 s33, s33, exec_lo
	global_load_b64 v[13:14], v[17:18], off
	global_load_b64 v[21:22], v[15:16], off
	s_mov_b32 s34, exec_lo
	s_waitcnt vmcnt(1)
	v_lshrrev_b32_e32 v23, 16, v13
	s_waitcnt vmcnt(0) lgkmcnt(0)
	v_fma_mixlo_f16 v24, v28, v21, 0 op_sel_hi:[0,1,0]
	v_fma_mixlo_f16 v21, v28, v21, 0 op_sel:[0,1,0] op_sel_hi:[0,1,0]
	v_lshrrev_b32_e32 v25, 16, v14
	v_fma_mixlo_f16 v26, v28, v22, 0 op_sel_hi:[0,1,0]
	v_fma_mixlo_f16 v22, v28, v22, 0 op_sel:[0,1,0] op_sel_hi:[0,1,0]
	v_mul_f16_e32 v13, v13, v24
	v_mul_f16_e32 v21, v23, v21
	s_delay_alu instid0(VALU_DEP_4) | instskip(NEXT) | instid1(VALU_DEP_4)
	v_mul_f16_e32 v23, v14, v26
	v_mul_f16_e32 v22, v25, v22
	s_delay_alu instid0(VALU_DEP_4) | instskip(NEXT) | instid1(VALU_DEP_4)
	v_cvt_f32_f16_e64 v24, |v13|
	v_cvt_f32_f16_e64 v21, |v21|
	v_add_co_u32 v13, vcc_lo, v11, s18
	v_cvt_f32_f16_e64 v23, |v23|
	v_add_co_ci_u32_e32 v14, vcc_lo, s19, v12, vcc_lo
	s_delay_alu instid0(VALU_DEP_4) | instskip(SKIP_1) | instid1(VALU_DEP_1)
	v_max3_f32 v4, v4, v24, v21
	v_cvt_f32_f16_e64 v21, |v22|
	v_max3_f32 v4, v4, v23, v21
	s_delay_alu instid0(VALU_DEP_4)
	v_cmpx_lt_i64_e64 v[13:14], v[9:10]
	s_cbranch_execz .LBB60_20
; %bb.22:                               ;   in Loop: Header=BB60_21 Depth=1
	v_add_co_u32 v17, vcc_lo, v17, s24
	v_add_co_ci_u32_e32 v18, vcc_lo, s25, v18, vcc_lo
	v_add_co_u32 v15, vcc_lo, v15, s24
	v_add_co_ci_u32_e32 v16, vcc_lo, s25, v16, vcc_lo
	s_mov_b32 s3, -1
	global_load_b64 v[21:22], v[17:18], off
	global_load_b64 v[23:24], v[15:16], off
	s_mov_b32 s35, exec_lo
	s_waitcnt vmcnt(1)
	v_lshrrev_b32_e32 v25, 16, v21
	s_waitcnt vmcnt(0)
	v_fma_mixlo_f16 v26, v28, v23, 0 op_sel_hi:[0,1,0]
	v_fma_mixlo_f16 v23, v28, v23, 0 op_sel:[0,1,0] op_sel_hi:[0,1,0]
	v_lshrrev_b32_e32 v27, 16, v22
	v_fma_mixlo_f16 v29, v28, v24, 0 op_sel_hi:[0,1,0]
	v_fma_mixlo_f16 v24, v28, v24, 0 op_sel:[0,1,0] op_sel_hi:[0,1,0]
	v_mul_f16_e32 v21, v21, v26
	v_mul_f16_e32 v23, v25, v23
	s_delay_alu instid0(VALU_DEP_4) | instskip(NEXT) | instid1(VALU_DEP_4)
	v_mul_f16_e32 v25, v22, v29
	v_mul_f16_e32 v24, v27, v24
	s_delay_alu instid0(VALU_DEP_4) | instskip(NEXT) | instid1(VALU_DEP_4)
	v_cvt_f32_f16_e64 v26, |v21|
	v_cvt_f32_f16_e64 v23, |v23|
	v_add_co_u32 v21, vcc_lo, s22, v11
	v_cvt_f32_f16_e64 v25, |v25|
	v_add_co_ci_u32_e32 v22, vcc_lo, s23, v12, vcc_lo
	s_delay_alu instid0(VALU_DEP_4) | instskip(SKIP_1) | instid1(VALU_DEP_1)
	v_max3_f32 v4, v4, v26, v23
	v_cvt_f32_f16_e64 v23, |v24|
	v_max3_f32 v4, v4, v25, v23
	s_delay_alu instid0(VALU_DEP_4)
	v_cmpx_lt_i64_e64 v[21:22], v[9:10]
	s_cbranch_execz .LBB60_19
; %bb.23:                               ;   in Loop: Header=BB60_21 Depth=1
	v_add_co_u32 v17, vcc_lo, v17, s24
	v_add_co_ci_u32_e32 v18, vcc_lo, s25, v18, vcc_lo
	v_add_co_u32 v15, vcc_lo, v15, s24
	v_add_co_ci_u32_e32 v16, vcc_lo, s25, v16, vcc_lo
	v_add_co_u32 v11, vcc_lo, s30, v11
	global_load_b64 v[21:22], v[17:18], off
	global_load_b64 v[23:24], v[15:16], off
	v_add_co_ci_u32_e32 v12, vcc_lo, s13, v12, vcc_lo
	s_delay_alu instid0(VALU_DEP_1)
	v_cmp_lt_i64_e32 vcc_lo, v[11:12], v[9:10]
                                        ; implicit-def: $vgpr11_vgpr12
	s_waitcnt vmcnt(1)
	v_lshrrev_b32_e32 v25, 16, v21
	s_waitcnt vmcnt(0)
	v_fma_mixlo_f16 v26, v28, v23, 0 op_sel_hi:[0,1,0]
	v_fma_mixlo_f16 v23, v28, v23, 0 op_sel:[0,1,0] op_sel_hi:[0,1,0]
	v_lshrrev_b32_e32 v27, 16, v22
	v_fma_mixlo_f16 v29, v28, v24, 0 op_sel_hi:[0,1,0]
	v_fma_mixlo_f16 v24, v28, v24, 0 op_sel:[0,1,0] op_sel_hi:[0,1,0]
	v_mul_f16_e32 v21, v21, v26
	v_mul_f16_e32 v23, v25, v23
	s_delay_alu instid0(VALU_DEP_4) | instskip(NEXT) | instid1(VALU_DEP_4)
	v_mul_f16_e32 v22, v22, v29
	v_mul_f16_e32 v24, v27, v24
	s_delay_alu instid0(VALU_DEP_4) | instskip(NEXT) | instid1(VALU_DEP_4)
	v_cvt_f32_f16_e64 v21, |v21|
	v_cvt_f32_f16_e64 v23, |v23|
	s_delay_alu instid0(VALU_DEP_4) | instskip(NEXT) | instid1(VALU_DEP_2)
	v_cvt_f32_f16_e64 v22, |v22|
	v_max3_f32 v4, v4, v21, v23
	v_cvt_f32_f16_e64 v21, |v24|
	s_delay_alu instid0(VALU_DEP_1) | instskip(SKIP_1) | instid1(SALU_CYCLE_1)
	v_max3_f32 v4, v4, v22, v21
	s_and_saveexec_b32 s36, vcc_lo
	s_xor_b32 s36, exec_lo, s36
	s_cbranch_execz .LBB60_18
; %bb.24:                               ;   in Loop: Header=BB60_21 Depth=1
	v_add_co_u32 v11, vcc_lo, v17, s24
	v_add_co_ci_u32_e32 v12, vcc_lo, s25, v18, vcc_lo
	v_add_co_u32 v15, vcc_lo, v15, s24
	v_add_co_ci_u32_e32 v16, vcc_lo, s25, v16, vcc_lo
	s_add_u32 s3, s18, s18
	global_load_b64 v[11:12], v[11:12], off
	global_load_b64 v[15:16], v[15:16], off
	s_addc_u32 s37, s19, s19
	s_add_u32 s3, s3, s18
	s_addc_u32 s37, s37, s19
	s_waitcnt vmcnt(1)
	v_lshrrev_b32_e32 v17, 16, v11
	s_waitcnt vmcnt(0)
	v_fma_mixlo_f16 v18, v28, v15, 0 op_sel_hi:[0,1,0]
	v_fma_mixlo_f16 v15, v28, v15, 0 op_sel:[0,1,0] op_sel_hi:[0,1,0]
	v_lshrrev_b32_e32 v21, 16, v12
	v_fma_mixlo_f16 v22, v28, v16, 0 op_sel_hi:[0,1,0]
	v_fma_mixlo_f16 v16, v28, v16, 0 op_sel:[0,1,0] op_sel_hi:[0,1,0]
	v_mul_f16_e32 v11, v11, v18
	v_mul_f16_e32 v15, v17, v15
	s_delay_alu instid0(VALU_DEP_4) | instskip(NEXT) | instid1(VALU_DEP_4)
	v_mul_f16_e32 v17, v12, v22
	v_mul_f16_e32 v16, v21, v16
	s_delay_alu instid0(VALU_DEP_4) | instskip(NEXT) | instid1(VALU_DEP_4)
	v_cvt_f32_f16_e64 v18, |v11|
	v_cvt_f32_f16_e64 v15, |v15|
	v_add_co_u32 v11, vcc_lo, s3, v13
	v_add_co_ci_u32_e32 v12, vcc_lo, s37, v14, vcc_lo
	v_cvt_f32_f16_e64 v13, |v17|
	v_cvt_f32_f16_e64 v14, |v16|
	v_max3_f32 v4, v4, v18, v15
	s_delay_alu instid0(VALU_DEP_4) | instskip(SKIP_1) | instid1(VALU_DEP_1)
	v_cmp_ge_i64_e32 vcc_lo, v[11:12], v[9:10]
	v_add_co_u32 v19, s3, v19, s20
	v_add_co_ci_u32_e64 v20, s3, s21, v20, s3
	s_delay_alu instid0(VALU_DEP_4)
	v_max3_f32 v4, v4, v13, v14
	s_or_not1_b32 s3, vcc_lo, exec_lo
	s_branch .LBB60_18
.LBB60_25:
	s_or_b32 exec_lo, exec_lo, s31
.LBB60_26:
	s_delay_alu instid0(SALU_CYCLE_1)
	s_or_b32 exec_lo, exec_lo, s9
	s_lshr_b32 s9, s28, 5
	v_lshlrev_b32_e32 v29, 2, v0
	v_cvt_f32_u32_e32 v9, s9
	s_sub_i32 s13, 0, s9
	s_add_i32 s20, s12, s9
	s_delay_alu instid0(SALU_CYCLE_1) | instskip(NEXT) | instid1(VALU_DEP_1)
	s_add_i32 s20, s20, -1
	v_rcp_iflag_f32_e32 v9, v9
	s_abs_i32 s21, s20
	s_ashr_i32 s20, s20, 31
	ds_store_b32 v29, v4
	s_waitcnt lgkmcnt(0)
	s_barrier
	buffer_gl0_inv
	v_mul_f32_e32 v9, 0x4f7ffffe, v9
	s_delay_alu instid0(VALU_DEP_1) | instskip(NEXT) | instid1(VALU_DEP_1)
	v_cvt_u32_f32_e32 v9, v9
	v_readfirstlane_b32 s3, v9
	s_delay_alu instid0(VALU_DEP_1) | instskip(NEXT) | instid1(SALU_CYCLE_1)
	s_mul_i32 s13, s13, s3
	s_mul_hi_u32 s13, s3, s13
	s_delay_alu instid0(SALU_CYCLE_1) | instskip(NEXT) | instid1(SALU_CYCLE_1)
	s_add_i32 s3, s3, s13
	s_mul_hi_u32 s3, s21, s3
	s_delay_alu instid0(SALU_CYCLE_1) | instskip(NEXT) | instid1(SALU_CYCLE_1)
	s_mul_i32 s13, s3, s9
	s_sub_i32 s13, s21, s13
	s_add_i32 s21, s3, 1
	s_sub_i32 s22, s13, s9
	s_cmp_ge_u32 s13, s9
	s_cselect_b32 s3, s21, s3
	s_cselect_b32 s13, s22, s13
	s_add_i32 s21, s3, 1
	s_cmp_ge_u32 s13, s9
	s_cselect_b32 s3, s21, s3
	s_delay_alu instid0(SALU_CYCLE_1) | instskip(NEXT) | instid1(SALU_CYCLE_1)
	s_xor_b32 s3, s3, s20
	s_sub_i32 s20, s3, s20
	s_delay_alu instid0(SALU_CYCLE_1) | instskip(NEXT) | instid1(SALU_CYCLE_1)
	s_ashr_i32 s21, s20, 31
	v_cmp_lt_i64_e64 s3, s[20:21], 1
	s_delay_alu instid0(VALU_DEP_1)
	s_and_b32 vcc_lo, exec_lo, s3
	s_cbranch_vccnz .LBB60_46
; %bb.27:
	v_lshrrev_b32_e32 v9, 5, v0
	v_and_b32_e32 v4, 31, v0
	s_ashr_i32 s13, s12, 31
	s_mov_b64 s[22:23], 0
	s_mov_b64 s[24:25], src_shared_base
	v_mul_lo_u32 v19, s18, v9
	v_add_co_u32 v11, s3, v4, 16
	s_delay_alu instid0(VALU_DEP_1) | instskip(SKIP_1) | instid1(VALU_DEP_1)
	v_add_co_ci_u32_e64 v12, null, 0, 0, s3
	v_add_co_u32 v13, s3, v4, 8
	v_add_co_ci_u32_e64 v14, null, 0, 0, s3
	v_add_co_u32 v15, s3, v4, 4
	v_dual_mov_b32 v10, 0 :: v_dual_lshlrev_b32 v21, 2, v19
	v_lshlrev_b32_e32 v22, 2, v4
	v_add_co_ci_u32_e64 v16, null, 0, 0, s3
	v_add_co_u32 v17, s3, v4, 2
	s_delay_alu instid0(VALU_DEP_1) | instskip(SKIP_1) | instid1(VALU_DEP_1)
	v_add_co_ci_u32_e64 v18, null, 0, 0, s3
	v_add_co_u32 v19, s3, v4, 1
	v_add_co_ci_u32_e64 v20, null, 0, 0, s3
	v_add3_u32 v30, v21, v22, 0x80
	s_mul_i32 s3, s18, s9
	s_delay_alu instid0(SALU_CYCLE_1)
	s_lshl_b32 s30, s3, 2
	s_branch .LBB60_30
.LBB60_28:                              ;   in Loop: Header=BB60_30 Depth=1
	s_or_b32 exec_lo, exec_lo, s3
	v_mov_b32_e32 v22, s25
	flat_load_b32 v21, v[21:22] glc dlc
	s_waitcnt vmcnt(0)
.LBB60_29:                              ;   in Loop: Header=BB60_30 Depth=1
	s_or_b32 exec_lo, exec_lo, s24
	s_add_u32 s22, s22, 1
	v_add_nc_u32_e32 v30, s30, v30
	s_addc_u32 s23, s23, 0
	s_delay_alu instid0(SALU_CYCLE_1)
	s_cmp_eq_u64 s[22:23], s[20:21]
	s_cbranch_scc1 .LBB60_46
.LBB60_30:                              ; =>This Loop Header: Depth=1
                                        ;     Child Loop BB60_33 Depth 2
	s_waitcnt lgkmcnt(0)
	v_mad_u64_u32 v[21:22], null, s22, s9, v[9:10]
	s_mov_b32 s24, exec_lo
	s_delay_alu instid0(VALU_DEP_1) | instskip(NEXT) | instid1(VALU_DEP_1)
	v_mad_u64_u32 v[23:24], null, s23, s9, v[22:23]
	v_mov_b32_e32 v22, v23
	s_delay_alu instid0(VALU_DEP_1)
	v_cmpx_gt_i64_e64 s[12:13], v[21:22]
	s_cbranch_execz .LBB60_29
; %bb.31:                               ;   in Loop: Header=BB60_30 Depth=1
	v_mul_lo_u32 v24, v22, s18
	v_mul_lo_u32 v25, v21, s19
	v_mad_u64_u32 v[22:23], null, v21, s18, 0
	s_delay_alu instid0(VALU_DEP_1) | instskip(NEXT) | instid1(VALU_DEP_2)
	v_add3_u32 v23, v23, v25, v24
	v_add_co_u32 v24, vcc_lo, v22, s18
	v_add_co_u32 v31, s3, v22, v4
	s_delay_alu instid0(VALU_DEP_3) | instskip(SKIP_2) | instid1(VALU_DEP_2)
	v_add_co_ci_u32_e32 v25, vcc_lo, s19, v23, vcc_lo
	v_add_co_ci_u32_e64 v21, s3, 0, v23, s3
	s_mov_b32 s3, exec_lo
	v_cmp_gt_i64_e32 vcc_lo, s[14:15], v[24:25]
	v_cndmask_b32_e32 v25, s15, v25, vcc_lo
	v_cndmask_b32_e32 v24, s14, v24, vcc_lo
	v_add_co_u32 v26, vcc_lo, v31, 32
	v_add_co_ci_u32_e32 v27, vcc_lo, 0, v21, vcc_lo
	v_lshlrev_b32_e32 v21, 2, v31
	s_delay_alu instid0(VALU_DEP_2)
	v_cmpx_lt_i64_e64 v[26:27], v[24:25]
	s_cbranch_execz .LBB60_34
; %bb.32:                               ;   in Loop: Header=BB60_30 Depth=1
	ds_load_b32 v33, v21
	v_mov_b32_e32 v32, v30
	s_mov_b32 s31, 0
.LBB60_33:                              ;   Parent Loop BB60_30 Depth=1
                                        ; =>  This Inner Loop Header: Depth=2
	ds_load_b32 v34, v32
	v_add_co_u32 v26, vcc_lo, v26, 32
	v_add_co_ci_u32_e32 v27, vcc_lo, 0, v27, vcc_lo
	s_waitcnt lgkmcnt(1)
	v_dual_max_f32 v33, v33, v33 :: v_dual_add_nc_u32 v32, 0x80, v32
	s_delay_alu instid0(VALU_DEP_2) | instskip(SKIP_3) | instid1(VALU_DEP_1)
	v_cmp_ge_i64_e32 vcc_lo, v[26:27], v[24:25]
	s_or_b32 s31, vcc_lo, s31
	s_waitcnt lgkmcnt(0)
	v_max_f32_e32 v34, v34, v34
	v_max_f32_e32 v33, v33, v34
	ds_store_b32 v21, v33
	s_and_not1_b32 exec_lo, exec_lo, s31
	s_cbranch_execnz .LBB60_33
.LBB60_34:                              ;   in Loop: Header=BB60_30 Depth=1
	s_or_b32 exec_lo, exec_lo, s3
	v_sub_co_u32 v22, vcc_lo, v24, v22
	v_sub_co_ci_u32_e32 v23, vcc_lo, v25, v23, vcc_lo
	s_mov_b32 s3, exec_lo
	s_delay_alu instid0(VALU_DEP_1) | instskip(SKIP_1) | instid1(VALU_DEP_1)
	v_cmp_gt_i64_e32 vcc_lo, 32, v[22:23]
	v_dual_cndmask_b32 v24, 0, v23 :: v_dual_cndmask_b32 v23, 32, v22
	v_cmpx_lt_i64_e64 v[11:12], v[23:24]
	s_cbranch_execz .LBB60_36
; %bb.35:                               ;   in Loop: Header=BB60_30 Depth=1
	v_dual_mov_b32 v22, s25 :: v_dual_add_nc_u32 v25, 64, v21
	v_mov_b32_e32 v26, s25
	flat_load_b32 v27, v[21:22] glc dlc
	s_waitcnt vmcnt(0)
	flat_load_b32 v25, v[25:26] glc dlc
	s_waitcnt vmcnt(0) lgkmcnt(0)
	v_dual_max_f32 v26, v27, v27 :: v_dual_max_f32 v25, v25, v25
	s_delay_alu instid0(VALU_DEP_1)
	v_max_f32_e32 v25, v26, v25
	flat_store_b32 v[21:22], v25 dlc
	s_waitcnt_vscnt null, 0x0
.LBB60_36:                              ;   in Loop: Header=BB60_30 Depth=1
	s_or_b32 exec_lo, exec_lo, s3
	s_delay_alu instid0(SALU_CYCLE_1)
	s_mov_b32 s3, exec_lo
	v_cmpx_lt_i64_e64 v[13:14], v[23:24]
	s_cbranch_execz .LBB60_38
; %bb.37:                               ;   in Loop: Header=BB60_30 Depth=1
	v_dual_mov_b32 v22, s25 :: v_dual_add_nc_u32 v25, 32, v21
	v_mov_b32_e32 v26, s25
	flat_load_b32 v27, v[21:22] glc dlc
	s_waitcnt vmcnt(0)
	flat_load_b32 v25, v[25:26] glc dlc
	s_waitcnt vmcnt(0) lgkmcnt(0)
	v_dual_max_f32 v26, v27, v27 :: v_dual_max_f32 v25, v25, v25
	s_delay_alu instid0(VALU_DEP_1)
	v_max_f32_e32 v25, v26, v25
	flat_store_b32 v[21:22], v25 dlc
	s_waitcnt_vscnt null, 0x0
.LBB60_38:                              ;   in Loop: Header=BB60_30 Depth=1
	s_or_b32 exec_lo, exec_lo, s3
	s_delay_alu instid0(SALU_CYCLE_1)
	s_mov_b32 s3, exec_lo
	v_cmpx_ge_i64_e64 v[15:16], v[23:24]
	s_xor_b32 s3, exec_lo, s3
; %bb.39:                               ;   in Loop: Header=BB60_30 Depth=1
                                        ; implicit-def: $vgpr21
; %bb.40:                               ;   in Loop: Header=BB60_30 Depth=1
	s_delay_alu instid0(SALU_CYCLE_1)
	s_and_not1_saveexec_b32 s3, s3
	s_cbranch_execz .LBB60_42
; %bb.41:                               ;   in Loop: Header=BB60_30 Depth=1
	v_dual_mov_b32 v22, s25 :: v_dual_add_nc_u32 v25, 16, v21
	v_mov_b32_e32 v26, s25
	flat_load_b32 v27, v[21:22] glc dlc
	s_waitcnt vmcnt(0)
	flat_load_b32 v25, v[25:26] glc dlc
	s_waitcnt vmcnt(0) lgkmcnt(0)
	v_dual_max_f32 v26, v27, v27 :: v_dual_max_f32 v25, v25, v25
	s_delay_alu instid0(VALU_DEP_1)
	v_max_f32_e32 v25, v26, v25
	flat_store_b32 v[21:22], v25 dlc
	s_waitcnt_vscnt null, 0x0
.LBB60_42:                              ;   in Loop: Header=BB60_30 Depth=1
	s_or_b32 exec_lo, exec_lo, s3
	v_lshlrev_b32_e32 v21, 2, v31
	s_mov_b32 s3, exec_lo
	v_cmpx_lt_i64_e64 v[17:18], v[23:24]
	s_cbranch_execz .LBB60_44
; %bb.43:                               ;   in Loop: Header=BB60_30 Depth=1
	s_delay_alu instid0(VALU_DEP_2)
	v_dual_mov_b32 v22, s25 :: v_dual_add_nc_u32 v25, 8, v21
	v_mov_b32_e32 v26, s25
	flat_load_b32 v27, v[21:22] glc dlc
	s_waitcnt vmcnt(0)
	flat_load_b32 v25, v[25:26] glc dlc
	s_waitcnt vmcnt(0) lgkmcnt(0)
	v_dual_max_f32 v26, v27, v27 :: v_dual_max_f32 v25, v25, v25
	s_delay_alu instid0(VALU_DEP_1)
	v_max_f32_e32 v25, v26, v25
	flat_store_b32 v[21:22], v25 dlc
	s_waitcnt_vscnt null, 0x0
.LBB60_44:                              ;   in Loop: Header=BB60_30 Depth=1
	s_or_b32 exec_lo, exec_lo, s3
	s_delay_alu instid0(SALU_CYCLE_1)
	s_mov_b32 s3, exec_lo
	v_cmpx_lt_i64_e64 v[19:20], v[23:24]
	s_cbranch_execz .LBB60_28
; %bb.45:                               ;   in Loop: Header=BB60_30 Depth=1
	v_dual_mov_b32 v22, s25 :: v_dual_add_nc_u32 v23, 4, v21
	v_mov_b32_e32 v24, s25
	flat_load_b32 v25, v[21:22] glc dlc
	s_waitcnt vmcnt(0)
	flat_load_b32 v23, v[23:24] glc dlc
	s_waitcnt vmcnt(0) lgkmcnt(0)
	v_dual_max_f32 v24, v25, v25 :: v_dual_max_f32 v23, v23, v23
	s_delay_alu instid0(VALU_DEP_1)
	v_max_f32_e32 v23, v24, v23
	flat_store_b32 v[21:22], v23 dlc
	s_waitcnt_vscnt null, 0x0
	s_branch .LBB60_28
.LBB60_46:
	s_load_b64 s[12:13], s[0:1], 0x40
	v_cmp_lt_i64_e32 vcc_lo, v[7:8], v[5:6]
	v_cmp_eq_u32_e64 s3, 0, v3
	s_waitcnt lgkmcnt(0)
	s_barrier
	buffer_gl0_inv
	s_and_b32 s9, s3, vcc_lo
	s_delay_alu instid0(SALU_CYCLE_1)
	s_and_saveexec_b32 s3, s9
	s_cbranch_execz .LBB60_53
; %bb.47:
	s_load_b64 s[0:1], s[0:1], 0x20
	ds_load_b32 v5, v29
	s_waitcnt lgkmcnt(0)
	s_cmp_eq_u64 s[0:1], 0
	s_cbranch_scc1 .LBB60_49
; %bb.48:
	s_load_b32 s0, s[0:1], 0x0
	v_max_f32_e32 v3, v5, v5
	s_waitcnt lgkmcnt(0)
	v_max_f32_e64 v4, s0, s0
	s_delay_alu instid0(VALU_DEP_1)
	v_min_f32_e32 v5, v3, v4
.LBB60_49:
	s_add_u32 s0, s12, s29
	s_addc_u32 s1, s13, 0
	s_add_u32 s18, s0, -1
	s_addc_u32 s19, s1, -1
	s_delay_alu instid0(SALU_CYCLE_1) | instskip(SKIP_1) | instid1(SALU_CYCLE_1)
	s_or_b64 s[20:21], s[18:19], s[12:13]
	s_mov_b32 s20, 0
	s_cmp_lg_u64 s[20:21], 0
	s_cbranch_scc0 .LBB60_162
; %bb.50:
	s_ashr_i32 s0, s13, 31
	s_delay_alu instid0(SALU_CYCLE_1) | instskip(SKIP_2) | instid1(SALU_CYCLE_1)
	s_add_u32 s22, s12, s0
	s_mov_b32 s1, s0
	s_addc_u32 s23, s13, s0
	s_xor_b64 s[0:1], s[22:23], s[0:1]
	s_delay_alu instid0(SALU_CYCLE_1) | instskip(SKIP_3) | instid1(VALU_DEP_1)
	v_cvt_f32_u32_e32 v3, s0
	v_cvt_f32_u32_e32 v4, s1
	s_sub_u32 s22, 0, s0
	s_subb_u32 s23, 0, s1
	v_fmamk_f32 v3, v4, 0x4f800000, v3
	s_delay_alu instid0(VALU_DEP_1) | instskip(SKIP_2) | instid1(VALU_DEP_1)
	v_rcp_f32_e32 v3, v3
	s_waitcnt_depctr 0xfff
	v_mul_f32_e32 v3, 0x5f7ffffc, v3
	v_mul_f32_e32 v4, 0x2f800000, v3
	s_delay_alu instid0(VALU_DEP_1) | instskip(NEXT) | instid1(VALU_DEP_1)
	v_trunc_f32_e32 v4, v4
	v_fmamk_f32 v3, v4, 0xcf800000, v3
	v_cvt_u32_f32_e32 v4, v4
	s_delay_alu instid0(VALU_DEP_2) | instskip(NEXT) | instid1(VALU_DEP_2)
	v_cvt_u32_f32_e32 v3, v3
	v_readfirstlane_b32 s9, v4
	s_delay_alu instid0(VALU_DEP_2) | instskip(NEXT) | instid1(VALU_DEP_2)
	v_readfirstlane_b32 s21, v3
	s_mul_i32 s24, s22, s9
	s_delay_alu instid0(VALU_DEP_1)
	s_mul_hi_u32 s30, s22, s21
	s_mul_i32 s25, s23, s21
	s_add_i32 s24, s30, s24
	s_mul_i32 s31, s22, s21
	s_add_i32 s24, s24, s25
	s_mul_hi_u32 s30, s21, s31
	s_mul_hi_u32 s33, s9, s31
	s_mul_i32 s25, s9, s31
	s_mul_hi_u32 s31, s21, s24
	s_mul_i32 s21, s21, s24
	s_mul_hi_u32 s34, s9, s24
	s_add_u32 s21, s30, s21
	s_addc_u32 s30, 0, s31
	s_add_u32 s21, s21, s25
	s_mul_i32 s24, s9, s24
	s_addc_u32 s21, s30, s33
	s_addc_u32 s25, s34, 0
	s_add_u32 s21, s21, s24
	s_addc_u32 s24, 0, s25
	v_add_co_u32 v3, s21, v3, s21
	s_delay_alu instid0(VALU_DEP_1) | instskip(SKIP_1) | instid1(VALU_DEP_1)
	s_cmp_lg_u32 s21, 0
	s_addc_u32 s9, s9, s24
	v_readfirstlane_b32 s21, v3
	s_mul_i32 s24, s22, s9
	s_delay_alu instid0(VALU_DEP_1)
	s_mul_hi_u32 s25, s22, s21
	s_mul_i32 s23, s23, s21
	s_add_i32 s24, s25, s24
	s_mul_i32 s22, s22, s21
	s_add_i32 s24, s24, s23
	s_mul_hi_u32 s25, s9, s22
	s_mul_i32 s30, s9, s22
	s_mul_hi_u32 s22, s21, s22
	s_mul_hi_u32 s31, s21, s24
	s_mul_i32 s21, s21, s24
	s_mul_hi_u32 s23, s9, s24
	s_add_u32 s21, s22, s21
	s_addc_u32 s22, 0, s31
	s_add_u32 s21, s21, s30
	s_mul_i32 s24, s9, s24
	s_addc_u32 s21, s22, s25
	s_addc_u32 s22, s23, 0
	s_add_u32 s21, s21, s24
	s_addc_u32 s22, 0, s22
	v_add_co_u32 v3, s21, v3, s21
	s_delay_alu instid0(VALU_DEP_1) | instskip(SKIP_2) | instid1(VALU_DEP_1)
	s_cmp_lg_u32 s21, 0
	s_addc_u32 s9, s9, s22
	s_ashr_i32 s22, s19, 31
	v_readfirstlane_b32 s21, v3
	s_add_u32 s24, s18, s22
	s_mov_b32 s23, s22
	s_addc_u32 s25, s19, s22
	s_delay_alu instid0(SALU_CYCLE_1) | instskip(NEXT) | instid1(SALU_CYCLE_1)
	s_xor_b64 s[24:25], s[24:25], s[22:23]
	s_mul_i32 s30, s24, s9
	s_mul_hi_u32 s31, s24, s21
	s_mul_hi_u32 s23, s24, s9
	;; [unrolled: 1-line block ×3, first 2 shown]
	s_mul_i32 s21, s25, s21
	s_add_u32 s30, s31, s30
	s_addc_u32 s23, 0, s23
	s_mul_hi_u32 s33, s25, s9
	s_add_u32 s21, s30, s21
	s_mul_i32 s9, s25, s9
	s_addc_u32 s21, s23, s34
	s_addc_u32 s23, s33, 0
	s_add_u32 s9, s21, s9
	s_addc_u32 s21, 0, s23
	s_mul_hi_u32 s23, s0, s9
	s_mul_i32 s21, s0, s21
	s_mul_i32 s30, s1, s9
	;; [unrolled: 1-line block ×3, first 2 shown]
	s_add_i32 s21, s23, s21
	v_sub_co_u32 v3, s9, s24, s9
	s_add_i32 s21, s21, s30
	s_delay_alu instid0(SALU_CYCLE_1) | instskip(SKIP_1) | instid1(VALU_DEP_1)
	s_sub_i32 s23, s25, s21
	s_cmp_lg_u32 s9, 0
	v_sub_co_u32 v4, s24, v3, s0
	s_subb_u32 s23, s23, s1
	s_cmp_lg_u32 s24, 0
	s_subb_u32 s30, s23, 0
	s_delay_alu instid0(VALU_DEP_1)
	v_cmp_le_u32_e32 vcc_lo, s0, v4
	s_cmp_ge_u32 s30, s1
	s_cselect_b32 s31, -1, 0
	s_cmp_eq_u32 s30, s1
	v_cndmask_b32_e64 v6, 0, -1, vcc_lo
	s_cselect_b32 vcc_lo, -1, 0
	s_cmp_lg_u32 s24, 0
	v_sub_co_u32 v7, s24, v4, s0
	s_subb_u32 s23, s23, s1
	s_cmp_lg_u32 s24, 0
	v_cndmask_b32_e32 v6, s31, v6, vcc_lo
	s_subb_u32 s23, s23, 0
	s_cmp_lg_u32 s9, 0
	v_cmp_le_u32_e32 vcc_lo, s0, v3
	s_subb_u32 s9, s25, s21
	s_delay_alu instid0(SALU_CYCLE_1)
	s_cmp_ge_u32 s9, s1
	v_cndmask_b32_e64 v8, 0, -1, vcc_lo
	s_cselect_b32 s21, -1, 0
	s_cmp_eq_u32 s9, s1
	v_cmp_ne_u32_e32 vcc_lo, 0, v6
	v_mov_b32_e32 v6, s23
	s_cselect_b32 s0, -1, 0
	s_delay_alu instid0(SALU_CYCLE_1) | instskip(SKIP_1) | instid1(VALU_DEP_3)
	v_cndmask_b32_e64 v8, s21, v8, s0
	v_cndmask_b32_e32 v4, v4, v7, vcc_lo
	v_cndmask_b32_e32 v6, s30, v6, vcc_lo
	s_delay_alu instid0(VALU_DEP_3) | instskip(NEXT) | instid1(VALU_DEP_3)
	v_cmp_ne_u32_e32 vcc_lo, 0, v8
	v_cndmask_b32_e32 v3, v3, v4, vcc_lo
	s_delay_alu instid0(VALU_DEP_3) | instskip(NEXT) | instid1(VALU_DEP_2)
	v_cndmask_b32_e32 v6, s9, v6, vcc_lo
	v_xor_b32_e32 v3, s22, v3
	s_delay_alu instid0(VALU_DEP_2) | instskip(NEXT) | instid1(VALU_DEP_2)
	v_xor_b32_e32 v4, s22, v6
	v_sub_co_u32 v3, vcc_lo, v3, s22
	s_delay_alu instid0(VALU_DEP_2)
	v_subrev_co_ci_u32_e32 v4, vcc_lo, s22, v4, vcc_lo
	s_and_not1_b32 vcc_lo, exec_lo, s20
	s_cbranch_vccnz .LBB60_52
.LBB60_51:
	v_cvt_f32_u32_e32 v3, s12
	s_sub_i32 s0, 0, s12
	s_delay_alu instid0(VALU_DEP_1) | instskip(SKIP_2) | instid1(VALU_DEP_1)
	v_rcp_iflag_f32_e32 v3, v3
	s_waitcnt_depctr 0xfff
	v_mul_f32_e32 v3, 0x4f7ffffe, v3
	v_cvt_u32_f32_e32 v3, v3
	s_delay_alu instid0(VALU_DEP_1) | instskip(NEXT) | instid1(VALU_DEP_1)
	v_mul_lo_u32 v4, s0, v3
	v_mul_hi_u32 v4, v3, v4
	s_delay_alu instid0(VALU_DEP_1) | instskip(NEXT) | instid1(VALU_DEP_1)
	v_add_nc_u32_e32 v3, v3, v4
	v_mul_hi_u32 v3, s18, v3
	s_delay_alu instid0(VALU_DEP_1) | instskip(NEXT) | instid1(VALU_DEP_1)
	v_mul_lo_u32 v3, v3, s12
	v_sub_nc_u32_e32 v3, s18, v3
	s_delay_alu instid0(VALU_DEP_1) | instskip(SKIP_1) | instid1(VALU_DEP_2)
	v_subrev_nc_u32_e32 v4, s12, v3
	v_cmp_le_u32_e32 vcc_lo, s12, v3
	v_cndmask_b32_e32 v3, v3, v4, vcc_lo
	s_delay_alu instid0(VALU_DEP_1) | instskip(SKIP_1) | instid1(VALU_DEP_2)
	v_subrev_nc_u32_e32 v4, s12, v3
	v_cmp_le_u32_e32 vcc_lo, s12, v3
	v_dual_cndmask_b32 v3, v3, v4 :: v_dual_mov_b32 v4, 0
.LBB60_52:
	v_div_scale_f32 v6, null, 0x43e00000, 0x43e00000, v5
	v_div_scale_f32 v9, vcc_lo, v5, 0x43e00000, v5
	s_delay_alu instid0(VALU_DEP_3) | instskip(NEXT) | instid1(VALU_DEP_3)
	v_sub_co_u32 v10, s0, s18, v3
	v_rcp_f32_e32 v7, v6
	v_sub_co_ci_u32_e64 v3, s0, s19, v4, s0
	s_lshl_b64 s[0:1], s[16:17], 2
	s_delay_alu instid0(SALU_CYCLE_1) | instskip(NEXT) | instid1(VALU_DEP_1)
	s_add_u32 s0, s0, s6
	v_mul_lo_u32 v11, v3, v1
	s_addc_u32 s1, s1, s7
	s_waitcnt_depctr 0xfff
	v_fma_f32 v8, -v6, v7, 1.0
	s_delay_alu instid0(VALU_DEP_1) | instskip(NEXT) | instid1(VALU_DEP_1)
	v_fmac_f32_e32 v7, v8, v7
	v_mul_f32_e32 v8, v9, v7
	s_delay_alu instid0(VALU_DEP_1) | instskip(NEXT) | instid1(VALU_DEP_1)
	v_fma_f32 v4, -v6, v8, v9
	v_fmac_f32_e32 v8, v4, v7
	v_mul_lo_u32 v4, v10, v2
	v_mad_u64_u32 v[2:3], null, v10, v1, 0
	s_delay_alu instid0(VALU_DEP_3) | instskip(NEXT) | instid1(VALU_DEP_2)
	v_fma_f32 v1, -v6, v8, v9
	v_add3_u32 v3, v3, v4, v11
	s_delay_alu instid0(VALU_DEP_2) | instskip(NEXT) | instid1(VALU_DEP_1)
	v_div_fmas_f32 v1, v1, v7, v8
	v_div_fixup_f32 v4, v1, 0x43e00000, v5
	s_delay_alu instid0(VALU_DEP_3) | instskip(NEXT) | instid1(VALU_DEP_2)
	v_lshlrev_b64 v[1:2], 2, v[2:3]
	v_max_f32_e32 v3, 0x36924925, v4
	s_delay_alu instid0(VALU_DEP_2) | instskip(NEXT) | instid1(VALU_DEP_3)
	v_add_co_u32 v1, vcc_lo, s0, v1
	v_add_co_ci_u32_e32 v2, vcc_lo, s1, v2, vcc_lo
	global_store_b32 v[1:2], v3, off
.LBB60_53:
	s_or_b32 exec_lo, exec_lo, s3
	s_waitcnt_vscnt null, 0x0
	s_barrier
	buffer_gl0_inv
	s_and_saveexec_b32 s0, s2
	s_cbranch_execz .LBB60_161
; %bb.54:
	s_add_u32 s0, s12, s29
	s_addc_u32 s1, s13, 0
	s_add_u32 s2, s0, -1
	s_addc_u32 s3, s1, -1
	s_delay_alu instid0(SALU_CYCLE_1) | instskip(SKIP_1) | instid1(SALU_CYCLE_1)
	s_or_b64 s[18:19], s[2:3], s[12:13]
	s_mov_b32 s18, 0
	s_cmp_lg_u64 s[18:19], 0
	s_cbranch_scc0 .LBB60_163
; %bb.55:
	s_ashr_i32 s0, s13, 31
	s_delay_alu instid0(SALU_CYCLE_1) | instskip(SKIP_2) | instid1(SALU_CYCLE_1)
	s_add_u32 s20, s12, s0
	s_mov_b32 s1, s0
	s_addc_u32 s21, s13, s0
	s_xor_b64 s[0:1], s[20:21], s[0:1]
	s_delay_alu instid0(SALU_CYCLE_1) | instskip(SKIP_3) | instid1(VALU_DEP_1)
	v_cvt_f32_u32_e32 v1, s0
	v_cvt_f32_u32_e32 v2, s1
	s_sub_u32 s19, 0, s0
	s_subb_u32 s20, 0, s1
	v_fmamk_f32 v1, v2, 0x4f800000, v1
	s_delay_alu instid0(VALU_DEP_1) | instskip(SKIP_2) | instid1(VALU_DEP_1)
	v_rcp_f32_e32 v1, v1
	s_waitcnt_depctr 0xfff
	v_mul_f32_e32 v1, 0x5f7ffffc, v1
	v_mul_f32_e32 v2, 0x2f800000, v1
	s_delay_alu instid0(VALU_DEP_1) | instskip(NEXT) | instid1(VALU_DEP_1)
	v_trunc_f32_e32 v2, v2
	v_fmamk_f32 v1, v2, 0xcf800000, v1
	v_cvt_u32_f32_e32 v2, v2
	s_delay_alu instid0(VALU_DEP_2) | instskip(NEXT) | instid1(VALU_DEP_2)
	v_cvt_u32_f32_e32 v1, v1
	v_readfirstlane_b32 s9, v2
	s_delay_alu instid0(VALU_DEP_2) | instskip(NEXT) | instid1(VALU_DEP_2)
	v_readfirstlane_b32 s13, v1
	s_mul_i32 s21, s19, s9
	s_delay_alu instid0(VALU_DEP_1)
	s_mul_hi_u32 s23, s19, s13
	s_mul_i32 s22, s20, s13
	s_add_i32 s21, s23, s21
	s_mul_i32 s24, s19, s13
	s_add_i32 s21, s21, s22
	s_mul_hi_u32 s23, s13, s24
	s_mul_hi_u32 s25, s9, s24
	s_mul_i32 s22, s9, s24
	s_mul_hi_u32 s24, s13, s21
	s_mul_i32 s13, s13, s21
	s_mul_hi_u32 s29, s9, s21
	s_add_u32 s13, s23, s13
	s_addc_u32 s23, 0, s24
	s_add_u32 s13, s13, s22
	s_mul_i32 s21, s9, s21
	s_addc_u32 s13, s23, s25
	s_addc_u32 s22, s29, 0
	s_add_u32 s13, s13, s21
	s_addc_u32 s21, 0, s22
	v_add_co_u32 v1, s13, v1, s13
	s_delay_alu instid0(VALU_DEP_1) | instskip(SKIP_1) | instid1(VALU_DEP_1)
	s_cmp_lg_u32 s13, 0
	s_addc_u32 s9, s9, s21
	v_readfirstlane_b32 s13, v1
	s_mul_i32 s21, s19, s9
	s_delay_alu instid0(VALU_DEP_1)
	s_mul_hi_u32 s22, s19, s13
	s_mul_i32 s20, s20, s13
	s_add_i32 s21, s22, s21
	s_mul_i32 s19, s19, s13
	s_add_i32 s21, s21, s20
	s_mul_hi_u32 s22, s9, s19
	s_mul_i32 s23, s9, s19
	s_mul_hi_u32 s19, s13, s19
	s_mul_hi_u32 s24, s13, s21
	s_mul_i32 s13, s13, s21
	s_mul_hi_u32 s20, s9, s21
	s_add_u32 s13, s19, s13
	s_addc_u32 s19, 0, s24
	s_add_u32 s13, s13, s23
	s_mul_i32 s21, s9, s21
	s_addc_u32 s13, s19, s22
	s_addc_u32 s19, s20, 0
	s_add_u32 s13, s13, s21
	s_addc_u32 s19, 0, s19
	v_add_co_u32 v1, s13, v1, s13
	s_delay_alu instid0(VALU_DEP_1) | instskip(SKIP_2) | instid1(VALU_DEP_1)
	s_cmp_lg_u32 s13, 0
	s_addc_u32 s9, s9, s19
	s_ashr_i32 s20, s3, 31
	v_readfirstlane_b32 s13, v1
	s_add_u32 s22, s2, s20
	s_mov_b32 s21, s20
	s_addc_u32 s23, s3, s20
	s_delay_alu instid0(SALU_CYCLE_1) | instskip(NEXT) | instid1(SALU_CYCLE_1)
	s_xor_b64 s[22:23], s[22:23], s[20:21]
	s_mul_i32 s21, s22, s9
	s_mul_hi_u32 s24, s22, s13
	s_mul_hi_u32 s19, s22, s9
	;; [unrolled: 1-line block ×3, first 2 shown]
	s_mul_i32 s13, s23, s13
	s_add_u32 s21, s24, s21
	s_addc_u32 s19, 0, s19
	s_mul_hi_u32 s25, s23, s9
	s_add_u32 s13, s21, s13
	s_mul_i32 s9, s23, s9
	s_addc_u32 s13, s19, s29
	s_addc_u32 s19, s25, 0
	s_add_u32 s9, s13, s9
	s_addc_u32 s13, 0, s19
	s_mul_hi_u32 s19, s0, s9
	s_mul_i32 s13, s0, s13
	s_mul_i32 s21, s1, s9
	s_mul_i32 s9, s0, s9
	s_add_i32 s13, s19, s13
	v_sub_co_u32 v1, s9, s22, s9
	s_add_i32 s13, s13, s21
	s_delay_alu instid0(SALU_CYCLE_1) | instskip(SKIP_1) | instid1(VALU_DEP_1)
	s_sub_i32 s19, s23, s13
	s_cmp_lg_u32 s9, 0
	v_sub_co_u32 v2, s21, v1, s0
	s_subb_u32 s19, s19, s1
	s_cmp_lg_u32 s21, 0
	s_subb_u32 s22, s19, 0
	s_delay_alu instid0(VALU_DEP_1)
	v_cmp_le_u32_e32 vcc_lo, s0, v2
	s_cmp_ge_u32 s22, s1
	s_cselect_b32 s24, -1, 0
	s_cmp_eq_u32 s22, s1
	v_cndmask_b32_e64 v3, 0, -1, vcc_lo
	s_cselect_b32 vcc_lo, -1, 0
	s_cmp_lg_u32 s21, 0
	v_sub_co_u32 v4, s21, v2, s0
	s_subb_u32 s19, s19, s1
	s_cmp_lg_u32 s21, 0
	v_cndmask_b32_e32 v3, s24, v3, vcc_lo
	s_subb_u32 s19, s19, 0
	s_cmp_lg_u32 s9, 0
	v_cmp_le_u32_e32 vcc_lo, s0, v1
	s_subb_u32 s9, s23, s13
	s_delay_alu instid0(SALU_CYCLE_1)
	s_cmp_ge_u32 s9, s1
	v_cndmask_b32_e64 v5, 0, -1, vcc_lo
	s_cselect_b32 s13, -1, 0
	s_cmp_eq_u32 s9, s1
	v_cmp_ne_u32_e32 vcc_lo, 0, v3
	v_mov_b32_e32 v3, s19
	s_cselect_b32 s0, -1, 0
	s_delay_alu instid0(SALU_CYCLE_1) | instskip(SKIP_1) | instid1(VALU_DEP_3)
	v_cndmask_b32_e64 v5, s13, v5, s0
	v_cndmask_b32_e32 v2, v2, v4, vcc_lo
	v_cndmask_b32_e32 v3, s22, v3, vcc_lo
	s_delay_alu instid0(VALU_DEP_3) | instskip(NEXT) | instid1(VALU_DEP_3)
	v_cmp_ne_u32_e32 vcc_lo, 0, v5
	v_cndmask_b32_e32 v1, v1, v2, vcc_lo
	s_delay_alu instid0(VALU_DEP_3) | instskip(NEXT) | instid1(VALU_DEP_2)
	v_cndmask_b32_e32 v3, s9, v3, vcc_lo
	v_xor_b32_e32 v1, s20, v1
	s_delay_alu instid0(VALU_DEP_2) | instskip(NEXT) | instid1(VALU_DEP_2)
	v_xor_b32_e32 v2, s20, v3
	v_sub_co_u32 v1, vcc_lo, v1, s20
	s_delay_alu instid0(VALU_DEP_2)
	v_subrev_co_ci_u32_e32 v2, vcc_lo, s20, v2, vcc_lo
	s_and_not1_b32 vcc_lo, exec_lo, s18
	s_cbranch_vccnz .LBB60_57
.LBB60_56:
	v_cvt_f32_u32_e32 v1, s12
	s_sub_i32 s0, 0, s12
	s_delay_alu instid0(VALU_DEP_1) | instskip(SKIP_2) | instid1(VALU_DEP_1)
	v_rcp_iflag_f32_e32 v1, v1
	s_waitcnt_depctr 0xfff
	v_mul_f32_e32 v1, 0x4f7ffffe, v1
	v_cvt_u32_f32_e32 v1, v1
	s_delay_alu instid0(VALU_DEP_1) | instskip(NEXT) | instid1(VALU_DEP_1)
	v_mul_lo_u32 v2, s0, v1
	v_mul_hi_u32 v2, v1, v2
	s_delay_alu instid0(VALU_DEP_1) | instskip(NEXT) | instid1(VALU_DEP_1)
	v_add_nc_u32_e32 v1, v1, v2
	v_mul_hi_u32 v1, s2, v1
	s_delay_alu instid0(VALU_DEP_1) | instskip(NEXT) | instid1(VALU_DEP_1)
	v_mul_lo_u32 v1, v1, s12
	v_sub_nc_u32_e32 v1, s2, v1
	s_delay_alu instid0(VALU_DEP_1) | instskip(SKIP_1) | instid1(VALU_DEP_2)
	v_subrev_nc_u32_e32 v2, s12, v1
	v_cmp_le_u32_e32 vcc_lo, s12, v1
	v_cndmask_b32_e32 v1, v1, v2, vcc_lo
	s_delay_alu instid0(VALU_DEP_1) | instskip(SKIP_1) | instid1(VALU_DEP_2)
	v_subrev_nc_u32_e32 v2, s12, v1
	v_cmp_le_u32_e32 vcc_lo, s12, v1
	v_dual_cndmask_b32 v1, v1, v2 :: v_dual_mov_b32 v2, 0
.LBB60_57:
	s_mul_i32 s0, s15, s16
	s_mul_hi_u32 s1, s14, s16
	s_mul_i32 s9, s14, s16
	s_add_i32 s1, s1, s0
	v_sub_co_u32 v9, vcc_lo, s2, v1
	s_add_u32 s0, s4, s9
	s_addc_u32 s1, s5, s1
	s_lshl_b64 s[4:5], s[16:17], 2
	v_sub_co_ci_u32_e32 v10, vcc_lo, s3, v2, vcc_lo
	v_mov_b32_e32 v1, 0
	s_add_u32 s4, s6, s4
	s_addc_u32 s5, s7, s5
	s_mul_i32 s2, s28, 3
	s_lshl_b32 s3, s28, 1
	s_mov_b32 s6, 0
	s_mov_b32 s7, 0x43e00000
	s_add_i32 s9, s28, s28
	s_branch .LBB60_63
.LBB60_58:                              ;   in Loop: Header=BB60_63 Depth=1
	s_or_b32 exec_lo, exec_lo, s16
.LBB60_59:                              ;   in Loop: Header=BB60_63 Depth=1
	s_delay_alu instid0(SALU_CYCLE_1)
	s_or_b32 exec_lo, exec_lo, s15
	v_lshrrev_b32_e32 v6, 24, v14
	v_lshrrev_b32_e32 v3, 24, v3
	v_and_b32_e32 v12, 0x80000000, v4
	v_lshrrev_b32_e32 v11, 24, v11
	v_lshlrev_b32_e32 v5, 24, v5
	v_and_b32_e32 v6, 0x80, v6
	v_and_b32_e32 v3, 0x80, v3
	;; [unrolled: 1-line block ×3, first 2 shown]
	s_delay_alu instid0(VALU_DEP_3) | instskip(NEXT) | instid1(VALU_DEP_3)
	v_and_or_b32 v6, 0xff, v13, v6
	v_and_or_b32 v7, 0xff, v7, v3
	v_lshlrev_b64 v[3:4], 2, v[0:1]
	v_add3_u32 v0, s9, s28, v2
	v_and_or_b32 v8, 0x80, v11, v8
	v_lshlrev_b32_e32 v6, 16, v6
	v_lshlrev_b32_e32 v7, 8, v7
	v_add_co_u32 v2, vcc_lo, s0, v3
	s_delay_alu instid0(VALU_DEP_3) | instskip(SKIP_2) | instid1(VALU_DEP_3)
	v_or3_b32 v5, v12, v5, v6
	v_add_co_ci_u32_e32 v3, vcc_lo, s1, v4, vcc_lo
	v_cmp_le_u32_e32 vcc_lo, s8, v0
	v_or3_b32 v4, v5, v7, v8
	s_or_not1_b32 s15, vcc_lo, exec_lo
	global_store_b32 v[2:3], v4, off
.LBB60_60:                              ;   in Loop: Header=BB60_63 Depth=1
	s_or_b32 exec_lo, exec_lo, s14
	s_delay_alu instid0(SALU_CYCLE_1)
	s_or_not1_b32 s14, s15, exec_lo
.LBB60_61:                              ;   in Loop: Header=BB60_63 Depth=1
	s_or_b32 exec_lo, exec_lo, s13
	s_delay_alu instid0(SALU_CYCLE_1)
	s_or_not1_b32 s13, s14, exec_lo
.LBB60_62:                              ;   in Loop: Header=BB60_63 Depth=1
	s_or_b32 exec_lo, exec_lo, s12
	s_delay_alu instid0(SALU_CYCLE_1) | instskip(NEXT) | instid1(SALU_CYCLE_1)
	s_and_b32 s12, exec_lo, s13
	s_or_b32 s6, s12, s6
	s_delay_alu instid0(SALU_CYCLE_1)
	s_and_not1_b32 exec_lo, exec_lo, s6
	s_cbranch_execz .LBB60_161
.LBB60_63:                              ; =>This Inner Loop Header: Depth=1
	v_bfe_u32 v3, v0, 4, 26
	v_lshlrev_b64 v[6:7], 3, v[0:1]
	s_mov_b32 s12, exec_lo
	s_delay_alu instid0(VALU_DEP_2) | instskip(NEXT) | instid1(VALU_DEP_1)
	v_mad_u64_u32 v[4:5], null, v9, v3, 0
	v_mov_b32_e32 v2, v5
	s_delay_alu instid0(VALU_DEP_1) | instskip(NEXT) | instid1(VALU_DEP_4)
	v_mad_u64_u32 v[11:12], null, v10, v3, v[2:3]
	v_add_co_u32 v2, vcc_lo, s26, v6
	v_add_co_ci_u32_e32 v3, vcc_lo, s27, v7, vcc_lo
	v_add_co_u32 v6, vcc_lo, s10, v6
	s_delay_alu instid0(VALU_DEP_4)
	v_mov_b32_e32 v5, v11
	v_add_co_ci_u32_e32 v7, vcc_lo, s11, v7, vcc_lo
	global_load_b64 v[2:3], v[2:3], off
	v_lshlrev_b64 v[11:12], 2, v[4:5]
	global_load_b64 v[4:5], v[6:7], off
	v_add_co_u32 v6, vcc_lo, s4, v11
	v_add_co_ci_u32_e32 v7, vcc_lo, s5, v12, vcc_lo
	global_load_b32 v11, v[6:7], off
	s_waitcnt vmcnt(2)
	v_fma_mixlo_f16 v6, v28, v2, 0 op_sel_hi:[0,1,0]
	s_waitcnt vmcnt(1)
	s_delay_alu instid0(VALU_DEP_1) | instskip(NEXT) | instid1(VALU_DEP_1)
	v_mul_f16_e32 v6, v4, v6
	v_cvt_f32_f16_e32 v6, v6
	s_waitcnt vmcnt(0)
	s_delay_alu instid0(VALU_DEP_1) | instskip(SKIP_1) | instid1(VALU_DEP_2)
	v_div_scale_f32 v7, null, v11, v11, v6
	v_div_scale_f32 v13, vcc_lo, v6, v11, v6
	v_rcp_f32_e32 v8, v7
	s_waitcnt_depctr 0xfff
	v_fma_f32 v12, -v7, v8, 1.0
	s_delay_alu instid0(VALU_DEP_1) | instskip(NEXT) | instid1(VALU_DEP_1)
	v_fmac_f32_e32 v8, v12, v8
	v_mul_f32_e32 v12, v13, v8
	s_delay_alu instid0(VALU_DEP_1) | instskip(NEXT) | instid1(VALU_DEP_1)
	v_fma_f32 v14, -v7, v12, v13
	v_fmac_f32_e32 v12, v14, v8
	s_delay_alu instid0(VALU_DEP_1) | instskip(NEXT) | instid1(VALU_DEP_1)
	v_fma_f32 v7, -v7, v12, v13
	v_div_fmas_f32 v7, v7, v8, v12
	s_delay_alu instid0(VALU_DEP_1) | instskip(SKIP_1) | instid1(VALU_DEP_2)
	v_div_fixup_f32 v6, v7, v11, v6
	v_mov_b32_e32 v7, 0x7f
	v_minmax_f32 v8, v6, s7, 0xc3e00000
	v_mov_b32_e32 v6, 0x7f
	s_delay_alu instid0(VALU_DEP_2) | instskip(NEXT) | instid1(VALU_DEP_1)
	v_and_b32_e32 v12, 0x7fffffff, v8
	v_cmpx_gt_u32_e32 0x43f00000, v12
	s_cbranch_execz .LBB60_69
; %bb.64:                               ;   in Loop: Header=BB60_63 Depth=1
	s_mov_b32 s13, exec_lo
                                        ; implicit-def: $vgpr7
	v_cmpx_lt_u32_e32 0x3c7fffff, v12
	s_xor_b32 s13, exec_lo, s13
; %bb.65:                               ;   in Loop: Header=BB60_63 Depth=1
	v_bfe_u32 v7, v8, 20, 1
	s_delay_alu instid0(VALU_DEP_1) | instskip(NEXT) | instid1(VALU_DEP_1)
	v_add3_u32 v7, v8, v7, 0x407ffff
	v_lshrrev_b32_e32 v7, 20, v7
; %bb.66:                               ;   in Loop: Header=BB60_63 Depth=1
	s_and_not1_saveexec_b32 s13, s13
; %bb.67:                               ;   in Loop: Header=BB60_63 Depth=1
	v_add_f32_e64 v7, 0x46800000, |v8|
; %bb.68:                               ;   in Loop: Header=BB60_63 Depth=1
	s_or_b32 exec_lo, exec_lo, s13
.LBB60_69:                              ;   in Loop: Header=BB60_63 Depth=1
	s_delay_alu instid0(SALU_CYCLE_1) | instskip(SKIP_3) | instid1(VALU_DEP_1)
	s_or_b32 exec_lo, exec_lo, s12
	v_lshrrev_b32_e32 v4, 16, v4
	v_fma_mixlo_f16 v2, v28, v2, 0 op_sel:[0,1,0] op_sel_hi:[0,1,0]
	s_mov_b32 s12, exec_lo
	v_mul_f16_e32 v2, v4, v2
	s_delay_alu instid0(VALU_DEP_1) | instskip(NEXT) | instid1(VALU_DEP_1)
	v_cvt_f32_f16_e32 v2, v2
	v_div_scale_f32 v4, null, v11, v11, v2
	s_delay_alu instid0(VALU_DEP_1) | instskip(SKIP_2) | instid1(VALU_DEP_1)
	v_rcp_f32_e32 v12, v4
	s_waitcnt_depctr 0xfff
	v_fma_f32 v13, -v4, v12, 1.0
	v_fmac_f32_e32 v12, v13, v12
	v_div_scale_f32 v13, vcc_lo, v2, v11, v2
	s_delay_alu instid0(VALU_DEP_1) | instskip(NEXT) | instid1(VALU_DEP_1)
	v_mul_f32_e32 v14, v13, v12
	v_fma_f32 v15, -v4, v14, v13
	s_delay_alu instid0(VALU_DEP_1) | instskip(NEXT) | instid1(VALU_DEP_1)
	v_fmac_f32_e32 v14, v15, v12
	v_fma_f32 v4, -v4, v14, v13
	s_delay_alu instid0(VALU_DEP_1) | instskip(NEXT) | instid1(VALU_DEP_1)
	v_div_fmas_f32 v4, v4, v12, v14
	v_div_fixup_f32 v2, v4, v11, v2
	s_delay_alu instid0(VALU_DEP_1) | instskip(NEXT) | instid1(VALU_DEP_1)
	v_minmax_f32 v2, v2, s7, 0xc3e00000
	v_and_b32_e32 v4, 0x7fffffff, v2
	s_delay_alu instid0(VALU_DEP_1)
	v_cmpx_gt_u32_e32 0x43f00000, v4
	s_cbranch_execz .LBB60_75
; %bb.70:                               ;   in Loop: Header=BB60_63 Depth=1
	s_mov_b32 s13, exec_lo
                                        ; implicit-def: $vgpr6
	v_cmpx_lt_u32_e32 0x3c7fffff, v4
	s_xor_b32 s13, exec_lo, s13
; %bb.71:                               ;   in Loop: Header=BB60_63 Depth=1
	v_bfe_u32 v4, v2, 20, 1
	s_delay_alu instid0(VALU_DEP_1) | instskip(NEXT) | instid1(VALU_DEP_1)
	v_add3_u32 v4, v2, v4, 0x407ffff
	v_lshrrev_b32_e32 v6, 20, v4
; %bb.72:                               ;   in Loop: Header=BB60_63 Depth=1
	s_and_not1_saveexec_b32 s13, s13
; %bb.73:                               ;   in Loop: Header=BB60_63 Depth=1
	v_add_f32_e64 v6, 0x46800000, |v2|
; %bb.74:                               ;   in Loop: Header=BB60_63 Depth=1
	s_or_b32 exec_lo, exec_lo, s13
.LBB60_75:                              ;   in Loop: Header=BB60_63 Depth=1
	s_delay_alu instid0(SALU_CYCLE_1) | instskip(SKIP_2) | instid1(VALU_DEP_1)
	s_or_b32 exec_lo, exec_lo, s12
	v_fma_mixlo_f16 v4, v28, v3, 0 op_sel_hi:[0,1,0]
	s_mov_b32 s12, exec_lo
	v_mul_f16_e32 v4, v5, v4
	s_delay_alu instid0(VALU_DEP_1) | instskip(NEXT) | instid1(VALU_DEP_1)
	v_cvt_f32_f16_e32 v4, v4
	v_div_scale_f32 v12, null, v11, v11, v4
	v_div_scale_f32 v15, vcc_lo, v4, v11, v4
	s_delay_alu instid0(VALU_DEP_2) | instskip(SKIP_2) | instid1(VALU_DEP_1)
	v_rcp_f32_e32 v13, v12
	s_waitcnt_depctr 0xfff
	v_fma_f32 v14, -v12, v13, 1.0
	v_fmac_f32_e32 v13, v14, v13
	s_delay_alu instid0(VALU_DEP_1) | instskip(NEXT) | instid1(VALU_DEP_1)
	v_mul_f32_e32 v14, v15, v13
	v_fma_f32 v16, -v12, v14, v15
	s_delay_alu instid0(VALU_DEP_1) | instskip(NEXT) | instid1(VALU_DEP_1)
	v_fmac_f32_e32 v14, v16, v13
	v_fma_f32 v12, -v12, v14, v15
	s_delay_alu instid0(VALU_DEP_1) | instskip(NEXT) | instid1(VALU_DEP_1)
	v_div_fmas_f32 v12, v12, v13, v14
	v_div_fixup_f32 v4, v12, v11, v4
	v_mov_b32_e32 v12, 0x7f
	s_delay_alu instid0(VALU_DEP_2) | instskip(SKIP_1) | instid1(VALU_DEP_2)
	v_minmax_f32 v13, v4, s7, 0xc3e00000
	v_mov_b32_e32 v4, 0x7f
	v_and_b32_e32 v14, 0x7fffffff, v13
	s_delay_alu instid0(VALU_DEP_1)
	v_cmpx_gt_u32_e32 0x43f00000, v14
	s_cbranch_execz .LBB60_81
; %bb.76:                               ;   in Loop: Header=BB60_63 Depth=1
	s_mov_b32 s13, exec_lo
                                        ; implicit-def: $vgpr12
	v_cmpx_lt_u32_e32 0x3c7fffff, v14
	s_xor_b32 s13, exec_lo, s13
; %bb.77:                               ;   in Loop: Header=BB60_63 Depth=1
	v_bfe_u32 v12, v13, 20, 1
	s_delay_alu instid0(VALU_DEP_1) | instskip(NEXT) | instid1(VALU_DEP_1)
	v_add3_u32 v12, v13, v12, 0x407ffff
	v_lshrrev_b32_e32 v12, 20, v12
; %bb.78:                               ;   in Loop: Header=BB60_63 Depth=1
	s_and_not1_saveexec_b32 s13, s13
; %bb.79:                               ;   in Loop: Header=BB60_63 Depth=1
	v_add_f32_e64 v12, 0x46800000, |v13|
; %bb.80:                               ;   in Loop: Header=BB60_63 Depth=1
	s_or_b32 exec_lo, exec_lo, s13
.LBB60_81:                              ;   in Loop: Header=BB60_63 Depth=1
	s_delay_alu instid0(SALU_CYCLE_1) | instskip(SKIP_3) | instid1(VALU_DEP_1)
	s_or_b32 exec_lo, exec_lo, s12
	v_lshrrev_b32_e32 v5, 16, v5
	v_fma_mixlo_f16 v3, v28, v3, 0 op_sel:[0,1,0] op_sel_hi:[0,1,0]
	s_mov_b32 s12, exec_lo
	v_mul_f16_e32 v3, v5, v3
	s_delay_alu instid0(VALU_DEP_1) | instskip(NEXT) | instid1(VALU_DEP_1)
	v_cvt_f32_f16_e32 v3, v3
	v_div_scale_f32 v5, null, v11, v11, v3
	s_delay_alu instid0(VALU_DEP_1) | instskip(SKIP_2) | instid1(VALU_DEP_1)
	v_rcp_f32_e32 v14, v5
	s_waitcnt_depctr 0xfff
	v_fma_f32 v15, -v5, v14, 1.0
	v_fmac_f32_e32 v14, v15, v14
	v_div_scale_f32 v15, vcc_lo, v3, v11, v3
	s_delay_alu instid0(VALU_DEP_1) | instskip(NEXT) | instid1(VALU_DEP_1)
	v_mul_f32_e32 v16, v15, v14
	v_fma_f32 v17, -v5, v16, v15
	s_delay_alu instid0(VALU_DEP_1) | instskip(NEXT) | instid1(VALU_DEP_1)
	v_fmac_f32_e32 v16, v17, v14
	v_fma_f32 v5, -v5, v16, v15
	s_delay_alu instid0(VALU_DEP_1) | instskip(NEXT) | instid1(VALU_DEP_1)
	v_div_fmas_f32 v5, v5, v14, v16
	v_div_fixup_f32 v3, v5, v11, v3
	s_delay_alu instid0(VALU_DEP_1) | instskip(NEXT) | instid1(VALU_DEP_1)
	v_minmax_f32 v3, v3, s7, 0xc3e00000
	v_and_b32_e32 v5, 0x7fffffff, v3
	s_delay_alu instid0(VALU_DEP_1)
	v_cmpx_gt_u32_e32 0x43f00000, v5
	s_cbranch_execz .LBB60_87
; %bb.82:                               ;   in Loop: Header=BB60_63 Depth=1
	s_mov_b32 s13, exec_lo
                                        ; implicit-def: $vgpr4
	v_cmpx_lt_u32_e32 0x3c7fffff, v5
	s_xor_b32 s13, exec_lo, s13
; %bb.83:                               ;   in Loop: Header=BB60_63 Depth=1
	v_bfe_u32 v4, v3, 20, 1
	s_delay_alu instid0(VALU_DEP_1) | instskip(NEXT) | instid1(VALU_DEP_1)
	v_add3_u32 v4, v3, v4, 0x407ffff
	v_lshrrev_b32_e32 v4, 20, v4
; %bb.84:                               ;   in Loop: Header=BB60_63 Depth=1
	s_and_not1_saveexec_b32 s13, s13
; %bb.85:                               ;   in Loop: Header=BB60_63 Depth=1
	v_add_f32_e64 v4, 0x46800000, |v3|
; %bb.86:                               ;   in Loop: Header=BB60_63 Depth=1
	s_or_b32 exec_lo, exec_lo, s13
.LBB60_87:                              ;   in Loop: Header=BB60_63 Depth=1
	s_delay_alu instid0(SALU_CYCLE_1)
	s_or_b32 exec_lo, exec_lo, s12
	v_lshrrev_b32_e32 v5, 24, v13
	v_lshrrev_b32_e32 v2, 24, v2
	;; [unrolled: 1-line block ×3, first 2 shown]
	v_lshlrev_b32_e32 v11, 24, v4
	v_and_b32_e32 v7, 0xff, v7
	v_and_b32_e32 v5, 0x80, v5
	;; [unrolled: 1-line block ×3, first 2 shown]
	s_mov_b32 s13, -1
	s_mov_b32 s12, exec_lo
	s_delay_alu instid0(VALU_DEP_2)
	v_and_or_b32 v5, 0xff, v12, v5
	v_and_b32_e32 v12, 0x80000000, v3
	v_and_or_b32 v2, 0xff, v6, v2
	v_lshlrev_b64 v[3:4], 2, v[0:1]
	v_and_or_b32 v6, 0x80, v8, v7
	v_lshlrev_b32_e32 v5, 16, v5
	s_delay_alu instid0(VALU_DEP_4) | instskip(SKIP_2) | instid1(VALU_DEP_4)
	v_lshlrev_b32_e32 v7, 8, v2
	v_add_nc_u32_e32 v2, s28, v0
	v_add_co_u32 v3, vcc_lo, s0, v3
	v_or3_b32 v5, v12, v11, v5
	v_add_co_ci_u32_e32 v4, vcc_lo, s1, v4, vcc_lo
	s_delay_alu instid0(VALU_DEP_2)
	v_or3_b32 v5, v5, v7, v6
	global_store_b32 v[3:4], v5, off
	v_cmpx_gt_u32_e64 s8, v2
	s_cbranch_execz .LBB60_62
; %bb.88:                               ;   in Loop: Header=BB60_63 Depth=1
	v_bfe_u32 v5, v2, 4, 26
	s_mov_b32 s13, exec_lo
	s_delay_alu instid0(VALU_DEP_1) | instskip(NEXT) | instid1(VALU_DEP_1)
	v_mad_u64_u32 v[6:7], null, v9, v5, 0
	v_dual_mov_b32 v3, v1 :: v_dual_mov_b32 v4, v7
	s_delay_alu instid0(VALU_DEP_1) | instskip(NEXT) | instid1(VALU_DEP_2)
	v_lshlrev_b64 v[11:12], 3, v[2:3]
	v_mad_u64_u32 v[7:8], null, v10, v5, v[4:5]
	s_delay_alu instid0(VALU_DEP_2) | instskip(NEXT) | instid1(VALU_DEP_3)
	v_add_co_u32 v4, vcc_lo, s26, v11
	v_add_co_ci_u32_e32 v5, vcc_lo, s27, v12, vcc_lo
	v_add_co_u32 v11, vcc_lo, s10, v11
	v_add_co_ci_u32_e32 v12, vcc_lo, s11, v12, vcc_lo
	global_load_b64 v[4:5], v[4:5], off
	v_lshlrev_b64 v[13:14], 2, v[6:7]
	global_load_b64 v[6:7], v[11:12], off
	v_add_co_u32 v11, vcc_lo, s4, v13
	v_add_co_ci_u32_e32 v12, vcc_lo, s5, v14, vcc_lo
	global_load_b32 v13, v[11:12], off
	s_waitcnt vmcnt(2)
	v_fma_mixlo_f16 v8, v28, v4, 0 op_sel_hi:[0,1,0]
	s_waitcnt vmcnt(1)
	s_delay_alu instid0(VALU_DEP_1) | instskip(NEXT) | instid1(VALU_DEP_1)
	v_mul_f16_e32 v8, v6, v8
	v_cvt_f32_f16_e32 v8, v8
	s_waitcnt vmcnt(0)
	s_delay_alu instid0(VALU_DEP_1) | instskip(SKIP_1) | instid1(VALU_DEP_2)
	v_div_scale_f32 v11, null, v13, v13, v8
	v_div_scale_f32 v15, vcc_lo, v8, v13, v8
	v_rcp_f32_e32 v12, v11
	s_waitcnt_depctr 0xfff
	v_fma_f32 v14, -v11, v12, 1.0
	s_delay_alu instid0(VALU_DEP_1) | instskip(NEXT) | instid1(VALU_DEP_1)
	v_fmac_f32_e32 v12, v14, v12
	v_mul_f32_e32 v14, v15, v12
	s_delay_alu instid0(VALU_DEP_1) | instskip(NEXT) | instid1(VALU_DEP_1)
	v_fma_f32 v16, -v11, v14, v15
	v_fmac_f32_e32 v14, v16, v12
	s_delay_alu instid0(VALU_DEP_1) | instskip(NEXT) | instid1(VALU_DEP_1)
	v_fma_f32 v11, -v11, v14, v15
	v_div_fmas_f32 v11, v11, v12, v14
	s_delay_alu instid0(VALU_DEP_1) | instskip(SKIP_1) | instid1(VALU_DEP_2)
	v_div_fixup_f32 v8, v11, v13, v8
	v_mov_b32_e32 v11, 0x7f
	v_minmax_f32 v12, v8, s7, 0xc3e00000
	v_mov_b32_e32 v8, 0x7f
	s_delay_alu instid0(VALU_DEP_2) | instskip(NEXT) | instid1(VALU_DEP_1)
	v_and_b32_e32 v14, 0x7fffffff, v12
	v_cmpx_gt_u32_e32 0x43f00000, v14
	s_cbranch_execz .LBB60_94
; %bb.89:                               ;   in Loop: Header=BB60_63 Depth=1
	s_mov_b32 s14, exec_lo
                                        ; implicit-def: $vgpr11
	v_cmpx_lt_u32_e32 0x3c7fffff, v14
	s_xor_b32 s14, exec_lo, s14
; %bb.90:                               ;   in Loop: Header=BB60_63 Depth=1
	v_bfe_u32 v11, v12, 20, 1
	s_delay_alu instid0(VALU_DEP_1) | instskip(NEXT) | instid1(VALU_DEP_1)
	v_add3_u32 v11, v12, v11, 0x407ffff
	v_lshrrev_b32_e32 v11, 20, v11
; %bb.91:                               ;   in Loop: Header=BB60_63 Depth=1
	s_and_not1_saveexec_b32 s14, s14
; %bb.92:                               ;   in Loop: Header=BB60_63 Depth=1
	v_add_f32_e64 v11, 0x46800000, |v12|
; %bb.93:                               ;   in Loop: Header=BB60_63 Depth=1
	s_or_b32 exec_lo, exec_lo, s14
.LBB60_94:                              ;   in Loop: Header=BB60_63 Depth=1
	s_delay_alu instid0(SALU_CYCLE_1) | instskip(SKIP_3) | instid1(VALU_DEP_1)
	s_or_b32 exec_lo, exec_lo, s13
	v_lshrrev_b32_e32 v6, 16, v6
	v_fma_mixlo_f16 v4, v28, v4, 0 op_sel:[0,1,0] op_sel_hi:[0,1,0]
	s_mov_b32 s13, exec_lo
	v_mul_f16_e32 v4, v6, v4
	s_delay_alu instid0(VALU_DEP_1) | instskip(NEXT) | instid1(VALU_DEP_1)
	v_cvt_f32_f16_e32 v4, v4
	v_div_scale_f32 v6, null, v13, v13, v4
	s_delay_alu instid0(VALU_DEP_1) | instskip(SKIP_2) | instid1(VALU_DEP_1)
	v_rcp_f32_e32 v14, v6
	s_waitcnt_depctr 0xfff
	v_fma_f32 v15, -v6, v14, 1.0
	v_fmac_f32_e32 v14, v15, v14
	v_div_scale_f32 v15, vcc_lo, v4, v13, v4
	s_delay_alu instid0(VALU_DEP_1) | instskip(NEXT) | instid1(VALU_DEP_1)
	v_mul_f32_e32 v16, v15, v14
	v_fma_f32 v17, -v6, v16, v15
	s_delay_alu instid0(VALU_DEP_1) | instskip(NEXT) | instid1(VALU_DEP_1)
	v_fmac_f32_e32 v16, v17, v14
	v_fma_f32 v6, -v6, v16, v15
	s_delay_alu instid0(VALU_DEP_1) | instskip(NEXT) | instid1(VALU_DEP_1)
	v_div_fmas_f32 v6, v6, v14, v16
	v_div_fixup_f32 v4, v6, v13, v4
	s_delay_alu instid0(VALU_DEP_1) | instskip(NEXT) | instid1(VALU_DEP_1)
	v_minmax_f32 v4, v4, s7, 0xc3e00000
	v_and_b32_e32 v6, 0x7fffffff, v4
	s_delay_alu instid0(VALU_DEP_1)
	v_cmpx_gt_u32_e32 0x43f00000, v6
	s_cbranch_execz .LBB60_100
; %bb.95:                               ;   in Loop: Header=BB60_63 Depth=1
	s_mov_b32 s14, exec_lo
                                        ; implicit-def: $vgpr8
	v_cmpx_lt_u32_e32 0x3c7fffff, v6
	s_xor_b32 s14, exec_lo, s14
; %bb.96:                               ;   in Loop: Header=BB60_63 Depth=1
	v_bfe_u32 v6, v4, 20, 1
	s_delay_alu instid0(VALU_DEP_1) | instskip(NEXT) | instid1(VALU_DEP_1)
	v_add3_u32 v6, v4, v6, 0x407ffff
	v_lshrrev_b32_e32 v8, 20, v6
; %bb.97:                               ;   in Loop: Header=BB60_63 Depth=1
	s_and_not1_saveexec_b32 s14, s14
; %bb.98:                               ;   in Loop: Header=BB60_63 Depth=1
	v_add_f32_e64 v8, 0x46800000, |v4|
; %bb.99:                               ;   in Loop: Header=BB60_63 Depth=1
	s_or_b32 exec_lo, exec_lo, s14
.LBB60_100:                             ;   in Loop: Header=BB60_63 Depth=1
	s_delay_alu instid0(SALU_CYCLE_1) | instskip(SKIP_2) | instid1(VALU_DEP_1)
	s_or_b32 exec_lo, exec_lo, s13
	v_fma_mixlo_f16 v6, v28, v5, 0 op_sel_hi:[0,1,0]
	s_mov_b32 s13, exec_lo
	v_mul_f16_e32 v6, v7, v6
	s_delay_alu instid0(VALU_DEP_1) | instskip(NEXT) | instid1(VALU_DEP_1)
	v_cvt_f32_f16_e32 v6, v6
	v_div_scale_f32 v14, null, v13, v13, v6
	v_div_scale_f32 v17, vcc_lo, v6, v13, v6
	s_delay_alu instid0(VALU_DEP_2) | instskip(SKIP_2) | instid1(VALU_DEP_1)
	v_rcp_f32_e32 v15, v14
	s_waitcnt_depctr 0xfff
	v_fma_f32 v16, -v14, v15, 1.0
	v_fmac_f32_e32 v15, v16, v15
	s_delay_alu instid0(VALU_DEP_1) | instskip(NEXT) | instid1(VALU_DEP_1)
	v_mul_f32_e32 v16, v17, v15
	v_fma_f32 v18, -v14, v16, v17
	s_delay_alu instid0(VALU_DEP_1) | instskip(NEXT) | instid1(VALU_DEP_1)
	v_fmac_f32_e32 v16, v18, v15
	v_fma_f32 v14, -v14, v16, v17
	s_delay_alu instid0(VALU_DEP_1) | instskip(NEXT) | instid1(VALU_DEP_1)
	v_div_fmas_f32 v14, v14, v15, v16
	v_div_fixup_f32 v6, v14, v13, v6
	v_mov_b32_e32 v14, 0x7f
	s_delay_alu instid0(VALU_DEP_2) | instskip(SKIP_1) | instid1(VALU_DEP_2)
	v_minmax_f32 v15, v6, s7, 0xc3e00000
	v_mov_b32_e32 v6, 0x7f
	v_and_b32_e32 v16, 0x7fffffff, v15
	s_delay_alu instid0(VALU_DEP_1)
	v_cmpx_gt_u32_e32 0x43f00000, v16
	s_cbranch_execz .LBB60_106
; %bb.101:                              ;   in Loop: Header=BB60_63 Depth=1
	s_mov_b32 s14, exec_lo
                                        ; implicit-def: $vgpr14
	v_cmpx_lt_u32_e32 0x3c7fffff, v16
	s_xor_b32 s14, exec_lo, s14
; %bb.102:                              ;   in Loop: Header=BB60_63 Depth=1
	v_bfe_u32 v14, v15, 20, 1
	s_delay_alu instid0(VALU_DEP_1) | instskip(NEXT) | instid1(VALU_DEP_1)
	v_add3_u32 v14, v15, v14, 0x407ffff
	v_lshrrev_b32_e32 v14, 20, v14
; %bb.103:                              ;   in Loop: Header=BB60_63 Depth=1
	s_and_not1_saveexec_b32 s14, s14
; %bb.104:                              ;   in Loop: Header=BB60_63 Depth=1
	v_add_f32_e64 v14, 0x46800000, |v15|
; %bb.105:                              ;   in Loop: Header=BB60_63 Depth=1
	s_or_b32 exec_lo, exec_lo, s14
.LBB60_106:                             ;   in Loop: Header=BB60_63 Depth=1
	s_delay_alu instid0(SALU_CYCLE_1) | instskip(SKIP_3) | instid1(VALU_DEP_1)
	s_or_b32 exec_lo, exec_lo, s13
	v_lshrrev_b32_e32 v7, 16, v7
	v_fma_mixlo_f16 v5, v28, v5, 0 op_sel:[0,1,0] op_sel_hi:[0,1,0]
	s_mov_b32 s13, exec_lo
	v_mul_f16_e32 v5, v7, v5
	s_delay_alu instid0(VALU_DEP_1) | instskip(NEXT) | instid1(VALU_DEP_1)
	v_cvt_f32_f16_e32 v5, v5
	v_div_scale_f32 v7, null, v13, v13, v5
	s_delay_alu instid0(VALU_DEP_1) | instskip(SKIP_2) | instid1(VALU_DEP_1)
	v_rcp_f32_e32 v16, v7
	s_waitcnt_depctr 0xfff
	v_fma_f32 v17, -v7, v16, 1.0
	v_fmac_f32_e32 v16, v17, v16
	v_div_scale_f32 v17, vcc_lo, v5, v13, v5
	s_delay_alu instid0(VALU_DEP_1) | instskip(NEXT) | instid1(VALU_DEP_1)
	v_mul_f32_e32 v18, v17, v16
	v_fma_f32 v19, -v7, v18, v17
	s_delay_alu instid0(VALU_DEP_1) | instskip(NEXT) | instid1(VALU_DEP_1)
	v_fmac_f32_e32 v18, v19, v16
	v_fma_f32 v7, -v7, v18, v17
	s_delay_alu instid0(VALU_DEP_1) | instskip(NEXT) | instid1(VALU_DEP_1)
	v_div_fmas_f32 v7, v7, v16, v18
	v_div_fixup_f32 v5, v7, v13, v5
	s_delay_alu instid0(VALU_DEP_1) | instskip(NEXT) | instid1(VALU_DEP_1)
	v_minmax_f32 v5, v5, s7, 0xc3e00000
	v_and_b32_e32 v7, 0x7fffffff, v5
	s_delay_alu instid0(VALU_DEP_1)
	v_cmpx_gt_u32_e32 0x43f00000, v7
	s_cbranch_execz .LBB60_112
; %bb.107:                              ;   in Loop: Header=BB60_63 Depth=1
	s_mov_b32 s14, exec_lo
                                        ; implicit-def: $vgpr6
	v_cmpx_lt_u32_e32 0x3c7fffff, v7
	s_xor_b32 s14, exec_lo, s14
; %bb.108:                              ;   in Loop: Header=BB60_63 Depth=1
	v_bfe_u32 v6, v5, 20, 1
	s_delay_alu instid0(VALU_DEP_1) | instskip(NEXT) | instid1(VALU_DEP_1)
	v_add3_u32 v6, v5, v6, 0x407ffff
	v_lshrrev_b32_e32 v6, 20, v6
; %bb.109:                              ;   in Loop: Header=BB60_63 Depth=1
	s_and_not1_saveexec_b32 s14, s14
; %bb.110:                              ;   in Loop: Header=BB60_63 Depth=1
	v_add_f32_e64 v6, 0x46800000, |v5|
; %bb.111:                              ;   in Loop: Header=BB60_63 Depth=1
	s_or_b32 exec_lo, exec_lo, s14
.LBB60_112:                             ;   in Loop: Header=BB60_63 Depth=1
	s_delay_alu instid0(SALU_CYCLE_1)
	s_or_b32 exec_lo, exec_lo, s13
	v_lshrrev_b32_e32 v7, 24, v15
	v_lshrrev_b32_e32 v4, 24, v4
	;; [unrolled: 1-line block ×3, first 2 shown]
	v_lshlrev_b32_e32 v6, 24, v6
	v_and_b32_e32 v13, 0x80000000, v5
	v_and_b32_e32 v7, 0x80, v7
	v_and_b32_e32 v4, 0x80, v4
	v_and_b32_e32 v11, 0xff, v11
	s_mov_b32 s14, -1
	s_mov_b32 s13, exec_lo
	v_and_or_b32 v7, 0xff, v14, v7
	v_and_or_b32 v8, 0xff, v8, v4
	v_lshlrev_b64 v[4:5], 2, v[2:3]
	v_and_or_b32 v11, 0x80, v12, v11
	v_add_nc_u32_e32 v3, s3, v0
	v_lshlrev_b32_e32 v7, 16, v7
	v_lshlrev_b32_e32 v8, 8, v8
	v_add_co_u32 v4, vcc_lo, s0, v4
	s_delay_alu instid0(VALU_DEP_3) | instskip(SKIP_1) | instid1(VALU_DEP_2)
	v_or3_b32 v6, v13, v6, v7
	v_add_co_ci_u32_e32 v5, vcc_lo, s1, v5, vcc_lo
	v_or3_b32 v6, v6, v8, v11
	global_store_b32 v[4:5], v6, off
	v_cmpx_gt_u32_e64 s8, v3
	s_cbranch_execz .LBB60_61
; %bb.113:                              ;   in Loop: Header=BB60_63 Depth=1
	v_bfe_u32 v6, v3, 4, 26
	s_mov_b32 s14, exec_lo
	s_delay_alu instid0(VALU_DEP_1) | instskip(NEXT) | instid1(VALU_DEP_1)
	v_mad_u64_u32 v[7:8], null, v9, v6, 0
	v_dual_mov_b32 v4, v1 :: v_dual_mov_b32 v5, v8
	s_delay_alu instid0(VALU_DEP_1) | instskip(NEXT) | instid1(VALU_DEP_2)
	v_lshlrev_b64 v[11:12], 3, v[3:4]
	v_mad_u64_u32 v[13:14], null, v10, v6, v[5:6]
	s_delay_alu instid0(VALU_DEP_2) | instskip(NEXT) | instid1(VALU_DEP_3)
	v_add_co_u32 v5, vcc_lo, s26, v11
	v_add_co_ci_u32_e32 v6, vcc_lo, s27, v12, vcc_lo
	v_add_co_u32 v11, vcc_lo, s10, v11
	s_delay_alu instid0(VALU_DEP_4)
	v_mov_b32_e32 v8, v13
	v_add_co_ci_u32_e32 v12, vcc_lo, s11, v12, vcc_lo
	global_load_b64 v[5:6], v[5:6], off
	v_lshlrev_b64 v[13:14], 2, v[7:8]
	global_load_b64 v[7:8], v[11:12], off
	v_add_co_u32 v11, vcc_lo, s4, v13
	v_add_co_ci_u32_e32 v12, vcc_lo, s5, v14, vcc_lo
	global_load_b32 v14, v[11:12], off
	s_waitcnt vmcnt(2)
	v_fma_mixlo_f16 v11, v28, v5, 0 op_sel_hi:[0,1,0]
	s_waitcnt vmcnt(1)
	s_delay_alu instid0(VALU_DEP_1) | instskip(NEXT) | instid1(VALU_DEP_1)
	v_mul_f16_e32 v11, v7, v11
	v_cvt_f32_f16_e32 v11, v11
	s_waitcnt vmcnt(0)
	s_delay_alu instid0(VALU_DEP_1) | instskip(SKIP_1) | instid1(VALU_DEP_2)
	v_div_scale_f32 v12, null, v14, v14, v11
	v_div_scale_f32 v16, vcc_lo, v11, v14, v11
	v_rcp_f32_e32 v13, v12
	s_waitcnt_depctr 0xfff
	v_fma_f32 v15, -v12, v13, 1.0
	s_delay_alu instid0(VALU_DEP_1) | instskip(NEXT) | instid1(VALU_DEP_1)
	v_fmac_f32_e32 v13, v15, v13
	v_mul_f32_e32 v15, v16, v13
	s_delay_alu instid0(VALU_DEP_1) | instskip(NEXT) | instid1(VALU_DEP_1)
	v_fma_f32 v17, -v12, v15, v16
	v_fmac_f32_e32 v15, v17, v13
	s_delay_alu instid0(VALU_DEP_1) | instskip(NEXT) | instid1(VALU_DEP_1)
	v_fma_f32 v12, -v12, v15, v16
	v_div_fmas_f32 v12, v12, v13, v15
	s_delay_alu instid0(VALU_DEP_1) | instskip(SKIP_1) | instid1(VALU_DEP_2)
	v_div_fixup_f32 v11, v12, v14, v11
	v_mov_b32_e32 v12, 0x7f
	v_minmax_f32 v13, v11, s7, 0xc3e00000
	v_mov_b32_e32 v11, 0x7f
	s_delay_alu instid0(VALU_DEP_2) | instskip(NEXT) | instid1(VALU_DEP_1)
	v_and_b32_e32 v15, 0x7fffffff, v13
	v_cmpx_gt_u32_e32 0x43f00000, v15
	s_cbranch_execz .LBB60_119
; %bb.114:                              ;   in Loop: Header=BB60_63 Depth=1
	s_mov_b32 s15, exec_lo
                                        ; implicit-def: $vgpr12
	v_cmpx_lt_u32_e32 0x3c7fffff, v15
	s_xor_b32 s15, exec_lo, s15
; %bb.115:                              ;   in Loop: Header=BB60_63 Depth=1
	v_bfe_u32 v12, v13, 20, 1
	s_delay_alu instid0(VALU_DEP_1) | instskip(NEXT) | instid1(VALU_DEP_1)
	v_add3_u32 v12, v13, v12, 0x407ffff
	v_lshrrev_b32_e32 v12, 20, v12
; %bb.116:                              ;   in Loop: Header=BB60_63 Depth=1
	s_and_not1_saveexec_b32 s15, s15
; %bb.117:                              ;   in Loop: Header=BB60_63 Depth=1
	v_add_f32_e64 v12, 0x46800000, |v13|
; %bb.118:                              ;   in Loop: Header=BB60_63 Depth=1
	s_or_b32 exec_lo, exec_lo, s15
.LBB60_119:                             ;   in Loop: Header=BB60_63 Depth=1
	s_delay_alu instid0(SALU_CYCLE_1) | instskip(SKIP_3) | instid1(VALU_DEP_1)
	s_or_b32 exec_lo, exec_lo, s14
	v_lshrrev_b32_e32 v7, 16, v7
	v_fma_mixlo_f16 v5, v28, v5, 0 op_sel:[0,1,0] op_sel_hi:[0,1,0]
	s_mov_b32 s14, exec_lo
	v_mul_f16_e32 v5, v7, v5
	s_delay_alu instid0(VALU_DEP_1) | instskip(NEXT) | instid1(VALU_DEP_1)
	v_cvt_f32_f16_e32 v5, v5
	v_div_scale_f32 v7, null, v14, v14, v5
	s_delay_alu instid0(VALU_DEP_1) | instskip(SKIP_2) | instid1(VALU_DEP_1)
	v_rcp_f32_e32 v15, v7
	s_waitcnt_depctr 0xfff
	v_fma_f32 v16, -v7, v15, 1.0
	v_fmac_f32_e32 v15, v16, v15
	v_div_scale_f32 v16, vcc_lo, v5, v14, v5
	s_delay_alu instid0(VALU_DEP_1) | instskip(NEXT) | instid1(VALU_DEP_1)
	v_mul_f32_e32 v17, v16, v15
	v_fma_f32 v18, -v7, v17, v16
	s_delay_alu instid0(VALU_DEP_1) | instskip(NEXT) | instid1(VALU_DEP_1)
	v_fmac_f32_e32 v17, v18, v15
	v_fma_f32 v7, -v7, v17, v16
	s_delay_alu instid0(VALU_DEP_1) | instskip(NEXT) | instid1(VALU_DEP_1)
	v_div_fmas_f32 v7, v7, v15, v17
	v_div_fixup_f32 v5, v7, v14, v5
	s_delay_alu instid0(VALU_DEP_1) | instskip(NEXT) | instid1(VALU_DEP_1)
	v_minmax_f32 v5, v5, s7, 0xc3e00000
	v_and_b32_e32 v7, 0x7fffffff, v5
	s_delay_alu instid0(VALU_DEP_1)
	v_cmpx_gt_u32_e32 0x43f00000, v7
	s_cbranch_execz .LBB60_125
; %bb.120:                              ;   in Loop: Header=BB60_63 Depth=1
	s_mov_b32 s15, exec_lo
                                        ; implicit-def: $vgpr11
	v_cmpx_lt_u32_e32 0x3c7fffff, v7
	s_xor_b32 s15, exec_lo, s15
; %bb.121:                              ;   in Loop: Header=BB60_63 Depth=1
	v_bfe_u32 v7, v5, 20, 1
	s_delay_alu instid0(VALU_DEP_1) | instskip(NEXT) | instid1(VALU_DEP_1)
	v_add3_u32 v7, v5, v7, 0x407ffff
	v_lshrrev_b32_e32 v11, 20, v7
; %bb.122:                              ;   in Loop: Header=BB60_63 Depth=1
	s_and_not1_saveexec_b32 s15, s15
; %bb.123:                              ;   in Loop: Header=BB60_63 Depth=1
	v_add_f32_e64 v11, 0x46800000, |v5|
; %bb.124:                              ;   in Loop: Header=BB60_63 Depth=1
	s_or_b32 exec_lo, exec_lo, s15
.LBB60_125:                             ;   in Loop: Header=BB60_63 Depth=1
	s_delay_alu instid0(SALU_CYCLE_1) | instskip(SKIP_2) | instid1(VALU_DEP_1)
	s_or_b32 exec_lo, exec_lo, s14
	v_fma_mixlo_f16 v7, v28, v6, 0 op_sel_hi:[0,1,0]
	s_mov_b32 s14, exec_lo
	v_mul_f16_e32 v7, v8, v7
	s_delay_alu instid0(VALU_DEP_1) | instskip(NEXT) | instid1(VALU_DEP_1)
	v_cvt_f32_f16_e32 v7, v7
	v_div_scale_f32 v15, null, v14, v14, v7
	v_div_scale_f32 v18, vcc_lo, v7, v14, v7
	s_delay_alu instid0(VALU_DEP_2) | instskip(SKIP_2) | instid1(VALU_DEP_1)
	v_rcp_f32_e32 v16, v15
	s_waitcnt_depctr 0xfff
	v_fma_f32 v17, -v15, v16, 1.0
	v_fmac_f32_e32 v16, v17, v16
	s_delay_alu instid0(VALU_DEP_1) | instskip(NEXT) | instid1(VALU_DEP_1)
	v_mul_f32_e32 v17, v18, v16
	v_fma_f32 v19, -v15, v17, v18
	s_delay_alu instid0(VALU_DEP_1) | instskip(NEXT) | instid1(VALU_DEP_1)
	v_fmac_f32_e32 v17, v19, v16
	v_fma_f32 v15, -v15, v17, v18
	s_delay_alu instid0(VALU_DEP_1) | instskip(NEXT) | instid1(VALU_DEP_1)
	v_div_fmas_f32 v15, v15, v16, v17
	v_div_fixup_f32 v7, v15, v14, v7
	v_mov_b32_e32 v15, 0x7f
	s_delay_alu instid0(VALU_DEP_2) | instskip(SKIP_1) | instid1(VALU_DEP_2)
	v_minmax_f32 v16, v7, s7, 0xc3e00000
	v_mov_b32_e32 v7, 0x7f
	v_and_b32_e32 v17, 0x7fffffff, v16
	s_delay_alu instid0(VALU_DEP_1)
	v_cmpx_gt_u32_e32 0x43f00000, v17
	s_cbranch_execz .LBB60_131
; %bb.126:                              ;   in Loop: Header=BB60_63 Depth=1
	s_mov_b32 s15, exec_lo
                                        ; implicit-def: $vgpr15
	v_cmpx_lt_u32_e32 0x3c7fffff, v17
	s_xor_b32 s15, exec_lo, s15
; %bb.127:                              ;   in Loop: Header=BB60_63 Depth=1
	v_bfe_u32 v15, v16, 20, 1
	s_delay_alu instid0(VALU_DEP_1) | instskip(NEXT) | instid1(VALU_DEP_1)
	v_add3_u32 v15, v16, v15, 0x407ffff
	v_lshrrev_b32_e32 v15, 20, v15
; %bb.128:                              ;   in Loop: Header=BB60_63 Depth=1
	s_and_not1_saveexec_b32 s15, s15
; %bb.129:                              ;   in Loop: Header=BB60_63 Depth=1
	v_add_f32_e64 v15, 0x46800000, |v16|
; %bb.130:                              ;   in Loop: Header=BB60_63 Depth=1
	s_or_b32 exec_lo, exec_lo, s15
.LBB60_131:                             ;   in Loop: Header=BB60_63 Depth=1
	s_delay_alu instid0(SALU_CYCLE_1) | instskip(SKIP_3) | instid1(VALU_DEP_1)
	s_or_b32 exec_lo, exec_lo, s14
	v_lshrrev_b32_e32 v8, 16, v8
	v_fma_mixlo_f16 v6, v28, v6, 0 op_sel:[0,1,0] op_sel_hi:[0,1,0]
	s_mov_b32 s14, exec_lo
	v_mul_f16_e32 v6, v8, v6
	s_delay_alu instid0(VALU_DEP_1) | instskip(NEXT) | instid1(VALU_DEP_1)
	v_cvt_f32_f16_e32 v6, v6
	v_div_scale_f32 v8, null, v14, v14, v6
	s_delay_alu instid0(VALU_DEP_1) | instskip(SKIP_2) | instid1(VALU_DEP_1)
	v_rcp_f32_e32 v17, v8
	s_waitcnt_depctr 0xfff
	v_fma_f32 v18, -v8, v17, 1.0
	v_fmac_f32_e32 v17, v18, v17
	v_div_scale_f32 v18, vcc_lo, v6, v14, v6
	s_delay_alu instid0(VALU_DEP_1) | instskip(NEXT) | instid1(VALU_DEP_1)
	v_mul_f32_e32 v19, v18, v17
	v_fma_f32 v20, -v8, v19, v18
	s_delay_alu instid0(VALU_DEP_1) | instskip(NEXT) | instid1(VALU_DEP_1)
	v_fmac_f32_e32 v19, v20, v17
	v_fma_f32 v8, -v8, v19, v18
	s_delay_alu instid0(VALU_DEP_1) | instskip(NEXT) | instid1(VALU_DEP_1)
	v_div_fmas_f32 v8, v8, v17, v19
	v_div_fixup_f32 v6, v8, v14, v6
	s_delay_alu instid0(VALU_DEP_1) | instskip(NEXT) | instid1(VALU_DEP_1)
	v_minmax_f32 v6, v6, s7, 0xc3e00000
	v_and_b32_e32 v8, 0x7fffffff, v6
	s_delay_alu instid0(VALU_DEP_1)
	v_cmpx_gt_u32_e32 0x43f00000, v8
	s_cbranch_execz .LBB60_137
; %bb.132:                              ;   in Loop: Header=BB60_63 Depth=1
	s_mov_b32 s15, exec_lo
                                        ; implicit-def: $vgpr7
	v_cmpx_lt_u32_e32 0x3c7fffff, v8
	s_xor_b32 s15, exec_lo, s15
; %bb.133:                              ;   in Loop: Header=BB60_63 Depth=1
	v_bfe_u32 v7, v6, 20, 1
	s_delay_alu instid0(VALU_DEP_1) | instskip(NEXT) | instid1(VALU_DEP_1)
	v_add3_u32 v7, v6, v7, 0x407ffff
	v_lshrrev_b32_e32 v7, 20, v7
; %bb.134:                              ;   in Loop: Header=BB60_63 Depth=1
	s_and_not1_saveexec_b32 s15, s15
; %bb.135:                              ;   in Loop: Header=BB60_63 Depth=1
	v_add_f32_e64 v7, 0x46800000, |v6|
; %bb.136:                              ;   in Loop: Header=BB60_63 Depth=1
	s_or_b32 exec_lo, exec_lo, s15
.LBB60_137:                             ;   in Loop: Header=BB60_63 Depth=1
	s_delay_alu instid0(SALU_CYCLE_1)
	s_or_b32 exec_lo, exec_lo, s14
	v_lshrrev_b32_e32 v8, 24, v16
	v_lshrrev_b32_e32 v5, 24, v5
	;; [unrolled: 1-line block ×3, first 2 shown]
	v_lshlrev_b32_e32 v7, 24, v7
	v_and_b32_e32 v6, 0x80000000, v6
	v_and_b32_e32 v8, 0x80, v8
	;; [unrolled: 1-line block ×4, first 2 shown]
	v_lshlrev_b64 v[3:4], 2, v[3:4]
	v_add_nc_u32_e32 v0, s2, v0
	v_and_or_b32 v8, 0xff, v15, v8
	v_and_or_b32 v5, 0xff, v11, v5
	;; [unrolled: 1-line block ×3, first 2 shown]
	s_mov_b32 s15, -1
	v_add_co_u32 v3, vcc_lo, s0, v3
	v_lshlrev_b32_e32 v8, 16, v8
	v_lshlrev_b32_e32 v5, 8, v5
	v_add_co_ci_u32_e32 v4, vcc_lo, s1, v4, vcc_lo
	s_mov_b32 s14, exec_lo
	s_delay_alu instid0(VALU_DEP_3) | instskip(NEXT) | instid1(VALU_DEP_1)
	v_or3_b32 v6, v6, v7, v8
	v_or3_b32 v5, v6, v5, v11
	global_store_b32 v[3:4], v5, off
	v_cmpx_gt_u32_e64 s8, v0
	s_cbranch_execz .LBB60_60
; %bb.138:                              ;   in Loop: Header=BB60_63 Depth=1
	v_bfe_u32 v4, v0, 4, 26
	v_lshlrev_b64 v[7:8], 3, v[0:1]
	s_mov_b32 s15, exec_lo
	s_delay_alu instid0(VALU_DEP_2) | instskip(NEXT) | instid1(VALU_DEP_1)
	v_mad_u64_u32 v[5:6], null, v9, v4, 0
	v_mov_b32_e32 v3, v6
	s_delay_alu instid0(VALU_DEP_1) | instskip(NEXT) | instid1(VALU_DEP_4)
	v_mad_u64_u32 v[11:12], null, v10, v4, v[3:4]
	v_add_co_u32 v3, vcc_lo, s26, v7
	v_add_co_ci_u32_e32 v4, vcc_lo, s27, v8, vcc_lo
	v_add_co_u32 v7, vcc_lo, s10, v7
	s_delay_alu instid0(VALU_DEP_4)
	v_mov_b32_e32 v6, v11
	v_add_co_ci_u32_e32 v8, vcc_lo, s11, v8, vcc_lo
	global_load_b64 v[3:4], v[3:4], off
	v_lshlrev_b64 v[11:12], 2, v[5:6]
	global_load_b64 v[5:6], v[7:8], off
	v_add_co_u32 v7, vcc_lo, s4, v11
	v_add_co_ci_u32_e32 v8, vcc_lo, s5, v12, vcc_lo
	global_load_b32 v12, v[7:8], off
	s_waitcnt vmcnt(2)
	v_fma_mixlo_f16 v7, v28, v3, 0 op_sel_hi:[0,1,0]
	s_waitcnt vmcnt(1)
	s_delay_alu instid0(VALU_DEP_1) | instskip(NEXT) | instid1(VALU_DEP_1)
	v_mul_f16_e32 v7, v5, v7
	v_cvt_f32_f16_e32 v7, v7
	s_waitcnt vmcnt(0)
	s_delay_alu instid0(VALU_DEP_1) | instskip(SKIP_1) | instid1(VALU_DEP_2)
	v_div_scale_f32 v8, null, v12, v12, v7
	v_div_scale_f32 v14, vcc_lo, v7, v12, v7
	v_rcp_f32_e32 v11, v8
	s_waitcnt_depctr 0xfff
	v_fma_f32 v13, -v8, v11, 1.0
	s_delay_alu instid0(VALU_DEP_1) | instskip(NEXT) | instid1(VALU_DEP_1)
	v_fmac_f32_e32 v11, v13, v11
	v_mul_f32_e32 v13, v14, v11
	s_delay_alu instid0(VALU_DEP_1) | instskip(NEXT) | instid1(VALU_DEP_1)
	v_fma_f32 v15, -v8, v13, v14
	v_fmac_f32_e32 v13, v15, v11
	s_delay_alu instid0(VALU_DEP_1) | instskip(NEXT) | instid1(VALU_DEP_1)
	v_fma_f32 v8, -v8, v13, v14
	v_div_fmas_f32 v8, v8, v11, v13
	s_delay_alu instid0(VALU_DEP_1) | instskip(SKIP_1) | instid1(VALU_DEP_2)
	v_div_fixup_f32 v7, v8, v12, v7
	v_mov_b32_e32 v8, 0x7f
	v_minmax_f32 v11, v7, s7, 0xc3e00000
	v_mov_b32_e32 v7, 0x7f
	s_delay_alu instid0(VALU_DEP_2) | instskip(NEXT) | instid1(VALU_DEP_1)
	v_and_b32_e32 v13, 0x7fffffff, v11
	v_cmpx_gt_u32_e32 0x43f00000, v13
	s_cbranch_execz .LBB60_144
; %bb.139:                              ;   in Loop: Header=BB60_63 Depth=1
	s_mov_b32 s16, exec_lo
                                        ; implicit-def: $vgpr8
	v_cmpx_lt_u32_e32 0x3c7fffff, v13
	s_xor_b32 s16, exec_lo, s16
; %bb.140:                              ;   in Loop: Header=BB60_63 Depth=1
	v_bfe_u32 v8, v11, 20, 1
	s_delay_alu instid0(VALU_DEP_1) | instskip(NEXT) | instid1(VALU_DEP_1)
	v_add3_u32 v8, v11, v8, 0x407ffff
	v_lshrrev_b32_e32 v8, 20, v8
; %bb.141:                              ;   in Loop: Header=BB60_63 Depth=1
	s_and_not1_saveexec_b32 s16, s16
; %bb.142:                              ;   in Loop: Header=BB60_63 Depth=1
	v_add_f32_e64 v8, 0x46800000, |v11|
; %bb.143:                              ;   in Loop: Header=BB60_63 Depth=1
	s_or_b32 exec_lo, exec_lo, s16
.LBB60_144:                             ;   in Loop: Header=BB60_63 Depth=1
	s_delay_alu instid0(SALU_CYCLE_1) | instskip(SKIP_3) | instid1(VALU_DEP_1)
	s_or_b32 exec_lo, exec_lo, s15
	v_lshrrev_b32_e32 v5, 16, v5
	v_fma_mixlo_f16 v3, v28, v3, 0 op_sel:[0,1,0] op_sel_hi:[0,1,0]
	s_mov_b32 s15, exec_lo
	v_mul_f16_e32 v3, v5, v3
	s_delay_alu instid0(VALU_DEP_1) | instskip(NEXT) | instid1(VALU_DEP_1)
	v_cvt_f32_f16_e32 v3, v3
	v_div_scale_f32 v5, null, v12, v12, v3
	s_delay_alu instid0(VALU_DEP_1) | instskip(SKIP_2) | instid1(VALU_DEP_1)
	v_rcp_f32_e32 v13, v5
	s_waitcnt_depctr 0xfff
	v_fma_f32 v14, -v5, v13, 1.0
	v_fmac_f32_e32 v13, v14, v13
	v_div_scale_f32 v14, vcc_lo, v3, v12, v3
	s_delay_alu instid0(VALU_DEP_1) | instskip(NEXT) | instid1(VALU_DEP_1)
	v_mul_f32_e32 v15, v14, v13
	v_fma_f32 v16, -v5, v15, v14
	s_delay_alu instid0(VALU_DEP_1) | instskip(NEXT) | instid1(VALU_DEP_1)
	v_fmac_f32_e32 v15, v16, v13
	v_fma_f32 v5, -v5, v15, v14
	s_delay_alu instid0(VALU_DEP_1) | instskip(NEXT) | instid1(VALU_DEP_1)
	v_div_fmas_f32 v5, v5, v13, v15
	v_div_fixup_f32 v3, v5, v12, v3
	s_delay_alu instid0(VALU_DEP_1) | instskip(NEXT) | instid1(VALU_DEP_1)
	v_minmax_f32 v3, v3, s7, 0xc3e00000
	v_and_b32_e32 v5, 0x7fffffff, v3
	s_delay_alu instid0(VALU_DEP_1)
	v_cmpx_gt_u32_e32 0x43f00000, v5
	s_cbranch_execz .LBB60_150
; %bb.145:                              ;   in Loop: Header=BB60_63 Depth=1
	s_mov_b32 s16, exec_lo
                                        ; implicit-def: $vgpr7
	v_cmpx_lt_u32_e32 0x3c7fffff, v5
	s_xor_b32 s16, exec_lo, s16
; %bb.146:                              ;   in Loop: Header=BB60_63 Depth=1
	v_bfe_u32 v5, v3, 20, 1
	s_delay_alu instid0(VALU_DEP_1) | instskip(NEXT) | instid1(VALU_DEP_1)
	v_add3_u32 v5, v3, v5, 0x407ffff
	v_lshrrev_b32_e32 v7, 20, v5
; %bb.147:                              ;   in Loop: Header=BB60_63 Depth=1
	s_and_not1_saveexec_b32 s16, s16
; %bb.148:                              ;   in Loop: Header=BB60_63 Depth=1
	v_add_f32_e64 v7, 0x46800000, |v3|
; %bb.149:                              ;   in Loop: Header=BB60_63 Depth=1
	s_or_b32 exec_lo, exec_lo, s16
.LBB60_150:                             ;   in Loop: Header=BB60_63 Depth=1
	s_delay_alu instid0(SALU_CYCLE_1) | instskip(SKIP_2) | instid1(VALU_DEP_1)
	s_or_b32 exec_lo, exec_lo, s15
	v_fma_mixlo_f16 v5, v28, v4, 0 op_sel_hi:[0,1,0]
	s_mov_b32 s15, exec_lo
	v_mul_f16_e32 v5, v6, v5
	s_delay_alu instid0(VALU_DEP_1) | instskip(NEXT) | instid1(VALU_DEP_1)
	v_cvt_f32_f16_e32 v5, v5
	v_div_scale_f32 v13, null, v12, v12, v5
	v_div_scale_f32 v16, vcc_lo, v5, v12, v5
	s_delay_alu instid0(VALU_DEP_2) | instskip(SKIP_2) | instid1(VALU_DEP_1)
	v_rcp_f32_e32 v14, v13
	s_waitcnt_depctr 0xfff
	v_fma_f32 v15, -v13, v14, 1.0
	v_fmac_f32_e32 v14, v15, v14
	s_delay_alu instid0(VALU_DEP_1) | instskip(NEXT) | instid1(VALU_DEP_1)
	v_mul_f32_e32 v15, v16, v14
	v_fma_f32 v17, -v13, v15, v16
	s_delay_alu instid0(VALU_DEP_1) | instskip(NEXT) | instid1(VALU_DEP_1)
	v_fmac_f32_e32 v15, v17, v14
	v_fma_f32 v13, -v13, v15, v16
	s_delay_alu instid0(VALU_DEP_1) | instskip(NEXT) | instid1(VALU_DEP_1)
	v_div_fmas_f32 v13, v13, v14, v15
	v_div_fixup_f32 v5, v13, v12, v5
	v_mov_b32_e32 v13, 0x7f
	s_delay_alu instid0(VALU_DEP_2) | instskip(SKIP_1) | instid1(VALU_DEP_2)
	v_minmax_f32 v14, v5, s7, 0xc3e00000
	v_mov_b32_e32 v5, 0x7f
	v_and_b32_e32 v15, 0x7fffffff, v14
	s_delay_alu instid0(VALU_DEP_1)
	v_cmpx_gt_u32_e32 0x43f00000, v15
	s_cbranch_execz .LBB60_156
; %bb.151:                              ;   in Loop: Header=BB60_63 Depth=1
	s_mov_b32 s16, exec_lo
                                        ; implicit-def: $vgpr13
	v_cmpx_lt_u32_e32 0x3c7fffff, v15
	s_xor_b32 s16, exec_lo, s16
; %bb.152:                              ;   in Loop: Header=BB60_63 Depth=1
	v_bfe_u32 v13, v14, 20, 1
	s_delay_alu instid0(VALU_DEP_1) | instskip(NEXT) | instid1(VALU_DEP_1)
	v_add3_u32 v13, v14, v13, 0x407ffff
	v_lshrrev_b32_e32 v13, 20, v13
; %bb.153:                              ;   in Loop: Header=BB60_63 Depth=1
	s_and_not1_saveexec_b32 s16, s16
; %bb.154:                              ;   in Loop: Header=BB60_63 Depth=1
	v_add_f32_e64 v13, 0x46800000, |v14|
; %bb.155:                              ;   in Loop: Header=BB60_63 Depth=1
	s_or_b32 exec_lo, exec_lo, s16
.LBB60_156:                             ;   in Loop: Header=BB60_63 Depth=1
	s_delay_alu instid0(SALU_CYCLE_1) | instskip(SKIP_3) | instid1(VALU_DEP_1)
	s_or_b32 exec_lo, exec_lo, s15
	v_lshrrev_b32_e32 v6, 16, v6
	v_fma_mixlo_f16 v4, v28, v4, 0 op_sel:[0,1,0] op_sel_hi:[0,1,0]
	s_mov_b32 s15, exec_lo
	v_mul_f16_e32 v4, v6, v4
	s_delay_alu instid0(VALU_DEP_1) | instskip(NEXT) | instid1(VALU_DEP_1)
	v_cvt_f32_f16_e32 v4, v4
	v_div_scale_f32 v6, null, v12, v12, v4
	s_delay_alu instid0(VALU_DEP_1) | instskip(SKIP_2) | instid1(VALU_DEP_1)
	v_rcp_f32_e32 v15, v6
	s_waitcnt_depctr 0xfff
	v_fma_f32 v16, -v6, v15, 1.0
	v_fmac_f32_e32 v15, v16, v15
	v_div_scale_f32 v16, vcc_lo, v4, v12, v4
	s_delay_alu instid0(VALU_DEP_1) | instskip(NEXT) | instid1(VALU_DEP_1)
	v_mul_f32_e32 v17, v16, v15
	v_fma_f32 v18, -v6, v17, v16
	s_delay_alu instid0(VALU_DEP_1) | instskip(NEXT) | instid1(VALU_DEP_1)
	v_fmac_f32_e32 v17, v18, v15
	v_fma_f32 v6, -v6, v17, v16
	s_delay_alu instid0(VALU_DEP_1) | instskip(NEXT) | instid1(VALU_DEP_1)
	v_div_fmas_f32 v6, v6, v15, v17
	v_div_fixup_f32 v4, v6, v12, v4
	s_delay_alu instid0(VALU_DEP_1) | instskip(NEXT) | instid1(VALU_DEP_1)
	v_minmax_f32 v4, v4, s7, 0xc3e00000
	v_and_b32_e32 v6, 0x7fffffff, v4
	s_delay_alu instid0(VALU_DEP_1)
	v_cmpx_gt_u32_e32 0x43f00000, v6
	s_cbranch_execz .LBB60_59
; %bb.157:                              ;   in Loop: Header=BB60_63 Depth=1
	s_mov_b32 s16, exec_lo
                                        ; implicit-def: $vgpr5
	v_cmpx_lt_u32_e32 0x3c7fffff, v6
	s_xor_b32 s16, exec_lo, s16
; %bb.158:                              ;   in Loop: Header=BB60_63 Depth=1
	v_bfe_u32 v5, v4, 20, 1
	s_delay_alu instid0(VALU_DEP_1) | instskip(NEXT) | instid1(VALU_DEP_1)
	v_add3_u32 v5, v4, v5, 0x407ffff
	v_lshrrev_b32_e32 v5, 20, v5
; %bb.159:                              ;   in Loop: Header=BB60_63 Depth=1
	s_and_not1_saveexec_b32 s16, s16
	s_cbranch_execz .LBB60_58
; %bb.160:                              ;   in Loop: Header=BB60_63 Depth=1
	v_add_f32_e64 v5, 0x46800000, |v4|
	s_branch .LBB60_58
.LBB60_161:
	s_nop 0
	s_sendmsg sendmsg(MSG_DEALLOC_VGPRS)
	s_endpgm
.LBB60_162:
                                        ; implicit-def: $vgpr3_vgpr4
	s_branch .LBB60_51
.LBB60_163:
                                        ; implicit-def: $vgpr1_vgpr2
	s_branch .LBB60_56
	.section	.rodata,"a",@progbits
	.p2align	6, 0x0
	.amdhsa_kernel _ZN4vllm31rms_norm_per_block_quant_kernelIN3c104HalfENS1_13Float8_e4m3fnELb0ELb1ELi64EEEvPT0_PfPKT_S9_PKffiiPS7_l
		.amdhsa_group_segment_fixed_size 4228
		.amdhsa_private_segment_fixed_size 0
		.amdhsa_kernarg_size 328
		.amdhsa_user_sgpr_count 15
		.amdhsa_user_sgpr_dispatch_ptr 0
		.amdhsa_user_sgpr_queue_ptr 0
		.amdhsa_user_sgpr_kernarg_segment_ptr 1
		.amdhsa_user_sgpr_dispatch_id 0
		.amdhsa_user_sgpr_private_segment_size 0
		.amdhsa_wavefront_size32 1
		.amdhsa_uses_dynamic_stack 0
		.amdhsa_enable_private_segment 0
		.amdhsa_system_sgpr_workgroup_id_x 1
		.amdhsa_system_sgpr_workgroup_id_y 0
		.amdhsa_system_sgpr_workgroup_id_z 0
		.amdhsa_system_sgpr_workgroup_info 0
		.amdhsa_system_vgpr_workitem_id 0
		.amdhsa_next_free_vgpr 35
		.amdhsa_next_free_sgpr 38
		.amdhsa_reserve_vcc 1
		.amdhsa_float_round_mode_32 0
		.amdhsa_float_round_mode_16_64 0
		.amdhsa_float_denorm_mode_32 3
		.amdhsa_float_denorm_mode_16_64 3
		.amdhsa_dx10_clamp 1
		.amdhsa_ieee_mode 1
		.amdhsa_fp16_overflow 0
		.amdhsa_workgroup_processor_mode 1
		.amdhsa_memory_ordered 1
		.amdhsa_forward_progress 0
		.amdhsa_shared_vgpr_count 0
		.amdhsa_exception_fp_ieee_invalid_op 0
		.amdhsa_exception_fp_denorm_src 0
		.amdhsa_exception_fp_ieee_div_zero 0
		.amdhsa_exception_fp_ieee_overflow 0
		.amdhsa_exception_fp_ieee_underflow 0
		.amdhsa_exception_fp_ieee_inexact 0
		.amdhsa_exception_int_div_zero 0
	.end_amdhsa_kernel
	.section	.text._ZN4vllm31rms_norm_per_block_quant_kernelIN3c104HalfENS1_13Float8_e4m3fnELb0ELb1ELi64EEEvPT0_PfPKT_S9_PKffiiPS7_l,"axG",@progbits,_ZN4vllm31rms_norm_per_block_quant_kernelIN3c104HalfENS1_13Float8_e4m3fnELb0ELb1ELi64EEEvPT0_PfPKT_S9_PKffiiPS7_l,comdat
.Lfunc_end60:
	.size	_ZN4vllm31rms_norm_per_block_quant_kernelIN3c104HalfENS1_13Float8_e4m3fnELb0ELb1ELi64EEEvPT0_PfPKT_S9_PKffiiPS7_l, .Lfunc_end60-_ZN4vllm31rms_norm_per_block_quant_kernelIN3c104HalfENS1_13Float8_e4m3fnELb0ELb1ELi64EEEvPT0_PfPKT_S9_PKffiiPS7_l
                                        ; -- End function
	.section	.AMDGPU.csdata,"",@progbits
; Kernel info:
; codeLenInByte = 11124
; NumSgprs: 40
; NumVgprs: 35
; ScratchSize: 0
; MemoryBound: 0
; FloatMode: 240
; IeeeMode: 1
; LDSByteSize: 4228 bytes/workgroup (compile time only)
; SGPRBlocks: 4
; VGPRBlocks: 4
; NumSGPRsForWavesPerEU: 40
; NumVGPRsForWavesPerEU: 35
; Occupancy: 16
; WaveLimiterHint : 0
; COMPUTE_PGM_RSRC2:SCRATCH_EN: 0
; COMPUTE_PGM_RSRC2:USER_SGPR: 15
; COMPUTE_PGM_RSRC2:TRAP_HANDLER: 0
; COMPUTE_PGM_RSRC2:TGID_X_EN: 1
; COMPUTE_PGM_RSRC2:TGID_Y_EN: 0
; COMPUTE_PGM_RSRC2:TGID_Z_EN: 0
; COMPUTE_PGM_RSRC2:TIDIG_COMP_CNT: 0
	.section	.text._ZN4vllm31rms_norm_per_block_quant_kernelIN3c104HalfENS1_15Float8_e4m3fnuzELb0ELb1ELi64EEEvPT0_PfPKT_S9_PKffiiPS7_l,"axG",@progbits,_ZN4vllm31rms_norm_per_block_quant_kernelIN3c104HalfENS1_15Float8_e4m3fnuzELb0ELb1ELi64EEEvPT0_PfPKT_S9_PKffiiPS7_l,comdat
	.protected	_ZN4vllm31rms_norm_per_block_quant_kernelIN3c104HalfENS1_15Float8_e4m3fnuzELb0ELb1ELi64EEEvPT0_PfPKT_S9_PKffiiPS7_l ; -- Begin function _ZN4vllm31rms_norm_per_block_quant_kernelIN3c104HalfENS1_15Float8_e4m3fnuzELb0ELb1ELi64EEEvPT0_PfPKT_S9_PKffiiPS7_l
	.globl	_ZN4vllm31rms_norm_per_block_quant_kernelIN3c104HalfENS1_15Float8_e4m3fnuzELb0ELb1ELi64EEEvPT0_PfPKT_S9_PKffiiPS7_l
	.p2align	8
	.type	_ZN4vllm31rms_norm_per_block_quant_kernelIN3c104HalfENS1_15Float8_e4m3fnuzELb0ELb1ELi64EEEvPT0_PfPKT_S9_PKffiiPS7_l,@function
_ZN4vllm31rms_norm_per_block_quant_kernelIN3c104HalfENS1_15Float8_e4m3fnuzELb0ELb1ELi64EEEvPT0_PfPKT_S9_PKffiiPS7_l: ; @_ZN4vllm31rms_norm_per_block_quant_kernelIN3c104HalfENS1_15Float8_e4m3fnuzELb0ELb1ELi64EEEvPT0_PfPKT_S9_PKffiiPS7_l
; %bb.0:
	s_mov_b32 s16, s15
	s_clause 0x2
	s_load_b128 s[12:15], s[0:1], 0x28
	s_load_b256 s[4:11], s[0:1], 0x0
	s_load_b32 s29, s[0:1], 0x48
	v_mov_b32_e32 v6, 0
	s_mov_b32 s17, 0
	s_waitcnt lgkmcnt(0)
	s_ashr_i32 s2, s14, 31
	s_mul_hi_u32 s3, s14, s16
	s_mul_i32 s15, s2, s16
	s_mul_i32 s2, s14, s16
	s_add_i32 s3, s3, s15
	s_mov_b32 s14, s13
	s_lshl_b64 s[2:3], s[2:3], 1
	s_delay_alu instid0(SALU_CYCLE_1)
	s_add_u32 s26, s8, s2
	s_addc_u32 s27, s9, s3
	s_ashr_i32 s8, s13, 2
	s_add_u32 s18, s0, 0x48
	v_cmp_gt_u32_e64 s2, s8, v0
	s_addc_u32 s19, s1, 0
	s_delay_alu instid0(VALU_DEP_1)
	s_and_saveexec_b32 s3, s2
	s_cbranch_execz .LBB61_10
; %bb.1:
	s_cmp_lt_u32 s16, s29
	v_mov_b32_e32 v2, 0
	s_cselect_b32 s9, 12, 18
                                        ; implicit-def: $sgpr15
	v_mov_b32_e32 v1, v0
	s_add_u32 s20, s18, s9
	s_addc_u32 s21, s19, 0
	s_mov_b32 s9, s17
	global_load_u16 v7, v2, s[20:21]
	s_waitcnt vmcnt(0)
	v_lshlrev_b32_e32 v9, 1, v7
	v_mul_lo_u32 v8, v7, 3
	v_add_nc_u32_e32 v10, v7, v7
	v_mov_b32_e32 v6, v2
	s_branch .LBB61_5
.LBB61_2:                               ;   in Loop: Header=BB61_5 Depth=1
	s_or_b32 exec_lo, exec_lo, s22
	s_delay_alu instid0(SALU_CYCLE_1)
	s_or_not1_b32 s22, s23, exec_lo
.LBB61_3:                               ;   in Loop: Header=BB61_5 Depth=1
	s_or_b32 exec_lo, exec_lo, s21
	s_delay_alu instid0(SALU_CYCLE_1) | instskip(SKIP_1) | instid1(SALU_CYCLE_1)
	s_and_not1_b32 s15, s15, exec_lo
	s_and_b32 s21, s22, exec_lo
	s_or_b32 s15, s15, s21
.LBB61_4:                               ;   in Loop: Header=BB61_5 Depth=1
	s_or_b32 exec_lo, exec_lo, s20
	s_delay_alu instid0(SALU_CYCLE_1) | instskip(NEXT) | instid1(SALU_CYCLE_1)
	s_and_b32 s20, exec_lo, s15
	s_or_b32 s9, s20, s9
	s_delay_alu instid0(SALU_CYCLE_1)
	s_and_not1_b32 exec_lo, exec_lo, s9
	s_cbranch_execz .LBB61_9
.LBB61_5:                               ; =>This Inner Loop Header: Depth=1
	v_lshlrev_b64 v[3:4], 3, v[1:2]
	s_or_b32 s15, s15, exec_lo
	s_mov_b32 s20, exec_lo
	s_delay_alu instid0(VALU_DEP_1) | instskip(NEXT) | instid1(VALU_DEP_2)
	v_add_co_u32 v3, vcc_lo, s26, v3
	v_add_co_ci_u32_e32 v4, vcc_lo, s27, v4, vcc_lo
	global_load_b64 v[3:4], v[3:4], off
	s_waitcnt vmcnt(0)
	v_fma_mix_f32 v5, v3, v3, v6 op_sel_hi:[1,1,0]
	s_delay_alu instid0(VALU_DEP_1) | instskip(NEXT) | instid1(VALU_DEP_1)
	v_fma_mix_f32 v3, v3, v3, v5 op_sel:[1,1,0] op_sel_hi:[1,1,0]
	v_fma_mix_f32 v5, v4, v4, v3 op_sel_hi:[1,1,0]
	v_add_nc_u32_e32 v3, v1, v7
	s_delay_alu instid0(VALU_DEP_2) | instskip(NEXT) | instid1(VALU_DEP_2)
	v_fma_mix_f32 v6, v4, v4, v5 op_sel:[1,1,0] op_sel_hi:[1,1,0]
	v_cmpx_gt_u32_e64 s8, v3
	s_cbranch_execz .LBB61_4
; %bb.6:                                ;   in Loop: Header=BB61_5 Depth=1
	v_mov_b32_e32 v4, v2
	s_mov_b32 s22, -1
	s_mov_b32 s21, exec_lo
	s_delay_alu instid0(VALU_DEP_1) | instskip(NEXT) | instid1(VALU_DEP_1)
	v_lshlrev_b64 v[4:5], 3, v[3:4]
	v_add_co_u32 v4, vcc_lo, s26, v4
	s_delay_alu instid0(VALU_DEP_2) | instskip(SKIP_3) | instid1(VALU_DEP_1)
	v_add_co_ci_u32_e32 v5, vcc_lo, s27, v5, vcc_lo
	global_load_b64 v[4:5], v[4:5], off
	s_waitcnt vmcnt(0)
	v_fma_mix_f32 v6, v4, v4, v6 op_sel_hi:[1,1,0]
	v_fma_mix_f32 v4, v4, v4, v6 op_sel:[1,1,0] op_sel_hi:[1,1,0]
	s_delay_alu instid0(VALU_DEP_1) | instskip(SKIP_1) | instid1(VALU_DEP_2)
	v_fma_mix_f32 v6, v5, v5, v4 op_sel_hi:[1,1,0]
	v_add_nc_u32_e32 v4, v9, v1
	v_fma_mix_f32 v6, v5, v5, v6 op_sel:[1,1,0] op_sel_hi:[1,1,0]
	s_delay_alu instid0(VALU_DEP_2)
	v_cmpx_gt_u32_e64 s8, v4
	s_cbranch_execz .LBB61_3
; %bb.7:                                ;   in Loop: Header=BB61_5 Depth=1
	v_mov_b32_e32 v5, v2
	v_add_nc_u32_e32 v1, v8, v1
	s_mov_b32 s23, -1
	s_mov_b32 s22, exec_lo
	s_delay_alu instid0(VALU_DEP_2) | instskip(NEXT) | instid1(VALU_DEP_1)
	v_lshlrev_b64 v[4:5], 3, v[4:5]
	v_add_co_u32 v4, vcc_lo, s26, v4
	s_delay_alu instid0(VALU_DEP_2) | instskip(SKIP_3) | instid1(VALU_DEP_1)
	v_add_co_ci_u32_e32 v5, vcc_lo, s27, v5, vcc_lo
	global_load_b64 v[4:5], v[4:5], off
	s_waitcnt vmcnt(0)
	v_fma_mix_f32 v6, v4, v4, v6 op_sel_hi:[1,1,0]
	v_fma_mix_f32 v4, v4, v4, v6 op_sel:[1,1,0] op_sel_hi:[1,1,0]
	s_delay_alu instid0(VALU_DEP_1) | instskip(NEXT) | instid1(VALU_DEP_1)
	v_fma_mix_f32 v4, v5, v5, v4 op_sel_hi:[1,1,0]
	v_fma_mix_f32 v6, v5, v5, v4 op_sel:[1,1,0] op_sel_hi:[1,1,0]
	v_cmpx_gt_u32_e64 s8, v1
	s_xor_b32 s22, exec_lo, s22
	s_cbranch_execz .LBB61_2
; %bb.8:                                ;   in Loop: Header=BB61_5 Depth=1
	v_lshlrev_b64 v[4:5], 3, v[1:2]
	s_delay_alu instid0(VALU_DEP_1) | instskip(NEXT) | instid1(VALU_DEP_2)
	v_add_co_u32 v4, vcc_lo, s26, v4
	v_add_co_ci_u32_e32 v5, vcc_lo, s27, v5, vcc_lo
	global_load_b64 v[4:5], v[4:5], off
	s_waitcnt vmcnt(0)
	v_fma_mix_f32 v1, v4, v4, v6 op_sel_hi:[1,1,0]
	s_delay_alu instid0(VALU_DEP_1) | instskip(SKIP_1) | instid1(VALU_DEP_2)
	v_fma_mix_f32 v4, v4, v4, v1 op_sel:[1,1,0] op_sel_hi:[1,1,0]
	v_add3_u32 v1, v10, v7, v3
	v_fma_mix_f32 v3, v5, v5, v4 op_sel_hi:[1,1,0]
	s_delay_alu instid0(VALU_DEP_2) | instskip(NEXT) | instid1(VALU_DEP_2)
	v_cmp_le_u32_e32 vcc_lo, s8, v1
	v_fma_mix_f32 v6, v5, v5, v3 op_sel:[1,1,0] op_sel_hi:[1,1,0]
	s_or_not1_b32 s23, vcc_lo, exec_lo
	s_branch .LBB61_2
.LBB61_9:
	s_or_b32 exec_lo, exec_lo, s9
.LBB61_10:
	s_delay_alu instid0(SALU_CYCLE_1) | instskip(SKIP_4) | instid1(VALU_DEP_2)
	s_or_b32 exec_lo, exec_lo, s3
	v_mbcnt_lo_u32_b32 v1, -1, 0
	s_load_b32 s3, s[18:19], 0xc
	v_and_b32_e32 v7, 0x3e0, v0
	s_mov_b32 s9, exec_lo
	v_cmp_ne_u32_e32 vcc_lo, 31, v1
	v_add_nc_u32_e32 v3, 1, v1
	v_add_co_ci_u32_e32 v2, vcc_lo, 0, v1, vcc_lo
	v_cmp_gt_u32_e32 vcc_lo, 30, v1
	s_delay_alu instid0(VALU_DEP_2)
	v_lshlrev_b32_e32 v2, 2, v2
	v_cndmask_b32_e64 v5, 0, 1, vcc_lo
	ds_bpermute_b32 v4, v2, v6
	s_waitcnt lgkmcnt(0)
	s_and_b32 s3, s3, 0xffff
	v_lshlrev_b32_e32 v5, 1, v5
	v_sub_nc_u32_e64 v12, s3, v7 clamp
	s_delay_alu instid0(VALU_DEP_1) | instskip(SKIP_1) | instid1(VALU_DEP_4)
	v_cmp_lt_u32_e32 vcc_lo, v3, v12
	v_add_f32_e32 v7, v6, v4
	v_add_lshl_u32 v4, v5, v1, 2
	s_delay_alu instid0(VALU_DEP_2) | instskip(SKIP_2) | instid1(VALU_DEP_1)
	v_cndmask_b32_e32 v7, v6, v7, vcc_lo
	v_cmp_gt_u32_e32 vcc_lo, 28, v1
	v_cndmask_b32_e64 v5, 0, 1, vcc_lo
	v_lshlrev_b32_e32 v8, 2, v5
	ds_bpermute_b32 v6, v4, v7
	v_add_nc_u32_e32 v5, 2, v1
	s_delay_alu instid0(VALU_DEP_1) | instskip(SKIP_3) | instid1(VALU_DEP_2)
	v_cmp_lt_u32_e32 vcc_lo, v5, v12
	s_waitcnt lgkmcnt(0)
	v_add_f32_e32 v9, v7, v6
	v_add_lshl_u32 v6, v8, v1, 2
	v_cndmask_b32_e32 v9, v7, v9, vcc_lo
	v_cmp_gt_u32_e32 vcc_lo, 24, v1
	ds_bpermute_b32 v8, v6, v9
	v_cndmask_b32_e64 v7, 0, 1, vcc_lo
	s_delay_alu instid0(VALU_DEP_1) | instskip(SKIP_1) | instid1(VALU_DEP_1)
	v_lshlrev_b32_e32 v10, 3, v7
	v_add_nc_u32_e32 v7, 4, v1
	v_cmp_lt_u32_e32 vcc_lo, v7, v12
	s_waitcnt lgkmcnt(0)
	v_add_f32_e32 v11, v9, v8
	v_add_lshl_u32 v8, v10, v1, 2
	s_delay_alu instid0(VALU_DEP_2) | instskip(SKIP_3) | instid1(VALU_DEP_1)
	v_cndmask_b32_e32 v11, v9, v11, vcc_lo
	v_cmp_gt_u32_e32 vcc_lo, 16, v1
	ds_bpermute_b32 v10, v8, v11
	v_cndmask_b32_e64 v9, 0, 1, vcc_lo
	v_lshlrev_b32_e32 v13, 4, v9
	v_add_nc_u32_e32 v9, 8, v1
	s_delay_alu instid0(VALU_DEP_1) | instskip(SKIP_3) | instid1(VALU_DEP_2)
	v_cmp_lt_u32_e32 vcc_lo, v9, v12
	s_waitcnt lgkmcnt(0)
	v_add_f32_e32 v14, v11, v10
	v_add_lshl_u32 v10, v13, v1, 2
	v_cndmask_b32_e32 v13, v11, v14, vcc_lo
	v_add_nc_u32_e32 v11, 16, v1
	ds_bpermute_b32 v14, v10, v13
	v_cmp_lt_u32_e32 vcc_lo, v11, v12
	s_waitcnt lgkmcnt(0)
	v_add_f32_e32 v14, v13, v14
	s_delay_alu instid0(VALU_DEP_1)
	v_cndmask_b32_e32 v12, v13, v14, vcc_lo
	v_cmpx_eq_u32_e32 0, v1
	s_cbranch_execz .LBB61_12
; %bb.11:
	v_lshrrev_b32_e32 v13, 3, v0
	s_delay_alu instid0(VALU_DEP_1)
	v_and_b32_e32 v13, 0x7c, v13
	ds_store_b32 v13, v12 offset:4096
.LBB61_12:
	s_or_b32 exec_lo, exec_lo, s9
	s_delay_alu instid0(SALU_CYCLE_1)
	s_mov_b32 s9, exec_lo
	s_waitcnt lgkmcnt(0)
	s_barrier
	buffer_gl0_inv
	v_cmpx_gt_u32_e32 32, v0
	s_cbranch_execz .LBB61_14
; %bb.13:
	v_lshlrev_b32_e32 v1, 2, v1
	s_add_i32 s3, s3, 31
	s_delay_alu instid0(SALU_CYCLE_1) | instskip(NEXT) | instid1(SALU_CYCLE_1)
	s_lshr_b32 s3, s3, 5
	v_cmp_gt_u32_e32 vcc_lo, s3, v3
	ds_load_b32 v1, v1 offset:4096
	s_waitcnt lgkmcnt(0)
	ds_bpermute_b32 v2, v2, v1
	s_waitcnt lgkmcnt(0)
	v_add_f32_e32 v2, v1, v2
	s_delay_alu instid0(VALU_DEP_1) | instskip(SKIP_4) | instid1(VALU_DEP_1)
	v_cndmask_b32_e32 v1, v1, v2, vcc_lo
	v_cmp_gt_u32_e32 vcc_lo, s3, v5
	ds_bpermute_b32 v2, v4, v1
	s_waitcnt lgkmcnt(0)
	v_add_f32_e32 v2, v1, v2
	v_cndmask_b32_e32 v1, v1, v2, vcc_lo
	v_cmp_gt_u32_e32 vcc_lo, s3, v7
	ds_bpermute_b32 v2, v6, v1
	s_waitcnt lgkmcnt(0)
	v_add_f32_e32 v2, v1, v2
	s_delay_alu instid0(VALU_DEP_1) | instskip(SKIP_4) | instid1(VALU_DEP_1)
	v_cndmask_b32_e32 v1, v1, v2, vcc_lo
	v_cmp_gt_u32_e32 vcc_lo, s3, v9
	ds_bpermute_b32 v2, v8, v1
	s_waitcnt lgkmcnt(0)
	v_add_f32_e32 v2, v1, v2
	v_cndmask_b32_e32 v1, v1, v2, vcc_lo
	v_cmp_gt_u32_e32 vcc_lo, s3, v11
	ds_bpermute_b32 v2, v10, v1
	s_waitcnt lgkmcnt(0)
	v_add_f32_e32 v2, v1, v2
	s_delay_alu instid0(VALU_DEP_1)
	v_cndmask_b32_e32 v12, v1, v2, vcc_lo
.LBB61_14:
	s_or_b32 exec_lo, exec_lo, s9
	s_delay_alu instid0(SALU_CYCLE_1)
	s_mov_b32 s3, exec_lo
	v_cmpx_eq_u32_e32 0, v0
	s_cbranch_execz .LBB61_16
; %bb.15:
	v_cvt_f32_i32_e32 v1, s13
	s_delay_alu instid0(VALU_DEP_1) | instskip(SKIP_1) | instid1(VALU_DEP_2)
	v_div_scale_f32 v2, null, v1, v1, v12
	v_div_scale_f32 v5, vcc_lo, v12, v1, v12
	v_rcp_f32_e32 v3, v2
	s_waitcnt_depctr 0xfff
	v_fma_f32 v4, -v2, v3, 1.0
	s_delay_alu instid0(VALU_DEP_1) | instskip(NEXT) | instid1(VALU_DEP_1)
	v_fmac_f32_e32 v3, v4, v3
	v_mul_f32_e32 v4, v5, v3
	s_delay_alu instid0(VALU_DEP_1) | instskip(NEXT) | instid1(VALU_DEP_1)
	v_fma_f32 v6, -v2, v4, v5
	v_fmac_f32_e32 v4, v6, v3
	s_delay_alu instid0(VALU_DEP_1) | instskip(NEXT) | instid1(VALU_DEP_1)
	v_fma_f32 v2, -v2, v4, v5
	v_div_fmas_f32 v2, v2, v3, v4
	s_delay_alu instid0(VALU_DEP_1) | instskip(NEXT) | instid1(VALU_DEP_1)
	v_div_fixup_f32 v1, v2, v1, v12
	v_add_f32_e32 v1, s12, v1
	s_delay_alu instid0(VALU_DEP_1) | instskip(SKIP_1) | instid1(VALU_DEP_2)
	v_mul_f32_e32 v2, 0x4b800000, v1
	v_cmp_gt_f32_e32 vcc_lo, 0x800000, v1
	v_cndmask_b32_e32 v1, v1, v2, vcc_lo
	s_delay_alu instid0(VALU_DEP_1) | instskip(SKIP_2) | instid1(VALU_DEP_1)
	v_rsq_f32_e32 v1, v1
	s_waitcnt_depctr 0xfff
	v_mul_f32_e32 v2, 0x45800000, v1
	v_dual_cndmask_b32 v1, v1, v2 :: v_dual_mov_b32 v2, 0
	ds_store_b32 v2, v1 offset:4224
.LBB61_16:
	s_or_b32 exec_lo, exec_lo, s3
	s_ashr_i32 s15, s13, 31
	v_mov_b32_e32 v4, 0
	s_lshr_b32 s3, s15, 26
	s_waitcnt lgkmcnt(0)
	s_add_i32 s3, s13, s3
	s_barrier
	s_ashr_i32 s12, s3, 6
	s_cmp_lt_u32 s16, s29
	buffer_gl0_inv
	s_cselect_b32 s9, 12, 18
	ds_load_b32 v28, v4 offset:4224
	s_add_u32 s18, s18, s9
	s_addc_u32 s19, s19, 0
	s_abs_i32 s9, s12
	global_load_u16 v1, v4, s[18:19]
	v_cvt_f32_u32_e32 v2, s9
	s_sub_i32 s18, 0, s9
	s_ashr_i32 s3, s3, 31
	s_delay_alu instid0(VALU_DEP_1) | instskip(SKIP_2) | instid1(VALU_DEP_1)
	v_rcp_iflag_f32_e32 v2, v2
	s_waitcnt_depctr 0xfff
	v_mul_f32_e32 v2, 0x4f7ffffe, v2
	v_cvt_u32_f32_e32 v2, v2
	s_delay_alu instid0(VALU_DEP_1) | instskip(NEXT) | instid1(VALU_DEP_1)
	v_readfirstlane_b32 s13, v2
	s_mul_i32 s18, s18, s13
	s_delay_alu instid0(SALU_CYCLE_1) | instskip(NEXT) | instid1(SALU_CYCLE_1)
	s_mul_hi_u32 s18, s13, s18
	s_add_i32 s13, s13, s18
	s_waitcnt vmcnt(0)
	v_readfirstlane_b32 s28, v1
	s_delay_alu instid0(VALU_DEP_1) | instskip(NEXT) | instid1(SALU_CYCLE_1)
	s_mul_hi_u32 s13, s28, s13
	s_mul_i32 s18, s13, s9
	s_add_i32 s19, s13, 1
	s_sub_i32 s18, s28, s18
	s_delay_alu instid0(SALU_CYCLE_1)
	s_sub_i32 s20, s18, s9
	s_cmp_ge_u32 s18, s9
	s_cselect_b32 s13, s19, s13
	s_cselect_b32 s18, s20, s18
	s_add_i32 s19, s13, 1
	s_cmp_ge_u32 s18, s9
	s_cselect_b32 s9, s19, s13
	s_delay_alu instid0(SALU_CYCLE_1) | instskip(NEXT) | instid1(SALU_CYCLE_1)
	s_xor_b32 s9, s9, s3
	s_sub_i32 s18, s9, s3
	s_delay_alu instid0(SALU_CYCLE_1) | instskip(SKIP_3) | instid1(VALU_DEP_1)
	s_abs_i32 s3, s18
	s_ashr_i32 s19, s18, 31
	v_cvt_f32_u32_e32 v1, s3
	s_sub_i32 s9, 0, s3
	v_rcp_iflag_f32_e32 v1, v1
	s_waitcnt_depctr 0xfff
	v_mul_f32_e32 v1, 0x4f7ffffe, v1
	s_delay_alu instid0(VALU_DEP_1) | instskip(NEXT) | instid1(VALU_DEP_1)
	v_cvt_u32_f32_e32 v1, v1
	v_mul_lo_u32 v2, s9, v1
	s_ashr_i32 s9, s8, 31
	s_delay_alu instid0(VALU_DEP_1) | instskip(NEXT) | instid1(VALU_DEP_1)
	v_mul_hi_u32 v2, v1, v2
	v_add_nc_u32_e32 v1, v1, v2
	s_delay_alu instid0(VALU_DEP_1) | instskip(NEXT) | instid1(VALU_DEP_1)
	v_mul_hi_u32 v1, v0, v1
	v_mul_lo_u32 v2, v1, s3
	v_add_nc_u32_e32 v3, 1, v1
	s_delay_alu instid0(VALU_DEP_2) | instskip(NEXT) | instid1(VALU_DEP_1)
	v_sub_nc_u32_e32 v2, v0, v2
	v_subrev_nc_u32_e32 v5, s3, v2
	v_cmp_le_u32_e32 vcc_lo, s3, v2
	s_delay_alu instid0(VALU_DEP_2) | instskip(NEXT) | instid1(VALU_DEP_1)
	v_dual_cndmask_b32 v2, v2, v5 :: v_dual_cndmask_b32 v1, v1, v3
	v_cmp_le_u32_e32 vcc_lo, s3, v2
	s_delay_alu instid0(VALU_DEP_2) | instskip(NEXT) | instid1(VALU_DEP_1)
	v_add_nc_u32_e32 v3, 1, v1
	v_cndmask_b32_e32 v1, v1, v3, vcc_lo
	s_delay_alu instid0(VALU_DEP_1) | instskip(NEXT) | instid1(VALU_DEP_1)
	v_xor_b32_e32 v1, s19, v1
	v_subrev_nc_u32_e32 v1, s19, v1
	s_delay_alu instid0(VALU_DEP_1) | instskip(SKIP_1) | instid1(VALU_DEP_2)
	v_ashrrev_i32_e32 v2, 31, v1
	v_mul_lo_u32 v3, v1, s18
	v_lshlrev_b64 v[7:8], 4, v[1:2]
	s_delay_alu instid0(VALU_DEP_2) | instskip(NEXT) | instid1(VALU_DEP_2)
	v_sub_nc_u32_e32 v3, v0, v3
	v_add_co_u32 v5, vcc_lo, v7, 16
	s_delay_alu instid0(VALU_DEP_3) | instskip(NEXT) | instid1(VALU_DEP_1)
	v_add_co_ci_u32_e32 v6, vcc_lo, 0, v8, vcc_lo
	v_cmp_gt_i64_e32 vcc_lo, s[8:9], v[5:6]
	v_cndmask_b32_e32 v6, s9, v6, vcc_lo
	v_cndmask_b32_e32 v5, s8, v5, vcc_lo
	v_add_co_u32 v7, vcc_lo, v7, v3
	v_add_co_ci_u32_e32 v8, vcc_lo, 0, v8, vcc_lo
	s_delay_alu instid0(VALU_DEP_3) | instskip(SKIP_2) | instid1(VALU_DEP_1)
	v_ashrrev_i32_e32 v10, 31, v5
	v_mov_b32_e32 v9, v5
	s_mov_b32 s9, exec_lo
	v_cmpx_lt_i64_e64 v[7:8], v[9:10]
	s_cbranch_execz .LBB61_26
; %bb.17:
	v_lshlrev_b64 v[11:12], 7, v[1:2]
	v_lshlrev_b64 v[13:14], 3, v[3:4]
	v_mov_b32_e32 v4, 0
	s_lshl_b64 s[20:21], s[18:19], 5
	s_mul_hi_i32 s13, s18, 3
	s_mul_i32 s30, s18, 3
	s_lshl_b64 s[22:23], s[18:19], 1
	v_add_co_u32 v19, vcc_lo, v11, v13
	v_add_co_ci_u32_e32 v20, vcc_lo, v12, v14, vcc_lo
	v_dual_mov_b32 v12, v8 :: v_dual_mov_b32 v11, v7
	s_lshl_b64 s[24:25], s[18:19], 3
	s_mov_b32 s31, 0
                                        ; implicit-def: $sgpr33
	s_branch .LBB61_21
.LBB61_18:                              ;   in Loop: Header=BB61_21 Depth=1
	s_or_b32 exec_lo, exec_lo, s36
	s_delay_alu instid0(SALU_CYCLE_1)
	s_or_not1_b32 s3, s3, exec_lo
.LBB61_19:                              ;   in Loop: Header=BB61_21 Depth=1
	s_or_b32 exec_lo, exec_lo, s35
	s_delay_alu instid0(SALU_CYCLE_1) | instskip(SKIP_1) | instid1(SALU_CYCLE_1)
	s_and_not1_b32 s33, s33, exec_lo
	s_and_b32 s3, s3, exec_lo
	s_or_b32 s33, s33, s3
.LBB61_20:                              ;   in Loop: Header=BB61_21 Depth=1
	s_or_b32 exec_lo, exec_lo, s34
	s_delay_alu instid0(SALU_CYCLE_1) | instskip(NEXT) | instid1(SALU_CYCLE_1)
	s_and_b32 s3, exec_lo, s33
	s_or_b32 s31, s3, s31
	s_delay_alu instid0(SALU_CYCLE_1)
	s_and_not1_b32 exec_lo, exec_lo, s31
	s_cbranch_execz .LBB61_25
.LBB61_21:                              ; =>This Inner Loop Header: Depth=1
	v_add_co_u32 v17, vcc_lo, s10, v19
	v_add_co_ci_u32_e32 v18, vcc_lo, s11, v20, vcc_lo
	v_add_co_u32 v15, vcc_lo, s26, v19
	v_add_co_ci_u32_e32 v16, vcc_lo, s27, v20, vcc_lo
	s_or_b32 s33, s33, exec_lo
	global_load_b64 v[13:14], v[17:18], off
	global_load_b64 v[21:22], v[15:16], off
	s_mov_b32 s34, exec_lo
	s_waitcnt vmcnt(1)
	v_lshrrev_b32_e32 v23, 16, v13
	s_waitcnt vmcnt(0) lgkmcnt(0)
	v_fma_mixlo_f16 v24, v28, v21, 0 op_sel_hi:[0,1,0]
	v_fma_mixlo_f16 v21, v28, v21, 0 op_sel:[0,1,0] op_sel_hi:[0,1,0]
	v_lshrrev_b32_e32 v25, 16, v14
	v_fma_mixlo_f16 v26, v28, v22, 0 op_sel_hi:[0,1,0]
	v_fma_mixlo_f16 v22, v28, v22, 0 op_sel:[0,1,0] op_sel_hi:[0,1,0]
	v_mul_f16_e32 v13, v13, v24
	v_mul_f16_e32 v21, v23, v21
	s_delay_alu instid0(VALU_DEP_4) | instskip(NEXT) | instid1(VALU_DEP_4)
	v_mul_f16_e32 v23, v14, v26
	v_mul_f16_e32 v22, v25, v22
	s_delay_alu instid0(VALU_DEP_4) | instskip(NEXT) | instid1(VALU_DEP_4)
	v_cvt_f32_f16_e64 v24, |v13|
	v_cvt_f32_f16_e64 v21, |v21|
	v_add_co_u32 v13, vcc_lo, v11, s18
	v_cvt_f32_f16_e64 v23, |v23|
	v_add_co_ci_u32_e32 v14, vcc_lo, s19, v12, vcc_lo
	s_delay_alu instid0(VALU_DEP_4) | instskip(SKIP_1) | instid1(VALU_DEP_1)
	v_max3_f32 v4, v4, v24, v21
	v_cvt_f32_f16_e64 v21, |v22|
	v_max3_f32 v4, v4, v23, v21
	s_delay_alu instid0(VALU_DEP_4)
	v_cmpx_lt_i64_e64 v[13:14], v[9:10]
	s_cbranch_execz .LBB61_20
; %bb.22:                               ;   in Loop: Header=BB61_21 Depth=1
	v_add_co_u32 v17, vcc_lo, v17, s24
	v_add_co_ci_u32_e32 v18, vcc_lo, s25, v18, vcc_lo
	v_add_co_u32 v15, vcc_lo, v15, s24
	v_add_co_ci_u32_e32 v16, vcc_lo, s25, v16, vcc_lo
	s_mov_b32 s3, -1
	global_load_b64 v[21:22], v[17:18], off
	global_load_b64 v[23:24], v[15:16], off
	s_mov_b32 s35, exec_lo
	s_waitcnt vmcnt(1)
	v_lshrrev_b32_e32 v25, 16, v21
	s_waitcnt vmcnt(0)
	v_fma_mixlo_f16 v26, v28, v23, 0 op_sel_hi:[0,1,0]
	v_fma_mixlo_f16 v23, v28, v23, 0 op_sel:[0,1,0] op_sel_hi:[0,1,0]
	v_lshrrev_b32_e32 v27, 16, v22
	v_fma_mixlo_f16 v29, v28, v24, 0 op_sel_hi:[0,1,0]
	v_fma_mixlo_f16 v24, v28, v24, 0 op_sel:[0,1,0] op_sel_hi:[0,1,0]
	v_mul_f16_e32 v21, v21, v26
	v_mul_f16_e32 v23, v25, v23
	s_delay_alu instid0(VALU_DEP_4) | instskip(NEXT) | instid1(VALU_DEP_4)
	v_mul_f16_e32 v25, v22, v29
	v_mul_f16_e32 v24, v27, v24
	s_delay_alu instid0(VALU_DEP_4) | instskip(NEXT) | instid1(VALU_DEP_4)
	v_cvt_f32_f16_e64 v26, |v21|
	v_cvt_f32_f16_e64 v23, |v23|
	v_add_co_u32 v21, vcc_lo, s22, v11
	v_cvt_f32_f16_e64 v25, |v25|
	v_add_co_ci_u32_e32 v22, vcc_lo, s23, v12, vcc_lo
	s_delay_alu instid0(VALU_DEP_4) | instskip(SKIP_1) | instid1(VALU_DEP_1)
	v_max3_f32 v4, v4, v26, v23
	v_cvt_f32_f16_e64 v23, |v24|
	v_max3_f32 v4, v4, v25, v23
	s_delay_alu instid0(VALU_DEP_4)
	v_cmpx_lt_i64_e64 v[21:22], v[9:10]
	s_cbranch_execz .LBB61_19
; %bb.23:                               ;   in Loop: Header=BB61_21 Depth=1
	v_add_co_u32 v17, vcc_lo, v17, s24
	v_add_co_ci_u32_e32 v18, vcc_lo, s25, v18, vcc_lo
	v_add_co_u32 v15, vcc_lo, v15, s24
	v_add_co_ci_u32_e32 v16, vcc_lo, s25, v16, vcc_lo
	v_add_co_u32 v11, vcc_lo, s30, v11
	global_load_b64 v[21:22], v[17:18], off
	global_load_b64 v[23:24], v[15:16], off
	v_add_co_ci_u32_e32 v12, vcc_lo, s13, v12, vcc_lo
	s_delay_alu instid0(VALU_DEP_1)
	v_cmp_lt_i64_e32 vcc_lo, v[11:12], v[9:10]
                                        ; implicit-def: $vgpr11_vgpr12
	s_waitcnt vmcnt(1)
	v_lshrrev_b32_e32 v25, 16, v21
	s_waitcnt vmcnt(0)
	v_fma_mixlo_f16 v26, v28, v23, 0 op_sel_hi:[0,1,0]
	v_fma_mixlo_f16 v23, v28, v23, 0 op_sel:[0,1,0] op_sel_hi:[0,1,0]
	v_lshrrev_b32_e32 v27, 16, v22
	v_fma_mixlo_f16 v29, v28, v24, 0 op_sel_hi:[0,1,0]
	v_fma_mixlo_f16 v24, v28, v24, 0 op_sel:[0,1,0] op_sel_hi:[0,1,0]
	v_mul_f16_e32 v21, v21, v26
	v_mul_f16_e32 v23, v25, v23
	s_delay_alu instid0(VALU_DEP_4) | instskip(NEXT) | instid1(VALU_DEP_4)
	v_mul_f16_e32 v22, v22, v29
	v_mul_f16_e32 v24, v27, v24
	s_delay_alu instid0(VALU_DEP_4) | instskip(NEXT) | instid1(VALU_DEP_4)
	v_cvt_f32_f16_e64 v21, |v21|
	v_cvt_f32_f16_e64 v23, |v23|
	s_delay_alu instid0(VALU_DEP_4) | instskip(NEXT) | instid1(VALU_DEP_2)
	v_cvt_f32_f16_e64 v22, |v22|
	v_max3_f32 v4, v4, v21, v23
	v_cvt_f32_f16_e64 v21, |v24|
	s_delay_alu instid0(VALU_DEP_1) | instskip(SKIP_1) | instid1(SALU_CYCLE_1)
	v_max3_f32 v4, v4, v22, v21
	s_and_saveexec_b32 s36, vcc_lo
	s_xor_b32 s36, exec_lo, s36
	s_cbranch_execz .LBB61_18
; %bb.24:                               ;   in Loop: Header=BB61_21 Depth=1
	v_add_co_u32 v11, vcc_lo, v17, s24
	v_add_co_ci_u32_e32 v12, vcc_lo, s25, v18, vcc_lo
	v_add_co_u32 v15, vcc_lo, v15, s24
	v_add_co_ci_u32_e32 v16, vcc_lo, s25, v16, vcc_lo
	s_add_u32 s3, s18, s18
	global_load_b64 v[11:12], v[11:12], off
	global_load_b64 v[15:16], v[15:16], off
	s_addc_u32 s37, s19, s19
	s_add_u32 s3, s3, s18
	s_addc_u32 s37, s37, s19
	s_waitcnt vmcnt(1)
	v_lshrrev_b32_e32 v17, 16, v11
	s_waitcnt vmcnt(0)
	v_fma_mixlo_f16 v18, v28, v15, 0 op_sel_hi:[0,1,0]
	v_fma_mixlo_f16 v15, v28, v15, 0 op_sel:[0,1,0] op_sel_hi:[0,1,0]
	v_lshrrev_b32_e32 v21, 16, v12
	v_fma_mixlo_f16 v22, v28, v16, 0 op_sel_hi:[0,1,0]
	v_fma_mixlo_f16 v16, v28, v16, 0 op_sel:[0,1,0] op_sel_hi:[0,1,0]
	v_mul_f16_e32 v11, v11, v18
	v_mul_f16_e32 v15, v17, v15
	s_delay_alu instid0(VALU_DEP_4) | instskip(NEXT) | instid1(VALU_DEP_4)
	v_mul_f16_e32 v17, v12, v22
	v_mul_f16_e32 v16, v21, v16
	s_delay_alu instid0(VALU_DEP_4) | instskip(NEXT) | instid1(VALU_DEP_4)
	v_cvt_f32_f16_e64 v18, |v11|
	v_cvt_f32_f16_e64 v15, |v15|
	v_add_co_u32 v11, vcc_lo, s3, v13
	v_add_co_ci_u32_e32 v12, vcc_lo, s37, v14, vcc_lo
	v_cvt_f32_f16_e64 v13, |v17|
	v_cvt_f32_f16_e64 v14, |v16|
	v_max3_f32 v4, v4, v18, v15
	s_delay_alu instid0(VALU_DEP_4) | instskip(SKIP_1) | instid1(VALU_DEP_1)
	v_cmp_ge_i64_e32 vcc_lo, v[11:12], v[9:10]
	v_add_co_u32 v19, s3, v19, s20
	v_add_co_ci_u32_e64 v20, s3, s21, v20, s3
	s_delay_alu instid0(VALU_DEP_4)
	v_max3_f32 v4, v4, v13, v14
	s_or_not1_b32 s3, vcc_lo, exec_lo
	s_branch .LBB61_18
.LBB61_25:
	s_or_b32 exec_lo, exec_lo, s31
.LBB61_26:
	s_delay_alu instid0(SALU_CYCLE_1)
	s_or_b32 exec_lo, exec_lo, s9
	s_lshr_b32 s9, s28, 5
	v_lshlrev_b32_e32 v29, 2, v0
	v_cvt_f32_u32_e32 v9, s9
	s_sub_i32 s13, 0, s9
	s_add_i32 s20, s12, s9
	s_delay_alu instid0(SALU_CYCLE_1) | instskip(NEXT) | instid1(VALU_DEP_1)
	s_add_i32 s20, s20, -1
	v_rcp_iflag_f32_e32 v9, v9
	s_abs_i32 s21, s20
	s_ashr_i32 s20, s20, 31
	ds_store_b32 v29, v4
	s_waitcnt lgkmcnt(0)
	s_barrier
	buffer_gl0_inv
	v_mul_f32_e32 v9, 0x4f7ffffe, v9
	s_delay_alu instid0(VALU_DEP_1) | instskip(NEXT) | instid1(VALU_DEP_1)
	v_cvt_u32_f32_e32 v9, v9
	v_readfirstlane_b32 s3, v9
	s_delay_alu instid0(VALU_DEP_1) | instskip(NEXT) | instid1(SALU_CYCLE_1)
	s_mul_i32 s13, s13, s3
	s_mul_hi_u32 s13, s3, s13
	s_delay_alu instid0(SALU_CYCLE_1) | instskip(NEXT) | instid1(SALU_CYCLE_1)
	s_add_i32 s3, s3, s13
	s_mul_hi_u32 s3, s21, s3
	s_delay_alu instid0(SALU_CYCLE_1) | instskip(NEXT) | instid1(SALU_CYCLE_1)
	s_mul_i32 s13, s3, s9
	s_sub_i32 s13, s21, s13
	s_add_i32 s21, s3, 1
	s_sub_i32 s22, s13, s9
	s_cmp_ge_u32 s13, s9
	s_cselect_b32 s3, s21, s3
	s_cselect_b32 s13, s22, s13
	s_add_i32 s21, s3, 1
	s_cmp_ge_u32 s13, s9
	s_cselect_b32 s3, s21, s3
	s_delay_alu instid0(SALU_CYCLE_1) | instskip(NEXT) | instid1(SALU_CYCLE_1)
	s_xor_b32 s3, s3, s20
	s_sub_i32 s20, s3, s20
	s_delay_alu instid0(SALU_CYCLE_1) | instskip(NEXT) | instid1(SALU_CYCLE_1)
	s_ashr_i32 s21, s20, 31
	v_cmp_lt_i64_e64 s3, s[20:21], 1
	s_delay_alu instid0(VALU_DEP_1)
	s_and_b32 vcc_lo, exec_lo, s3
	s_cbranch_vccnz .LBB61_46
; %bb.27:
	v_lshrrev_b32_e32 v9, 5, v0
	v_and_b32_e32 v4, 31, v0
	s_ashr_i32 s13, s12, 31
	s_mov_b64 s[22:23], 0
	s_mov_b64 s[24:25], src_shared_base
	v_mul_lo_u32 v19, s18, v9
	v_add_co_u32 v11, s3, v4, 16
	s_delay_alu instid0(VALU_DEP_1) | instskip(SKIP_1) | instid1(VALU_DEP_1)
	v_add_co_ci_u32_e64 v12, null, 0, 0, s3
	v_add_co_u32 v13, s3, v4, 8
	v_add_co_ci_u32_e64 v14, null, 0, 0, s3
	v_add_co_u32 v15, s3, v4, 4
	v_dual_mov_b32 v10, 0 :: v_dual_lshlrev_b32 v21, 2, v19
	v_lshlrev_b32_e32 v22, 2, v4
	v_add_co_ci_u32_e64 v16, null, 0, 0, s3
	v_add_co_u32 v17, s3, v4, 2
	s_delay_alu instid0(VALU_DEP_1) | instskip(SKIP_1) | instid1(VALU_DEP_1)
	v_add_co_ci_u32_e64 v18, null, 0, 0, s3
	v_add_co_u32 v19, s3, v4, 1
	v_add_co_ci_u32_e64 v20, null, 0, 0, s3
	v_add3_u32 v30, v21, v22, 0x80
	s_mul_i32 s3, s18, s9
	s_delay_alu instid0(SALU_CYCLE_1)
	s_lshl_b32 s30, s3, 2
	s_branch .LBB61_30
.LBB61_28:                              ;   in Loop: Header=BB61_30 Depth=1
	s_or_b32 exec_lo, exec_lo, s3
	v_mov_b32_e32 v22, s25
	flat_load_b32 v21, v[21:22] glc dlc
	s_waitcnt vmcnt(0)
.LBB61_29:                              ;   in Loop: Header=BB61_30 Depth=1
	s_or_b32 exec_lo, exec_lo, s24
	s_add_u32 s22, s22, 1
	v_add_nc_u32_e32 v30, s30, v30
	s_addc_u32 s23, s23, 0
	s_delay_alu instid0(SALU_CYCLE_1)
	s_cmp_eq_u64 s[22:23], s[20:21]
	s_cbranch_scc1 .LBB61_46
.LBB61_30:                              ; =>This Loop Header: Depth=1
                                        ;     Child Loop BB61_33 Depth 2
	s_waitcnt lgkmcnt(0)
	v_mad_u64_u32 v[21:22], null, s22, s9, v[9:10]
	s_mov_b32 s24, exec_lo
	s_delay_alu instid0(VALU_DEP_1) | instskip(NEXT) | instid1(VALU_DEP_1)
	v_mad_u64_u32 v[23:24], null, s23, s9, v[22:23]
	v_mov_b32_e32 v22, v23
	s_delay_alu instid0(VALU_DEP_1)
	v_cmpx_gt_i64_e64 s[12:13], v[21:22]
	s_cbranch_execz .LBB61_29
; %bb.31:                               ;   in Loop: Header=BB61_30 Depth=1
	v_mul_lo_u32 v24, v22, s18
	v_mul_lo_u32 v25, v21, s19
	v_mad_u64_u32 v[22:23], null, v21, s18, 0
	s_delay_alu instid0(VALU_DEP_1) | instskip(NEXT) | instid1(VALU_DEP_2)
	v_add3_u32 v23, v23, v25, v24
	v_add_co_u32 v24, vcc_lo, v22, s18
	v_add_co_u32 v31, s3, v22, v4
	s_delay_alu instid0(VALU_DEP_3) | instskip(SKIP_2) | instid1(VALU_DEP_2)
	v_add_co_ci_u32_e32 v25, vcc_lo, s19, v23, vcc_lo
	v_add_co_ci_u32_e64 v21, s3, 0, v23, s3
	s_mov_b32 s3, exec_lo
	v_cmp_gt_i64_e32 vcc_lo, s[14:15], v[24:25]
	v_cndmask_b32_e32 v25, s15, v25, vcc_lo
	v_cndmask_b32_e32 v24, s14, v24, vcc_lo
	v_add_co_u32 v26, vcc_lo, v31, 32
	v_add_co_ci_u32_e32 v27, vcc_lo, 0, v21, vcc_lo
	v_lshlrev_b32_e32 v21, 2, v31
	s_delay_alu instid0(VALU_DEP_2)
	v_cmpx_lt_i64_e64 v[26:27], v[24:25]
	s_cbranch_execz .LBB61_34
; %bb.32:                               ;   in Loop: Header=BB61_30 Depth=1
	ds_load_b32 v33, v21
	v_mov_b32_e32 v32, v30
	s_mov_b32 s31, 0
.LBB61_33:                              ;   Parent Loop BB61_30 Depth=1
                                        ; =>  This Inner Loop Header: Depth=2
	ds_load_b32 v34, v32
	v_add_co_u32 v26, vcc_lo, v26, 32
	v_add_co_ci_u32_e32 v27, vcc_lo, 0, v27, vcc_lo
	s_waitcnt lgkmcnt(1)
	v_dual_max_f32 v33, v33, v33 :: v_dual_add_nc_u32 v32, 0x80, v32
	s_delay_alu instid0(VALU_DEP_2) | instskip(SKIP_3) | instid1(VALU_DEP_1)
	v_cmp_ge_i64_e32 vcc_lo, v[26:27], v[24:25]
	s_or_b32 s31, vcc_lo, s31
	s_waitcnt lgkmcnt(0)
	v_max_f32_e32 v34, v34, v34
	v_max_f32_e32 v33, v33, v34
	ds_store_b32 v21, v33
	s_and_not1_b32 exec_lo, exec_lo, s31
	s_cbranch_execnz .LBB61_33
.LBB61_34:                              ;   in Loop: Header=BB61_30 Depth=1
	s_or_b32 exec_lo, exec_lo, s3
	v_sub_co_u32 v22, vcc_lo, v24, v22
	v_sub_co_ci_u32_e32 v23, vcc_lo, v25, v23, vcc_lo
	s_mov_b32 s3, exec_lo
	s_delay_alu instid0(VALU_DEP_1) | instskip(SKIP_1) | instid1(VALU_DEP_1)
	v_cmp_gt_i64_e32 vcc_lo, 32, v[22:23]
	v_dual_cndmask_b32 v24, 0, v23 :: v_dual_cndmask_b32 v23, 32, v22
	v_cmpx_lt_i64_e64 v[11:12], v[23:24]
	s_cbranch_execz .LBB61_36
; %bb.35:                               ;   in Loop: Header=BB61_30 Depth=1
	v_dual_mov_b32 v22, s25 :: v_dual_add_nc_u32 v25, 64, v21
	v_mov_b32_e32 v26, s25
	flat_load_b32 v27, v[21:22] glc dlc
	s_waitcnt vmcnt(0)
	flat_load_b32 v25, v[25:26] glc dlc
	s_waitcnt vmcnt(0) lgkmcnt(0)
	v_dual_max_f32 v26, v27, v27 :: v_dual_max_f32 v25, v25, v25
	s_delay_alu instid0(VALU_DEP_1)
	v_max_f32_e32 v25, v26, v25
	flat_store_b32 v[21:22], v25 dlc
	s_waitcnt_vscnt null, 0x0
.LBB61_36:                              ;   in Loop: Header=BB61_30 Depth=1
	s_or_b32 exec_lo, exec_lo, s3
	s_delay_alu instid0(SALU_CYCLE_1)
	s_mov_b32 s3, exec_lo
	v_cmpx_lt_i64_e64 v[13:14], v[23:24]
	s_cbranch_execz .LBB61_38
; %bb.37:                               ;   in Loop: Header=BB61_30 Depth=1
	v_dual_mov_b32 v22, s25 :: v_dual_add_nc_u32 v25, 32, v21
	v_mov_b32_e32 v26, s25
	flat_load_b32 v27, v[21:22] glc dlc
	s_waitcnt vmcnt(0)
	flat_load_b32 v25, v[25:26] glc dlc
	s_waitcnt vmcnt(0) lgkmcnt(0)
	v_dual_max_f32 v26, v27, v27 :: v_dual_max_f32 v25, v25, v25
	s_delay_alu instid0(VALU_DEP_1)
	v_max_f32_e32 v25, v26, v25
	flat_store_b32 v[21:22], v25 dlc
	s_waitcnt_vscnt null, 0x0
.LBB61_38:                              ;   in Loop: Header=BB61_30 Depth=1
	s_or_b32 exec_lo, exec_lo, s3
	s_delay_alu instid0(SALU_CYCLE_1)
	s_mov_b32 s3, exec_lo
	v_cmpx_ge_i64_e64 v[15:16], v[23:24]
	s_xor_b32 s3, exec_lo, s3
; %bb.39:                               ;   in Loop: Header=BB61_30 Depth=1
                                        ; implicit-def: $vgpr21
; %bb.40:                               ;   in Loop: Header=BB61_30 Depth=1
	s_delay_alu instid0(SALU_CYCLE_1)
	s_and_not1_saveexec_b32 s3, s3
	s_cbranch_execz .LBB61_42
; %bb.41:                               ;   in Loop: Header=BB61_30 Depth=1
	v_dual_mov_b32 v22, s25 :: v_dual_add_nc_u32 v25, 16, v21
	v_mov_b32_e32 v26, s25
	flat_load_b32 v27, v[21:22] glc dlc
	s_waitcnt vmcnt(0)
	flat_load_b32 v25, v[25:26] glc dlc
	s_waitcnt vmcnt(0) lgkmcnt(0)
	v_dual_max_f32 v26, v27, v27 :: v_dual_max_f32 v25, v25, v25
	s_delay_alu instid0(VALU_DEP_1)
	v_max_f32_e32 v25, v26, v25
	flat_store_b32 v[21:22], v25 dlc
	s_waitcnt_vscnt null, 0x0
.LBB61_42:                              ;   in Loop: Header=BB61_30 Depth=1
	s_or_b32 exec_lo, exec_lo, s3
	v_lshlrev_b32_e32 v21, 2, v31
	s_mov_b32 s3, exec_lo
	v_cmpx_lt_i64_e64 v[17:18], v[23:24]
	s_cbranch_execz .LBB61_44
; %bb.43:                               ;   in Loop: Header=BB61_30 Depth=1
	s_delay_alu instid0(VALU_DEP_2)
	v_dual_mov_b32 v22, s25 :: v_dual_add_nc_u32 v25, 8, v21
	v_mov_b32_e32 v26, s25
	flat_load_b32 v27, v[21:22] glc dlc
	s_waitcnt vmcnt(0)
	flat_load_b32 v25, v[25:26] glc dlc
	s_waitcnt vmcnt(0) lgkmcnt(0)
	v_dual_max_f32 v26, v27, v27 :: v_dual_max_f32 v25, v25, v25
	s_delay_alu instid0(VALU_DEP_1)
	v_max_f32_e32 v25, v26, v25
	flat_store_b32 v[21:22], v25 dlc
	s_waitcnt_vscnt null, 0x0
.LBB61_44:                              ;   in Loop: Header=BB61_30 Depth=1
	s_or_b32 exec_lo, exec_lo, s3
	s_delay_alu instid0(SALU_CYCLE_1)
	s_mov_b32 s3, exec_lo
	v_cmpx_lt_i64_e64 v[19:20], v[23:24]
	s_cbranch_execz .LBB61_28
; %bb.45:                               ;   in Loop: Header=BB61_30 Depth=1
	v_dual_mov_b32 v22, s25 :: v_dual_add_nc_u32 v23, 4, v21
	v_mov_b32_e32 v24, s25
	flat_load_b32 v25, v[21:22] glc dlc
	s_waitcnt vmcnt(0)
	flat_load_b32 v23, v[23:24] glc dlc
	s_waitcnt vmcnt(0) lgkmcnt(0)
	v_dual_max_f32 v24, v25, v25 :: v_dual_max_f32 v23, v23, v23
	s_delay_alu instid0(VALU_DEP_1)
	v_max_f32_e32 v23, v24, v23
	flat_store_b32 v[21:22], v23 dlc
	s_waitcnt_vscnt null, 0x0
	s_branch .LBB61_28
.LBB61_46:
	s_load_b64 s[12:13], s[0:1], 0x40
	v_cmp_lt_i64_e32 vcc_lo, v[7:8], v[5:6]
	v_cmp_eq_u32_e64 s3, 0, v3
	s_waitcnt lgkmcnt(0)
	s_barrier
	buffer_gl0_inv
	s_and_b32 s9, s3, vcc_lo
	s_delay_alu instid0(SALU_CYCLE_1)
	s_and_saveexec_b32 s3, s9
	s_cbranch_execz .LBB61_53
; %bb.47:
	s_load_b64 s[0:1], s[0:1], 0x20
	ds_load_b32 v5, v29
	s_waitcnt lgkmcnt(0)
	s_cmp_eq_u64 s[0:1], 0
	s_cbranch_scc1 .LBB61_49
; %bb.48:
	s_load_b32 s0, s[0:1], 0x0
	v_max_f32_e32 v3, v5, v5
	s_waitcnt lgkmcnt(0)
	v_max_f32_e64 v4, s0, s0
	s_delay_alu instid0(VALU_DEP_1)
	v_min_f32_e32 v5, v3, v4
.LBB61_49:
	s_add_u32 s0, s12, s29
	s_addc_u32 s1, s13, 0
	s_add_u32 s18, s0, -1
	s_addc_u32 s19, s1, -1
	s_delay_alu instid0(SALU_CYCLE_1) | instskip(SKIP_1) | instid1(SALU_CYCLE_1)
	s_or_b64 s[20:21], s[18:19], s[12:13]
	s_mov_b32 s20, 0
	s_cmp_lg_u64 s[20:21], 0
	s_cbranch_scc0 .LBB61_194
; %bb.50:
	s_ashr_i32 s0, s13, 31
	s_delay_alu instid0(SALU_CYCLE_1) | instskip(SKIP_2) | instid1(SALU_CYCLE_1)
	s_add_u32 s22, s12, s0
	s_mov_b32 s1, s0
	s_addc_u32 s23, s13, s0
	s_xor_b64 s[0:1], s[22:23], s[0:1]
	s_delay_alu instid0(SALU_CYCLE_1) | instskip(SKIP_3) | instid1(VALU_DEP_1)
	v_cvt_f32_u32_e32 v3, s0
	v_cvt_f32_u32_e32 v4, s1
	s_sub_u32 s22, 0, s0
	s_subb_u32 s23, 0, s1
	v_fmamk_f32 v3, v4, 0x4f800000, v3
	s_delay_alu instid0(VALU_DEP_1) | instskip(SKIP_2) | instid1(VALU_DEP_1)
	v_rcp_f32_e32 v3, v3
	s_waitcnt_depctr 0xfff
	v_mul_f32_e32 v3, 0x5f7ffffc, v3
	v_mul_f32_e32 v4, 0x2f800000, v3
	s_delay_alu instid0(VALU_DEP_1) | instskip(NEXT) | instid1(VALU_DEP_1)
	v_trunc_f32_e32 v4, v4
	v_fmamk_f32 v3, v4, 0xcf800000, v3
	v_cvt_u32_f32_e32 v4, v4
	s_delay_alu instid0(VALU_DEP_2) | instskip(NEXT) | instid1(VALU_DEP_2)
	v_cvt_u32_f32_e32 v3, v3
	v_readfirstlane_b32 s9, v4
	s_delay_alu instid0(VALU_DEP_2) | instskip(NEXT) | instid1(VALU_DEP_2)
	v_readfirstlane_b32 s21, v3
	s_mul_i32 s24, s22, s9
	s_delay_alu instid0(VALU_DEP_1)
	s_mul_hi_u32 s30, s22, s21
	s_mul_i32 s25, s23, s21
	s_add_i32 s24, s30, s24
	s_mul_i32 s31, s22, s21
	s_add_i32 s24, s24, s25
	s_mul_hi_u32 s30, s21, s31
	s_mul_hi_u32 s33, s9, s31
	s_mul_i32 s25, s9, s31
	s_mul_hi_u32 s31, s21, s24
	s_mul_i32 s21, s21, s24
	s_mul_hi_u32 s34, s9, s24
	s_add_u32 s21, s30, s21
	s_addc_u32 s30, 0, s31
	s_add_u32 s21, s21, s25
	s_mul_i32 s24, s9, s24
	s_addc_u32 s21, s30, s33
	s_addc_u32 s25, s34, 0
	s_add_u32 s21, s21, s24
	s_addc_u32 s24, 0, s25
	v_add_co_u32 v3, s21, v3, s21
	s_delay_alu instid0(VALU_DEP_1) | instskip(SKIP_1) | instid1(VALU_DEP_1)
	s_cmp_lg_u32 s21, 0
	s_addc_u32 s9, s9, s24
	v_readfirstlane_b32 s21, v3
	s_mul_i32 s24, s22, s9
	s_delay_alu instid0(VALU_DEP_1)
	s_mul_hi_u32 s25, s22, s21
	s_mul_i32 s23, s23, s21
	s_add_i32 s24, s25, s24
	s_mul_i32 s22, s22, s21
	s_add_i32 s24, s24, s23
	s_mul_hi_u32 s25, s9, s22
	s_mul_i32 s30, s9, s22
	s_mul_hi_u32 s22, s21, s22
	s_mul_hi_u32 s31, s21, s24
	s_mul_i32 s21, s21, s24
	s_mul_hi_u32 s23, s9, s24
	s_add_u32 s21, s22, s21
	s_addc_u32 s22, 0, s31
	s_add_u32 s21, s21, s30
	s_mul_i32 s24, s9, s24
	s_addc_u32 s21, s22, s25
	s_addc_u32 s22, s23, 0
	s_add_u32 s21, s21, s24
	s_addc_u32 s22, 0, s22
	v_add_co_u32 v3, s21, v3, s21
	s_delay_alu instid0(VALU_DEP_1) | instskip(SKIP_2) | instid1(VALU_DEP_1)
	s_cmp_lg_u32 s21, 0
	s_addc_u32 s9, s9, s22
	s_ashr_i32 s22, s19, 31
	v_readfirstlane_b32 s21, v3
	s_add_u32 s24, s18, s22
	s_mov_b32 s23, s22
	s_addc_u32 s25, s19, s22
	s_delay_alu instid0(SALU_CYCLE_1) | instskip(NEXT) | instid1(SALU_CYCLE_1)
	s_xor_b64 s[24:25], s[24:25], s[22:23]
	s_mul_i32 s30, s24, s9
	s_mul_hi_u32 s31, s24, s21
	s_mul_hi_u32 s23, s24, s9
	s_mul_hi_u32 s34, s25, s21
	s_mul_i32 s21, s25, s21
	s_add_u32 s30, s31, s30
	s_addc_u32 s23, 0, s23
	s_mul_hi_u32 s33, s25, s9
	s_add_u32 s21, s30, s21
	s_mul_i32 s9, s25, s9
	s_addc_u32 s21, s23, s34
	s_addc_u32 s23, s33, 0
	s_add_u32 s9, s21, s9
	s_addc_u32 s21, 0, s23
	s_mul_hi_u32 s23, s0, s9
	s_mul_i32 s21, s0, s21
	s_mul_i32 s30, s1, s9
	;; [unrolled: 1-line block ×3, first 2 shown]
	s_add_i32 s21, s23, s21
	v_sub_co_u32 v3, s9, s24, s9
	s_add_i32 s21, s21, s30
	s_delay_alu instid0(SALU_CYCLE_1) | instskip(SKIP_1) | instid1(VALU_DEP_1)
	s_sub_i32 s23, s25, s21
	s_cmp_lg_u32 s9, 0
	v_sub_co_u32 v4, s24, v3, s0
	s_subb_u32 s23, s23, s1
	s_cmp_lg_u32 s24, 0
	s_subb_u32 s30, s23, 0
	s_delay_alu instid0(VALU_DEP_1)
	v_cmp_le_u32_e32 vcc_lo, s0, v4
	s_cmp_ge_u32 s30, s1
	s_cselect_b32 s31, -1, 0
	s_cmp_eq_u32 s30, s1
	v_cndmask_b32_e64 v6, 0, -1, vcc_lo
	s_cselect_b32 vcc_lo, -1, 0
	s_cmp_lg_u32 s24, 0
	v_sub_co_u32 v7, s24, v4, s0
	s_subb_u32 s23, s23, s1
	s_cmp_lg_u32 s24, 0
	v_cndmask_b32_e32 v6, s31, v6, vcc_lo
	s_subb_u32 s23, s23, 0
	s_cmp_lg_u32 s9, 0
	v_cmp_le_u32_e32 vcc_lo, s0, v3
	s_subb_u32 s9, s25, s21
	s_delay_alu instid0(SALU_CYCLE_1)
	s_cmp_ge_u32 s9, s1
	v_cndmask_b32_e64 v8, 0, -1, vcc_lo
	s_cselect_b32 s21, -1, 0
	s_cmp_eq_u32 s9, s1
	v_cmp_ne_u32_e32 vcc_lo, 0, v6
	v_mov_b32_e32 v6, s23
	s_cselect_b32 s0, -1, 0
	s_delay_alu instid0(SALU_CYCLE_1) | instskip(SKIP_1) | instid1(VALU_DEP_3)
	v_cndmask_b32_e64 v8, s21, v8, s0
	v_cndmask_b32_e32 v4, v4, v7, vcc_lo
	v_cndmask_b32_e32 v6, s30, v6, vcc_lo
	s_delay_alu instid0(VALU_DEP_3) | instskip(NEXT) | instid1(VALU_DEP_3)
	v_cmp_ne_u32_e32 vcc_lo, 0, v8
	v_cndmask_b32_e32 v3, v3, v4, vcc_lo
	s_delay_alu instid0(VALU_DEP_3) | instskip(NEXT) | instid1(VALU_DEP_2)
	v_cndmask_b32_e32 v6, s9, v6, vcc_lo
	v_xor_b32_e32 v3, s22, v3
	s_delay_alu instid0(VALU_DEP_2) | instskip(NEXT) | instid1(VALU_DEP_2)
	v_xor_b32_e32 v4, s22, v6
	v_sub_co_u32 v3, vcc_lo, v3, s22
	s_delay_alu instid0(VALU_DEP_2)
	v_subrev_co_ci_u32_e32 v4, vcc_lo, s22, v4, vcc_lo
	s_and_not1_b32 vcc_lo, exec_lo, s20
	s_cbranch_vccnz .LBB61_52
.LBB61_51:
	v_cvt_f32_u32_e32 v3, s12
	s_sub_i32 s0, 0, s12
	s_delay_alu instid0(VALU_DEP_1) | instskip(SKIP_2) | instid1(VALU_DEP_1)
	v_rcp_iflag_f32_e32 v3, v3
	s_waitcnt_depctr 0xfff
	v_mul_f32_e32 v3, 0x4f7ffffe, v3
	v_cvt_u32_f32_e32 v3, v3
	s_delay_alu instid0(VALU_DEP_1) | instskip(NEXT) | instid1(VALU_DEP_1)
	v_mul_lo_u32 v4, s0, v3
	v_mul_hi_u32 v4, v3, v4
	s_delay_alu instid0(VALU_DEP_1) | instskip(NEXT) | instid1(VALU_DEP_1)
	v_add_nc_u32_e32 v3, v3, v4
	v_mul_hi_u32 v3, s18, v3
	s_delay_alu instid0(VALU_DEP_1) | instskip(NEXT) | instid1(VALU_DEP_1)
	v_mul_lo_u32 v3, v3, s12
	v_sub_nc_u32_e32 v3, s18, v3
	s_delay_alu instid0(VALU_DEP_1) | instskip(SKIP_1) | instid1(VALU_DEP_2)
	v_subrev_nc_u32_e32 v4, s12, v3
	v_cmp_le_u32_e32 vcc_lo, s12, v3
	v_cndmask_b32_e32 v3, v3, v4, vcc_lo
	s_delay_alu instid0(VALU_DEP_1) | instskip(SKIP_1) | instid1(VALU_DEP_2)
	v_subrev_nc_u32_e32 v4, s12, v3
	v_cmp_le_u32_e32 vcc_lo, s12, v3
	v_dual_cndmask_b32 v3, v3, v4 :: v_dual_mov_b32 v4, 0
.LBB61_52:
	v_div_scale_f32 v6, null, 0x43600000, 0x43600000, v5
	v_div_scale_f32 v9, vcc_lo, v5, 0x43600000, v5
	s_delay_alu instid0(VALU_DEP_3) | instskip(NEXT) | instid1(VALU_DEP_3)
	v_sub_co_u32 v10, s0, s18, v3
	v_rcp_f32_e32 v7, v6
	v_sub_co_ci_u32_e64 v3, s0, s19, v4, s0
	s_lshl_b64 s[0:1], s[16:17], 2
	s_delay_alu instid0(SALU_CYCLE_1) | instskip(NEXT) | instid1(VALU_DEP_1)
	s_add_u32 s0, s0, s6
	v_mul_lo_u32 v11, v3, v1
	s_addc_u32 s1, s1, s7
	s_waitcnt_depctr 0xfff
	v_fma_f32 v8, -v6, v7, 1.0
	s_delay_alu instid0(VALU_DEP_1) | instskip(NEXT) | instid1(VALU_DEP_1)
	v_fmac_f32_e32 v7, v8, v7
	v_mul_f32_e32 v8, v9, v7
	s_delay_alu instid0(VALU_DEP_1) | instskip(NEXT) | instid1(VALU_DEP_1)
	v_fma_f32 v4, -v6, v8, v9
	v_fmac_f32_e32 v8, v4, v7
	v_mul_lo_u32 v4, v10, v2
	v_mad_u64_u32 v[2:3], null, v10, v1, 0
	s_delay_alu instid0(VALU_DEP_3) | instskip(NEXT) | instid1(VALU_DEP_2)
	v_fma_f32 v1, -v6, v8, v9
	v_add3_u32 v3, v3, v4, v11
	s_delay_alu instid0(VALU_DEP_2) | instskip(NEXT) | instid1(VALU_DEP_1)
	v_div_fmas_f32 v1, v1, v7, v8
	v_div_fixup_f32 v4, v1, 0x43600000, v5
	s_delay_alu instid0(VALU_DEP_3) | instskip(NEXT) | instid1(VALU_DEP_2)
	v_lshlrev_b64 v[1:2], 2, v[2:3]
	v_max_f32_e32 v3, 0x37124925, v4
	s_delay_alu instid0(VALU_DEP_2) | instskip(NEXT) | instid1(VALU_DEP_3)
	v_add_co_u32 v1, vcc_lo, s0, v1
	v_add_co_ci_u32_e32 v2, vcc_lo, s1, v2, vcc_lo
	global_store_b32 v[1:2], v3, off
.LBB61_53:
	s_or_b32 exec_lo, exec_lo, s3
	s_waitcnt_vscnt null, 0x0
	s_barrier
	buffer_gl0_inv
	s_and_saveexec_b32 s0, s2
	s_cbranch_execz .LBB61_193
; %bb.54:
	s_add_u32 s0, s12, s29
	s_addc_u32 s1, s13, 0
	s_add_u32 s2, s0, -1
	s_addc_u32 s3, s1, -1
	s_delay_alu instid0(SALU_CYCLE_1) | instskip(SKIP_1) | instid1(SALU_CYCLE_1)
	s_or_b64 s[18:19], s[2:3], s[12:13]
	s_mov_b32 s18, 0
	s_cmp_lg_u64 s[18:19], 0
	s_cbranch_scc0 .LBB61_195
; %bb.55:
	s_ashr_i32 s0, s13, 31
	s_delay_alu instid0(SALU_CYCLE_1) | instskip(SKIP_2) | instid1(SALU_CYCLE_1)
	s_add_u32 s20, s12, s0
	s_mov_b32 s1, s0
	s_addc_u32 s21, s13, s0
	s_xor_b64 s[0:1], s[20:21], s[0:1]
	s_delay_alu instid0(SALU_CYCLE_1) | instskip(SKIP_3) | instid1(VALU_DEP_1)
	v_cvt_f32_u32_e32 v1, s0
	v_cvt_f32_u32_e32 v2, s1
	s_sub_u32 s19, 0, s0
	s_subb_u32 s20, 0, s1
	v_fmamk_f32 v1, v2, 0x4f800000, v1
	s_delay_alu instid0(VALU_DEP_1) | instskip(SKIP_2) | instid1(VALU_DEP_1)
	v_rcp_f32_e32 v1, v1
	s_waitcnt_depctr 0xfff
	v_mul_f32_e32 v1, 0x5f7ffffc, v1
	v_mul_f32_e32 v2, 0x2f800000, v1
	s_delay_alu instid0(VALU_DEP_1) | instskip(NEXT) | instid1(VALU_DEP_1)
	v_trunc_f32_e32 v2, v2
	v_fmamk_f32 v1, v2, 0xcf800000, v1
	v_cvt_u32_f32_e32 v2, v2
	s_delay_alu instid0(VALU_DEP_2) | instskip(NEXT) | instid1(VALU_DEP_2)
	v_cvt_u32_f32_e32 v1, v1
	v_readfirstlane_b32 s9, v2
	s_delay_alu instid0(VALU_DEP_2) | instskip(NEXT) | instid1(VALU_DEP_2)
	v_readfirstlane_b32 s13, v1
	s_mul_i32 s21, s19, s9
	s_delay_alu instid0(VALU_DEP_1)
	s_mul_hi_u32 s23, s19, s13
	s_mul_i32 s22, s20, s13
	s_add_i32 s21, s23, s21
	s_mul_i32 s24, s19, s13
	s_add_i32 s21, s21, s22
	s_mul_hi_u32 s23, s13, s24
	s_mul_hi_u32 s25, s9, s24
	s_mul_i32 s22, s9, s24
	s_mul_hi_u32 s24, s13, s21
	s_mul_i32 s13, s13, s21
	s_mul_hi_u32 s29, s9, s21
	s_add_u32 s13, s23, s13
	s_addc_u32 s23, 0, s24
	s_add_u32 s13, s13, s22
	s_mul_i32 s21, s9, s21
	s_addc_u32 s13, s23, s25
	s_addc_u32 s22, s29, 0
	s_add_u32 s13, s13, s21
	s_addc_u32 s21, 0, s22
	v_add_co_u32 v1, s13, v1, s13
	s_delay_alu instid0(VALU_DEP_1) | instskip(SKIP_1) | instid1(VALU_DEP_1)
	s_cmp_lg_u32 s13, 0
	s_addc_u32 s9, s9, s21
	v_readfirstlane_b32 s13, v1
	s_mul_i32 s21, s19, s9
	s_delay_alu instid0(VALU_DEP_1)
	s_mul_hi_u32 s22, s19, s13
	s_mul_i32 s20, s20, s13
	s_add_i32 s21, s22, s21
	s_mul_i32 s19, s19, s13
	s_add_i32 s21, s21, s20
	s_mul_hi_u32 s22, s9, s19
	s_mul_i32 s23, s9, s19
	s_mul_hi_u32 s19, s13, s19
	s_mul_hi_u32 s24, s13, s21
	s_mul_i32 s13, s13, s21
	s_mul_hi_u32 s20, s9, s21
	s_add_u32 s13, s19, s13
	s_addc_u32 s19, 0, s24
	s_add_u32 s13, s13, s23
	s_mul_i32 s21, s9, s21
	s_addc_u32 s13, s19, s22
	s_addc_u32 s19, s20, 0
	s_add_u32 s13, s13, s21
	s_addc_u32 s19, 0, s19
	v_add_co_u32 v1, s13, v1, s13
	s_delay_alu instid0(VALU_DEP_1) | instskip(SKIP_2) | instid1(VALU_DEP_1)
	s_cmp_lg_u32 s13, 0
	s_addc_u32 s9, s9, s19
	s_ashr_i32 s20, s3, 31
	v_readfirstlane_b32 s13, v1
	s_add_u32 s22, s2, s20
	s_mov_b32 s21, s20
	s_addc_u32 s23, s3, s20
	s_delay_alu instid0(SALU_CYCLE_1) | instskip(NEXT) | instid1(SALU_CYCLE_1)
	s_xor_b64 s[22:23], s[22:23], s[20:21]
	s_mul_i32 s21, s22, s9
	s_mul_hi_u32 s24, s22, s13
	s_mul_hi_u32 s19, s22, s9
	;; [unrolled: 1-line block ×3, first 2 shown]
	s_mul_i32 s13, s23, s13
	s_add_u32 s21, s24, s21
	s_addc_u32 s19, 0, s19
	s_mul_hi_u32 s25, s23, s9
	s_add_u32 s13, s21, s13
	s_mul_i32 s9, s23, s9
	s_addc_u32 s13, s19, s29
	s_addc_u32 s19, s25, 0
	s_add_u32 s9, s13, s9
	s_addc_u32 s13, 0, s19
	s_mul_hi_u32 s19, s0, s9
	s_mul_i32 s13, s0, s13
	s_mul_i32 s21, s1, s9
	;; [unrolled: 1-line block ×3, first 2 shown]
	s_add_i32 s13, s19, s13
	v_sub_co_u32 v1, s9, s22, s9
	s_add_i32 s13, s13, s21
	s_delay_alu instid0(SALU_CYCLE_1) | instskip(SKIP_1) | instid1(VALU_DEP_1)
	s_sub_i32 s19, s23, s13
	s_cmp_lg_u32 s9, 0
	v_sub_co_u32 v2, s21, v1, s0
	s_subb_u32 s19, s19, s1
	s_cmp_lg_u32 s21, 0
	s_subb_u32 s22, s19, 0
	s_delay_alu instid0(VALU_DEP_1)
	v_cmp_le_u32_e32 vcc_lo, s0, v2
	s_cmp_ge_u32 s22, s1
	s_cselect_b32 s24, -1, 0
	s_cmp_eq_u32 s22, s1
	v_cndmask_b32_e64 v3, 0, -1, vcc_lo
	s_cselect_b32 vcc_lo, -1, 0
	s_cmp_lg_u32 s21, 0
	v_sub_co_u32 v4, s21, v2, s0
	s_subb_u32 s19, s19, s1
	s_cmp_lg_u32 s21, 0
	v_cndmask_b32_e32 v3, s24, v3, vcc_lo
	s_subb_u32 s19, s19, 0
	s_cmp_lg_u32 s9, 0
	v_cmp_le_u32_e32 vcc_lo, s0, v1
	s_subb_u32 s9, s23, s13
	s_delay_alu instid0(SALU_CYCLE_1)
	s_cmp_ge_u32 s9, s1
	v_cndmask_b32_e64 v5, 0, -1, vcc_lo
	s_cselect_b32 s13, -1, 0
	s_cmp_eq_u32 s9, s1
	v_cmp_ne_u32_e32 vcc_lo, 0, v3
	v_mov_b32_e32 v3, s19
	s_cselect_b32 s0, -1, 0
	s_delay_alu instid0(SALU_CYCLE_1) | instskip(SKIP_1) | instid1(VALU_DEP_3)
	v_cndmask_b32_e64 v5, s13, v5, s0
	v_cndmask_b32_e32 v2, v2, v4, vcc_lo
	v_cndmask_b32_e32 v3, s22, v3, vcc_lo
	s_delay_alu instid0(VALU_DEP_3) | instskip(NEXT) | instid1(VALU_DEP_3)
	v_cmp_ne_u32_e32 vcc_lo, 0, v5
	v_cndmask_b32_e32 v1, v1, v2, vcc_lo
	s_delay_alu instid0(VALU_DEP_3) | instskip(NEXT) | instid1(VALU_DEP_2)
	v_cndmask_b32_e32 v3, s9, v3, vcc_lo
	v_xor_b32_e32 v1, s20, v1
	s_delay_alu instid0(VALU_DEP_2) | instskip(NEXT) | instid1(VALU_DEP_2)
	v_xor_b32_e32 v2, s20, v3
	v_sub_co_u32 v1, vcc_lo, v1, s20
	s_delay_alu instid0(VALU_DEP_2)
	v_subrev_co_ci_u32_e32 v2, vcc_lo, s20, v2, vcc_lo
	s_and_not1_b32 vcc_lo, exec_lo, s18
	s_cbranch_vccnz .LBB61_57
.LBB61_56:
	v_cvt_f32_u32_e32 v1, s12
	s_sub_i32 s0, 0, s12
	s_delay_alu instid0(VALU_DEP_1) | instskip(SKIP_2) | instid1(VALU_DEP_1)
	v_rcp_iflag_f32_e32 v1, v1
	s_waitcnt_depctr 0xfff
	v_mul_f32_e32 v1, 0x4f7ffffe, v1
	v_cvt_u32_f32_e32 v1, v1
	s_delay_alu instid0(VALU_DEP_1) | instskip(NEXT) | instid1(VALU_DEP_1)
	v_mul_lo_u32 v2, s0, v1
	v_mul_hi_u32 v2, v1, v2
	s_delay_alu instid0(VALU_DEP_1) | instskip(NEXT) | instid1(VALU_DEP_1)
	v_add_nc_u32_e32 v1, v1, v2
	v_mul_hi_u32 v1, s2, v1
	s_delay_alu instid0(VALU_DEP_1) | instskip(NEXT) | instid1(VALU_DEP_1)
	v_mul_lo_u32 v1, v1, s12
	v_sub_nc_u32_e32 v1, s2, v1
	s_delay_alu instid0(VALU_DEP_1) | instskip(SKIP_1) | instid1(VALU_DEP_2)
	v_subrev_nc_u32_e32 v2, s12, v1
	v_cmp_le_u32_e32 vcc_lo, s12, v1
	v_cndmask_b32_e32 v1, v1, v2, vcc_lo
	s_delay_alu instid0(VALU_DEP_1) | instskip(SKIP_1) | instid1(VALU_DEP_2)
	v_subrev_nc_u32_e32 v2, s12, v1
	v_cmp_le_u32_e32 vcc_lo, s12, v1
	v_dual_cndmask_b32 v1, v1, v2 :: v_dual_mov_b32 v2, 0
.LBB61_57:
	s_mul_i32 s0, s15, s16
	s_mul_hi_u32 s1, s14, s16
	s_mul_i32 s9, s14, s16
	s_add_i32 s1, s1, s0
	v_sub_co_u32 v9, vcc_lo, s2, v1
	s_add_u32 s0, s4, s9
	s_addc_u32 s1, s5, s1
	s_lshl_b64 s[4:5], s[16:17], 2
	v_sub_co_ci_u32_e32 v10, vcc_lo, s3, v2, vcc_lo
	v_mov_b32_e32 v1, 0
	s_add_u32 s4, s6, s4
	s_addc_u32 s5, s7, s5
	s_mul_i32 s2, s28, 3
	s_lshl_b32 s3, s28, 1
	s_mov_b32 s6, 0
	s_mov_b32 s7, 0x43600000
	s_branch .LBB61_63
.LBB61_58:                              ;   in Loop: Header=BB61_63 Depth=1
	s_or_b32 exec_lo, exec_lo, s16
.LBB61_59:                              ;   in Loop: Header=BB61_63 Depth=1
	s_delay_alu instid0(SALU_CYCLE_1)
	s_or_b32 exec_lo, exec_lo, s14
	v_lshlrev_b32_e32 v6, 16, v5
	v_lshlrev_b64 v[4:5], 2, v[0:1]
	v_lshlrev_b32_e32 v8, 8, v8
	s_add_i32 s14, s28, s28
	v_and_b32_e32 v7, 0xff, v7
	v_add3_u32 v0, s14, s28, v2
	v_perm_b32 v6, v3, v6, 0x4020c0c
	v_and_b32_e32 v8, 0xff00, v8
	v_add_co_u32 v2, vcc_lo, s0, v4
	v_add_co_ci_u32_e32 v3, vcc_lo, s1, v5, vcc_lo
	v_cmp_le_u32_e32 vcc_lo, s8, v0
	s_delay_alu instid0(VALU_DEP_4)
	v_or3_b32 v4, v6, v8, v7
	s_or_not1_b32 s14, vcc_lo, exec_lo
	global_store_b32 v[2:3], v4, off
.LBB61_60:                              ;   in Loop: Header=BB61_63 Depth=1
	s_or_b32 exec_lo, exec_lo, s13
	s_delay_alu instid0(SALU_CYCLE_1)
	s_or_not1_b32 s13, s14, exec_lo
.LBB61_61:                              ;   in Loop: Header=BB61_63 Depth=1
	s_or_b32 exec_lo, exec_lo, s12
	s_delay_alu instid0(SALU_CYCLE_1)
	s_or_not1_b32 s12, s13, exec_lo
.LBB61_62:                              ;   in Loop: Header=BB61_63 Depth=1
	s_or_b32 exec_lo, exec_lo, s9
	s_delay_alu instid0(SALU_CYCLE_1) | instskip(NEXT) | instid1(SALU_CYCLE_1)
	s_and_b32 s9, exec_lo, s12
	s_or_b32 s6, s9, s6
	s_delay_alu instid0(SALU_CYCLE_1)
	s_and_not1_b32 exec_lo, exec_lo, s6
	s_cbranch_execz .LBB61_193
.LBB61_63:                              ; =>This Inner Loop Header: Depth=1
	v_bfe_u32 v3, v0, 4, 26
	v_lshlrev_b64 v[6:7], 3, v[0:1]
	s_mov_b32 s9, exec_lo
	s_delay_alu instid0(VALU_DEP_2) | instskip(NEXT) | instid1(VALU_DEP_1)
	v_mad_u64_u32 v[4:5], null, v9, v3, 0
	v_mov_b32_e32 v2, v5
	s_delay_alu instid0(VALU_DEP_1) | instskip(NEXT) | instid1(VALU_DEP_4)
	v_mad_u64_u32 v[11:12], null, v10, v3, v[2:3]
	v_add_co_u32 v2, vcc_lo, s26, v6
	v_add_co_ci_u32_e32 v3, vcc_lo, s27, v7, vcc_lo
	v_add_co_u32 v6, vcc_lo, s10, v6
	s_delay_alu instid0(VALU_DEP_4)
	v_mov_b32_e32 v5, v11
	v_add_co_ci_u32_e32 v7, vcc_lo, s11, v7, vcc_lo
	global_load_b64 v[2:3], v[2:3], off
	v_lshlrev_b64 v[11:12], 2, v[4:5]
	global_load_b64 v[4:5], v[6:7], off
	v_add_co_u32 v6, vcc_lo, s4, v11
	v_add_co_ci_u32_e32 v7, vcc_lo, s5, v12, vcc_lo
	global_load_b32 v8, v[6:7], off
	s_waitcnt vmcnt(2)
	v_fma_mixlo_f16 v6, v28, v2, 0 op_sel_hi:[0,1,0]
	s_waitcnt vmcnt(1)
	s_delay_alu instid0(VALU_DEP_1) | instskip(NEXT) | instid1(VALU_DEP_1)
	v_mul_f16_e32 v6, v4, v6
	v_cvt_f32_f16_e32 v6, v6
	s_waitcnt vmcnt(0)
	s_delay_alu instid0(VALU_DEP_1) | instskip(SKIP_1) | instid1(VALU_DEP_2)
	v_div_scale_f32 v7, null, v8, v8, v6
	v_div_scale_f32 v13, vcc_lo, v6, v8, v6
	v_rcp_f32_e32 v11, v7
	s_waitcnt_depctr 0xfff
	v_fma_f32 v12, -v7, v11, 1.0
	s_delay_alu instid0(VALU_DEP_1) | instskip(NEXT) | instid1(VALU_DEP_1)
	v_fmac_f32_e32 v11, v12, v11
	v_mul_f32_e32 v12, v13, v11
	s_delay_alu instid0(VALU_DEP_1) | instskip(NEXT) | instid1(VALU_DEP_1)
	v_fma_f32 v14, -v7, v12, v13
	v_fmac_f32_e32 v12, v14, v11
	s_delay_alu instid0(VALU_DEP_1) | instskip(NEXT) | instid1(VALU_DEP_1)
	v_fma_f32 v7, -v7, v12, v13
	v_div_fmas_f32 v7, v7, v11, v12
	s_delay_alu instid0(VALU_DEP_1) | instskip(SKIP_1) | instid1(VALU_DEP_2)
	v_div_fixup_f32 v6, v7, v8, v6
	v_mov_b32_e32 v7, 0x80
	v_minmax_f32 v11, v6, s7, 0xc3600000
	v_mov_b32_e32 v6, 0x80
	s_delay_alu instid0(VALU_DEP_2) | instskip(NEXT) | instid1(VALU_DEP_1)
	v_and_b32_e32 v12, 0x7fffffff, v11
	v_cmpx_gt_u32_e32 0x43800000, v12
	s_cbranch_execz .LBB61_69
; %bb.64:                               ;   in Loop: Header=BB61_63 Depth=1
	v_cmp_lt_u32_e32 vcc_lo, 0x3bffffff, v12
	s_mov_b32 s12, 0
                                        ; implicit-def: $vgpr12
	s_and_saveexec_b32 s13, vcc_lo
	s_delay_alu instid0(SALU_CYCLE_1)
	s_xor_b32 s13, exec_lo, s13
	s_cbranch_execnz .LBB61_160
; %bb.65:                               ;   in Loop: Header=BB61_63 Depth=1
	s_or_saveexec_b32 s13, s13
                                        ; implicit-def: $sgpr14
	s_delay_alu instid0(SALU_CYCLE_1)
	s_xor_b32 exec_lo, exec_lo, s13
	s_cbranch_execnz .LBB61_161
.LBB61_66:                              ;   in Loop: Header=BB61_63 Depth=1
	s_or_b32 exec_lo, exec_lo, s13
	v_mov_b32_e32 v7, s14
	s_and_saveexec_b32 s13, s12
.LBB61_67:                              ;   in Loop: Header=BB61_63 Depth=1
	v_lshrrev_b32_e32 v7, 24, v11
	s_delay_alu instid0(VALU_DEP_1)
	v_and_or_b32 v7, 0x80, v7, v12
.LBB61_68:                              ;   in Loop: Header=BB61_63 Depth=1
	s_or_b32 exec_lo, exec_lo, s13
.LBB61_69:                              ;   in Loop: Header=BB61_63 Depth=1
	s_delay_alu instid0(SALU_CYCLE_1) | instskip(SKIP_3) | instid1(VALU_DEP_1)
	s_or_b32 exec_lo, exec_lo, s9
	v_lshrrev_b32_e32 v4, 16, v4
	v_fma_mixlo_f16 v2, v28, v2, 0 op_sel:[0,1,0] op_sel_hi:[0,1,0]
	s_mov_b32 s9, exec_lo
	v_mul_f16_e32 v2, v4, v2
	s_delay_alu instid0(VALU_DEP_1) | instskip(NEXT) | instid1(VALU_DEP_1)
	v_cvt_f32_f16_e32 v2, v2
	v_div_scale_f32 v4, null, v8, v8, v2
	s_delay_alu instid0(VALU_DEP_1) | instskip(SKIP_2) | instid1(VALU_DEP_1)
	v_rcp_f32_e32 v11, v4
	s_waitcnt_depctr 0xfff
	v_fma_f32 v12, -v4, v11, 1.0
	v_fmac_f32_e32 v11, v12, v11
	v_div_scale_f32 v12, vcc_lo, v2, v8, v2
	s_delay_alu instid0(VALU_DEP_1) | instskip(NEXT) | instid1(VALU_DEP_1)
	v_mul_f32_e32 v13, v12, v11
	v_fma_f32 v14, -v4, v13, v12
	s_delay_alu instid0(VALU_DEP_1) | instskip(NEXT) | instid1(VALU_DEP_1)
	v_fmac_f32_e32 v13, v14, v11
	v_fma_f32 v4, -v4, v13, v12
	s_delay_alu instid0(VALU_DEP_1) | instskip(NEXT) | instid1(VALU_DEP_1)
	v_div_fmas_f32 v4, v4, v11, v13
	v_div_fixup_f32 v2, v4, v8, v2
	s_delay_alu instid0(VALU_DEP_1) | instskip(NEXT) | instid1(VALU_DEP_1)
	v_minmax_f32 v2, v2, s7, 0xc3600000
	v_and_b32_e32 v4, 0x7fffffff, v2
	s_delay_alu instid0(VALU_DEP_1)
	v_cmpx_gt_u32_e32 0x43800000, v4
	s_cbranch_execz .LBB61_75
; %bb.70:                               ;   in Loop: Header=BB61_63 Depth=1
	v_cmp_lt_u32_e32 vcc_lo, 0x3bffffff, v4
	s_mov_b32 s12, 0
                                        ; implicit-def: $vgpr4
	s_and_saveexec_b32 s13, vcc_lo
	s_delay_alu instid0(SALU_CYCLE_1)
	s_xor_b32 s13, exec_lo, s13
	s_cbranch_execnz .LBB61_162
; %bb.71:                               ;   in Loop: Header=BB61_63 Depth=1
	s_or_saveexec_b32 s13, s13
                                        ; implicit-def: $sgpr14
	s_delay_alu instid0(SALU_CYCLE_1)
	s_xor_b32 exec_lo, exec_lo, s13
	s_cbranch_execnz .LBB61_163
.LBB61_72:                              ;   in Loop: Header=BB61_63 Depth=1
	s_or_b32 exec_lo, exec_lo, s13
	v_mov_b32_e32 v6, s14
	s_and_saveexec_b32 s13, s12
.LBB61_73:                              ;   in Loop: Header=BB61_63 Depth=1
	v_lshrrev_b32_e32 v2, 24, v2
	s_delay_alu instid0(VALU_DEP_1)
	v_and_or_b32 v6, 0x80, v2, v4
.LBB61_74:                              ;   in Loop: Header=BB61_63 Depth=1
	s_or_b32 exec_lo, exec_lo, s13
.LBB61_75:                              ;   in Loop: Header=BB61_63 Depth=1
	s_delay_alu instid0(SALU_CYCLE_1) | instskip(SKIP_2) | instid1(VALU_DEP_1)
	s_or_b32 exec_lo, exec_lo, s9
	v_fma_mixlo_f16 v2, v28, v3, 0 op_sel_hi:[0,1,0]
	s_mov_b32 s9, exec_lo
	v_mul_f16_e32 v2, v5, v2
	s_delay_alu instid0(VALU_DEP_1) | instskip(NEXT) | instid1(VALU_DEP_1)
	v_cvt_f32_f16_e32 v2, v2
	v_div_scale_f32 v4, null, v8, v8, v2
	v_div_scale_f32 v13, vcc_lo, v2, v8, v2
	s_delay_alu instid0(VALU_DEP_2) | instskip(SKIP_2) | instid1(VALU_DEP_1)
	v_rcp_f32_e32 v11, v4
	s_waitcnt_depctr 0xfff
	v_fma_f32 v12, -v4, v11, 1.0
	v_fmac_f32_e32 v11, v12, v11
	s_delay_alu instid0(VALU_DEP_1) | instskip(NEXT) | instid1(VALU_DEP_1)
	v_mul_f32_e32 v12, v13, v11
	v_fma_f32 v14, -v4, v12, v13
	s_delay_alu instid0(VALU_DEP_1) | instskip(NEXT) | instid1(VALU_DEP_1)
	v_fmac_f32_e32 v12, v14, v11
	v_fma_f32 v4, -v4, v12, v13
	s_delay_alu instid0(VALU_DEP_1) | instskip(NEXT) | instid1(VALU_DEP_1)
	v_div_fmas_f32 v4, v4, v11, v12
	v_div_fixup_f32 v2, v4, v8, v2
	v_mov_b32_e32 v4, 0x80
	s_delay_alu instid0(VALU_DEP_2) | instskip(SKIP_1) | instid1(VALU_DEP_2)
	v_minmax_f32 v11, v2, s7, 0xc3600000
	v_mov_b32_e32 v2, 0x80
	v_and_b32_e32 v12, 0x7fffffff, v11
	s_delay_alu instid0(VALU_DEP_1)
	v_cmpx_gt_u32_e32 0x43800000, v12
	s_cbranch_execz .LBB61_81
; %bb.76:                               ;   in Loop: Header=BB61_63 Depth=1
	v_cmp_lt_u32_e32 vcc_lo, 0x3bffffff, v12
	s_mov_b32 s12, 0
                                        ; implicit-def: $vgpr12
	s_and_saveexec_b32 s13, vcc_lo
	s_delay_alu instid0(SALU_CYCLE_1)
	s_xor_b32 s13, exec_lo, s13
	s_cbranch_execnz .LBB61_164
; %bb.77:                               ;   in Loop: Header=BB61_63 Depth=1
	s_or_saveexec_b32 s13, s13
                                        ; implicit-def: $sgpr14
	s_delay_alu instid0(SALU_CYCLE_1)
	s_xor_b32 exec_lo, exec_lo, s13
	s_cbranch_execnz .LBB61_165
.LBB61_78:                              ;   in Loop: Header=BB61_63 Depth=1
	s_or_b32 exec_lo, exec_lo, s13
	v_mov_b32_e32 v4, s14
	s_and_saveexec_b32 s13, s12
.LBB61_79:                              ;   in Loop: Header=BB61_63 Depth=1
	v_lshrrev_b32_e32 v4, 24, v11
	s_delay_alu instid0(VALU_DEP_1)
	v_and_or_b32 v4, 0x80, v4, v12
.LBB61_80:                              ;   in Loop: Header=BB61_63 Depth=1
	s_or_b32 exec_lo, exec_lo, s13
.LBB61_81:                              ;   in Loop: Header=BB61_63 Depth=1
	s_delay_alu instid0(SALU_CYCLE_1) | instskip(SKIP_3) | instid1(VALU_DEP_1)
	s_or_b32 exec_lo, exec_lo, s9
	v_lshrrev_b32_e32 v5, 16, v5
	v_fma_mixlo_f16 v3, v28, v3, 0 op_sel:[0,1,0] op_sel_hi:[0,1,0]
	s_mov_b32 s9, exec_lo
	v_mul_f16_e32 v3, v5, v3
	s_delay_alu instid0(VALU_DEP_1) | instskip(NEXT) | instid1(VALU_DEP_1)
	v_cvt_f32_f16_e32 v3, v3
	v_div_scale_f32 v5, null, v8, v8, v3
	s_delay_alu instid0(VALU_DEP_1) | instskip(SKIP_2) | instid1(VALU_DEP_1)
	v_rcp_f32_e32 v11, v5
	s_waitcnt_depctr 0xfff
	v_fma_f32 v12, -v5, v11, 1.0
	v_fmac_f32_e32 v11, v12, v11
	v_div_scale_f32 v12, vcc_lo, v3, v8, v3
	s_delay_alu instid0(VALU_DEP_1) | instskip(NEXT) | instid1(VALU_DEP_1)
	v_mul_f32_e32 v13, v12, v11
	v_fma_f32 v14, -v5, v13, v12
	s_delay_alu instid0(VALU_DEP_1) | instskip(NEXT) | instid1(VALU_DEP_1)
	v_fmac_f32_e32 v13, v14, v11
	v_fma_f32 v5, -v5, v13, v12
	s_delay_alu instid0(VALU_DEP_1) | instskip(NEXT) | instid1(VALU_DEP_1)
	v_div_fmas_f32 v5, v5, v11, v13
	v_div_fixup_f32 v3, v5, v8, v3
	s_delay_alu instid0(VALU_DEP_1) | instskip(NEXT) | instid1(VALU_DEP_1)
	v_minmax_f32 v3, v3, s7, 0xc3600000
	v_and_b32_e32 v5, 0x7fffffff, v3
	s_delay_alu instid0(VALU_DEP_1)
	v_cmpx_gt_u32_e32 0x43800000, v5
	s_cbranch_execz .LBB61_87
; %bb.82:                               ;   in Loop: Header=BB61_63 Depth=1
	v_cmp_lt_u32_e32 vcc_lo, 0x3bffffff, v5
	s_mov_b32 s12, 0
                                        ; implicit-def: $vgpr5
	s_and_saveexec_b32 s13, vcc_lo
	s_delay_alu instid0(SALU_CYCLE_1)
	s_xor_b32 s13, exec_lo, s13
	s_cbranch_execnz .LBB61_166
; %bb.83:                               ;   in Loop: Header=BB61_63 Depth=1
	s_or_saveexec_b32 s13, s13
                                        ; implicit-def: $sgpr14
	s_delay_alu instid0(SALU_CYCLE_1)
	s_xor_b32 exec_lo, exec_lo, s13
	s_cbranch_execnz .LBB61_167
.LBB61_84:                              ;   in Loop: Header=BB61_63 Depth=1
	s_or_b32 exec_lo, exec_lo, s13
	v_mov_b32_e32 v2, s14
	s_and_saveexec_b32 s13, s12
.LBB61_85:                              ;   in Loop: Header=BB61_63 Depth=1
	v_lshrrev_b32_e32 v2, 24, v3
	s_delay_alu instid0(VALU_DEP_1)
	v_and_or_b32 v2, 0x80, v2, v5
.LBB61_86:                              ;   in Loop: Header=BB61_63 Depth=1
	s_or_b32 exec_lo, exec_lo, s13
.LBB61_87:                              ;   in Loop: Header=BB61_63 Depth=1
	s_delay_alu instid0(SALU_CYCLE_1)
	s_or_b32 exec_lo, exec_lo, s9
	v_lshlrev_b32_e32 v5, 16, v4
	v_lshlrev_b32_e32 v6, 8, v6
	v_lshlrev_b64 v[3:4], 2, v[0:1]
	v_and_b32_e32 v7, 0xff, v7
	s_mov_b32 s12, -1
	v_perm_b32 v5, v2, v5, 0x4020c0c
	v_and_b32_e32 v6, 0xff00, v6
	v_add_nc_u32_e32 v2, s28, v0
	v_add_co_u32 v3, vcc_lo, s0, v3
	v_add_co_ci_u32_e32 v4, vcc_lo, s1, v4, vcc_lo
	s_delay_alu instid0(VALU_DEP_4)
	v_or3_b32 v5, v5, v6, v7
	s_mov_b32 s9, exec_lo
	global_store_b32 v[3:4], v5, off
	v_cmpx_gt_u32_e64 s8, v2
	s_cbranch_execz .LBB61_62
; %bb.88:                               ;   in Loop: Header=BB61_63 Depth=1
	v_bfe_u32 v5, v2, 4, 26
	s_mov_b32 s12, exec_lo
	s_delay_alu instid0(VALU_DEP_1) | instskip(NEXT) | instid1(VALU_DEP_1)
	v_mad_u64_u32 v[6:7], null, v9, v5, 0
	v_dual_mov_b32 v3, v1 :: v_dual_mov_b32 v4, v7
	s_delay_alu instid0(VALU_DEP_1) | instskip(NEXT) | instid1(VALU_DEP_2)
	v_lshlrev_b64 v[11:12], 3, v[2:3]
	v_mad_u64_u32 v[7:8], null, v10, v5, v[4:5]
	s_delay_alu instid0(VALU_DEP_2) | instskip(NEXT) | instid1(VALU_DEP_3)
	v_add_co_u32 v4, vcc_lo, s26, v11
	v_add_co_ci_u32_e32 v5, vcc_lo, s27, v12, vcc_lo
	v_add_co_u32 v11, vcc_lo, s10, v11
	v_add_co_ci_u32_e32 v12, vcc_lo, s11, v12, vcc_lo
	global_load_b64 v[4:5], v[4:5], off
	v_lshlrev_b64 v[13:14], 2, v[6:7]
	global_load_b64 v[6:7], v[11:12], off
	v_add_co_u32 v11, vcc_lo, s4, v13
	v_add_co_ci_u32_e32 v12, vcc_lo, s5, v14, vcc_lo
	global_load_b32 v12, v[11:12], off
	s_waitcnt vmcnt(2)
	v_fma_mixlo_f16 v8, v28, v4, 0 op_sel_hi:[0,1,0]
	s_waitcnt vmcnt(1)
	s_delay_alu instid0(VALU_DEP_1) | instskip(NEXT) | instid1(VALU_DEP_1)
	v_mul_f16_e32 v8, v6, v8
	v_cvt_f32_f16_e32 v8, v8
	s_waitcnt vmcnt(0)
	s_delay_alu instid0(VALU_DEP_1) | instskip(SKIP_1) | instid1(VALU_DEP_2)
	v_div_scale_f32 v11, null, v12, v12, v8
	v_div_scale_f32 v15, vcc_lo, v8, v12, v8
	v_rcp_f32_e32 v13, v11
	s_waitcnt_depctr 0xfff
	v_fma_f32 v14, -v11, v13, 1.0
	s_delay_alu instid0(VALU_DEP_1) | instskip(NEXT) | instid1(VALU_DEP_1)
	v_fmac_f32_e32 v13, v14, v13
	v_mul_f32_e32 v14, v15, v13
	s_delay_alu instid0(VALU_DEP_1) | instskip(NEXT) | instid1(VALU_DEP_1)
	v_fma_f32 v16, -v11, v14, v15
	v_fmac_f32_e32 v14, v16, v13
	s_delay_alu instid0(VALU_DEP_1) | instskip(NEXT) | instid1(VALU_DEP_1)
	v_fma_f32 v11, -v11, v14, v15
	v_div_fmas_f32 v11, v11, v13, v14
	s_delay_alu instid0(VALU_DEP_1) | instskip(SKIP_1) | instid1(VALU_DEP_2)
	v_div_fixup_f32 v8, v11, v12, v8
	v_mov_b32_e32 v11, 0x80
	v_minmax_f32 v13, v8, s7, 0xc3600000
	v_mov_b32_e32 v8, 0x80
	s_delay_alu instid0(VALU_DEP_2) | instskip(NEXT) | instid1(VALU_DEP_1)
	v_and_b32_e32 v14, 0x7fffffff, v13
	v_cmpx_gt_u32_e32 0x43800000, v14
	s_cbranch_execz .LBB61_94
; %bb.89:                               ;   in Loop: Header=BB61_63 Depth=1
	v_cmp_lt_u32_e32 vcc_lo, 0x3bffffff, v14
	s_mov_b32 s13, 0
                                        ; implicit-def: $vgpr14
	s_and_saveexec_b32 s14, vcc_lo
	s_delay_alu instid0(SALU_CYCLE_1)
	s_xor_b32 s14, exec_lo, s14
	s_cbranch_execnz .LBB61_168
; %bb.90:                               ;   in Loop: Header=BB61_63 Depth=1
	s_or_saveexec_b32 s14, s14
                                        ; implicit-def: $sgpr15
	s_delay_alu instid0(SALU_CYCLE_1)
	s_xor_b32 exec_lo, exec_lo, s14
	s_cbranch_execnz .LBB61_169
.LBB61_91:                              ;   in Loop: Header=BB61_63 Depth=1
	s_or_b32 exec_lo, exec_lo, s14
	v_mov_b32_e32 v8, s15
	s_and_saveexec_b32 s14, s13
.LBB61_92:                              ;   in Loop: Header=BB61_63 Depth=1
	v_lshrrev_b32_e32 v8, 24, v13
	s_delay_alu instid0(VALU_DEP_1)
	v_and_or_b32 v8, 0x80, v8, v14
.LBB61_93:                              ;   in Loop: Header=BB61_63 Depth=1
	s_or_b32 exec_lo, exec_lo, s14
.LBB61_94:                              ;   in Loop: Header=BB61_63 Depth=1
	s_delay_alu instid0(SALU_CYCLE_1) | instskip(SKIP_3) | instid1(VALU_DEP_1)
	s_or_b32 exec_lo, exec_lo, s12
	v_lshrrev_b32_e32 v6, 16, v6
	v_fma_mixlo_f16 v4, v28, v4, 0 op_sel:[0,1,0] op_sel_hi:[0,1,0]
	s_mov_b32 s12, exec_lo
	v_mul_f16_e32 v4, v6, v4
	s_delay_alu instid0(VALU_DEP_1) | instskip(NEXT) | instid1(VALU_DEP_1)
	v_cvt_f32_f16_e32 v4, v4
	v_div_scale_f32 v6, null, v12, v12, v4
	s_delay_alu instid0(VALU_DEP_1) | instskip(SKIP_2) | instid1(VALU_DEP_1)
	v_rcp_f32_e32 v13, v6
	s_waitcnt_depctr 0xfff
	v_fma_f32 v14, -v6, v13, 1.0
	v_fmac_f32_e32 v13, v14, v13
	v_div_scale_f32 v14, vcc_lo, v4, v12, v4
	s_delay_alu instid0(VALU_DEP_1) | instskip(NEXT) | instid1(VALU_DEP_1)
	v_mul_f32_e32 v15, v14, v13
	v_fma_f32 v16, -v6, v15, v14
	s_delay_alu instid0(VALU_DEP_1) | instskip(NEXT) | instid1(VALU_DEP_1)
	v_fmac_f32_e32 v15, v16, v13
	v_fma_f32 v6, -v6, v15, v14
	s_delay_alu instid0(VALU_DEP_1) | instskip(NEXT) | instid1(VALU_DEP_1)
	v_div_fmas_f32 v6, v6, v13, v15
	v_div_fixup_f32 v4, v6, v12, v4
	s_delay_alu instid0(VALU_DEP_1) | instskip(NEXT) | instid1(VALU_DEP_1)
	v_minmax_f32 v4, v4, s7, 0xc3600000
	v_and_b32_e32 v6, 0x7fffffff, v4
	s_delay_alu instid0(VALU_DEP_1)
	v_cmpx_gt_u32_e32 0x43800000, v6
	s_cbranch_execz .LBB61_100
; %bb.95:                               ;   in Loop: Header=BB61_63 Depth=1
	v_cmp_lt_u32_e32 vcc_lo, 0x3bffffff, v6
	s_mov_b32 s13, 0
                                        ; implicit-def: $vgpr6
	s_and_saveexec_b32 s14, vcc_lo
	s_delay_alu instid0(SALU_CYCLE_1)
	s_xor_b32 s14, exec_lo, s14
	s_cbranch_execnz .LBB61_170
; %bb.96:                               ;   in Loop: Header=BB61_63 Depth=1
	s_or_saveexec_b32 s14, s14
                                        ; implicit-def: $sgpr15
	s_delay_alu instid0(SALU_CYCLE_1)
	s_xor_b32 exec_lo, exec_lo, s14
	s_cbranch_execnz .LBB61_171
.LBB61_97:                              ;   in Loop: Header=BB61_63 Depth=1
	s_or_b32 exec_lo, exec_lo, s14
	v_mov_b32_e32 v11, s15
	s_and_saveexec_b32 s14, s13
.LBB61_98:                              ;   in Loop: Header=BB61_63 Depth=1
	v_lshrrev_b32_e32 v4, 24, v4
	s_delay_alu instid0(VALU_DEP_1)
	v_and_or_b32 v11, 0x80, v4, v6
.LBB61_99:                              ;   in Loop: Header=BB61_63 Depth=1
	s_or_b32 exec_lo, exec_lo, s14
.LBB61_100:                             ;   in Loop: Header=BB61_63 Depth=1
	s_delay_alu instid0(SALU_CYCLE_1) | instskip(SKIP_2) | instid1(VALU_DEP_1)
	s_or_b32 exec_lo, exec_lo, s12
	v_fma_mixlo_f16 v4, v28, v5, 0 op_sel_hi:[0,1,0]
	s_mov_b32 s12, exec_lo
	v_mul_f16_e32 v4, v7, v4
	s_delay_alu instid0(VALU_DEP_1) | instskip(NEXT) | instid1(VALU_DEP_1)
	v_cvt_f32_f16_e32 v4, v4
	v_div_scale_f32 v6, null, v12, v12, v4
	v_div_scale_f32 v15, vcc_lo, v4, v12, v4
	s_delay_alu instid0(VALU_DEP_2) | instskip(SKIP_2) | instid1(VALU_DEP_1)
	v_rcp_f32_e32 v13, v6
	s_waitcnt_depctr 0xfff
	v_fma_f32 v14, -v6, v13, 1.0
	v_fmac_f32_e32 v13, v14, v13
	s_delay_alu instid0(VALU_DEP_1) | instskip(NEXT) | instid1(VALU_DEP_1)
	v_mul_f32_e32 v14, v15, v13
	v_fma_f32 v16, -v6, v14, v15
	s_delay_alu instid0(VALU_DEP_1) | instskip(NEXT) | instid1(VALU_DEP_1)
	v_fmac_f32_e32 v14, v16, v13
	v_fma_f32 v6, -v6, v14, v15
	s_delay_alu instid0(VALU_DEP_1) | instskip(NEXT) | instid1(VALU_DEP_1)
	v_div_fmas_f32 v6, v6, v13, v14
	v_div_fixup_f32 v4, v6, v12, v4
	v_mov_b32_e32 v6, 0x80
	s_delay_alu instid0(VALU_DEP_2) | instskip(SKIP_1) | instid1(VALU_DEP_2)
	v_minmax_f32 v13, v4, s7, 0xc3600000
	v_mov_b32_e32 v4, 0x80
	v_and_b32_e32 v14, 0x7fffffff, v13
	s_delay_alu instid0(VALU_DEP_1)
	v_cmpx_gt_u32_e32 0x43800000, v14
	s_cbranch_execz .LBB61_106
; %bb.101:                              ;   in Loop: Header=BB61_63 Depth=1
	v_cmp_lt_u32_e32 vcc_lo, 0x3bffffff, v14
	s_mov_b32 s13, 0
                                        ; implicit-def: $vgpr14
	s_and_saveexec_b32 s14, vcc_lo
	s_delay_alu instid0(SALU_CYCLE_1)
	s_xor_b32 s14, exec_lo, s14
	s_cbranch_execnz .LBB61_172
; %bb.102:                              ;   in Loop: Header=BB61_63 Depth=1
	s_or_saveexec_b32 s14, s14
                                        ; implicit-def: $sgpr15
	s_delay_alu instid0(SALU_CYCLE_1)
	s_xor_b32 exec_lo, exec_lo, s14
	s_cbranch_execnz .LBB61_173
.LBB61_103:                             ;   in Loop: Header=BB61_63 Depth=1
	s_or_b32 exec_lo, exec_lo, s14
	v_mov_b32_e32 v6, s15
	s_and_saveexec_b32 s14, s13
.LBB61_104:                             ;   in Loop: Header=BB61_63 Depth=1
	v_lshrrev_b32_e32 v6, 24, v13
	s_delay_alu instid0(VALU_DEP_1)
	v_and_or_b32 v6, 0x80, v6, v14
.LBB61_105:                             ;   in Loop: Header=BB61_63 Depth=1
	s_or_b32 exec_lo, exec_lo, s14
.LBB61_106:                             ;   in Loop: Header=BB61_63 Depth=1
	s_delay_alu instid0(SALU_CYCLE_1) | instskip(SKIP_3) | instid1(VALU_DEP_1)
	s_or_b32 exec_lo, exec_lo, s12
	v_lshrrev_b32_e32 v7, 16, v7
	v_fma_mixlo_f16 v5, v28, v5, 0 op_sel:[0,1,0] op_sel_hi:[0,1,0]
	s_mov_b32 s12, exec_lo
	v_mul_f16_e32 v5, v7, v5
	s_delay_alu instid0(VALU_DEP_1) | instskip(NEXT) | instid1(VALU_DEP_1)
	v_cvt_f32_f16_e32 v5, v5
	v_div_scale_f32 v7, null, v12, v12, v5
	s_delay_alu instid0(VALU_DEP_1) | instskip(SKIP_2) | instid1(VALU_DEP_1)
	v_rcp_f32_e32 v13, v7
	s_waitcnt_depctr 0xfff
	v_fma_f32 v14, -v7, v13, 1.0
	v_fmac_f32_e32 v13, v14, v13
	v_div_scale_f32 v14, vcc_lo, v5, v12, v5
	s_delay_alu instid0(VALU_DEP_1) | instskip(NEXT) | instid1(VALU_DEP_1)
	v_mul_f32_e32 v15, v14, v13
	v_fma_f32 v16, -v7, v15, v14
	s_delay_alu instid0(VALU_DEP_1) | instskip(NEXT) | instid1(VALU_DEP_1)
	v_fmac_f32_e32 v15, v16, v13
	v_fma_f32 v7, -v7, v15, v14
	s_delay_alu instid0(VALU_DEP_1) | instskip(NEXT) | instid1(VALU_DEP_1)
	v_div_fmas_f32 v7, v7, v13, v15
	v_div_fixup_f32 v5, v7, v12, v5
	s_delay_alu instid0(VALU_DEP_1) | instskip(NEXT) | instid1(VALU_DEP_1)
	v_minmax_f32 v5, v5, s7, 0xc3600000
	v_and_b32_e32 v7, 0x7fffffff, v5
	s_delay_alu instid0(VALU_DEP_1)
	v_cmpx_gt_u32_e32 0x43800000, v7
	s_cbranch_execz .LBB61_112
; %bb.107:                              ;   in Loop: Header=BB61_63 Depth=1
	v_cmp_lt_u32_e32 vcc_lo, 0x3bffffff, v7
	s_mov_b32 s13, 0
                                        ; implicit-def: $vgpr7
	s_and_saveexec_b32 s14, vcc_lo
	s_delay_alu instid0(SALU_CYCLE_1)
	s_xor_b32 s14, exec_lo, s14
	s_cbranch_execnz .LBB61_174
; %bb.108:                              ;   in Loop: Header=BB61_63 Depth=1
	s_or_saveexec_b32 s14, s14
                                        ; implicit-def: $sgpr15
	s_delay_alu instid0(SALU_CYCLE_1)
	s_xor_b32 exec_lo, exec_lo, s14
	s_cbranch_execnz .LBB61_175
.LBB61_109:                             ;   in Loop: Header=BB61_63 Depth=1
	s_or_b32 exec_lo, exec_lo, s14
	v_mov_b32_e32 v4, s15
	s_and_saveexec_b32 s14, s13
.LBB61_110:                             ;   in Loop: Header=BB61_63 Depth=1
	v_lshrrev_b32_e32 v4, 24, v5
	s_delay_alu instid0(VALU_DEP_1)
	v_and_or_b32 v4, 0x80, v4, v7
.LBB61_111:                             ;   in Loop: Header=BB61_63 Depth=1
	s_or_b32 exec_lo, exec_lo, s14
.LBB61_112:                             ;   in Loop: Header=BB61_63 Depth=1
	s_delay_alu instid0(SALU_CYCLE_1)
	s_or_b32 exec_lo, exec_lo, s12
	v_lshlrev_b32_e32 v7, 16, v6
	v_lshlrev_b32_e32 v11, 8, v11
	v_lshlrev_b64 v[5:6], 2, v[2:3]
	v_and_b32_e32 v8, 0xff, v8
	v_add_nc_u32_e32 v3, s3, v0
	v_perm_b32 v7, v4, v7, 0x4020c0c
	v_and_b32_e32 v11, 0xff00, v11
	s_mov_b32 s13, -1
	v_add_co_u32 v4, vcc_lo, s0, v5
	v_add_co_ci_u32_e32 v5, vcc_lo, s1, v6, vcc_lo
	s_delay_alu instid0(VALU_DEP_3)
	v_or3_b32 v6, v7, v11, v8
	s_mov_b32 s12, exec_lo
	global_store_b32 v[4:5], v6, off
	v_cmpx_gt_u32_e64 s8, v3
	s_cbranch_execz .LBB61_61
; %bb.113:                              ;   in Loop: Header=BB61_63 Depth=1
	v_bfe_u32 v6, v3, 4, 26
	s_mov_b32 s13, exec_lo
	s_delay_alu instid0(VALU_DEP_1) | instskip(NEXT) | instid1(VALU_DEP_1)
	v_mad_u64_u32 v[7:8], null, v9, v6, 0
	v_dual_mov_b32 v4, v1 :: v_dual_mov_b32 v5, v8
	s_delay_alu instid0(VALU_DEP_1) | instskip(NEXT) | instid1(VALU_DEP_2)
	v_lshlrev_b64 v[11:12], 3, v[3:4]
	v_mad_u64_u32 v[13:14], null, v10, v6, v[5:6]
	s_delay_alu instid0(VALU_DEP_2) | instskip(NEXT) | instid1(VALU_DEP_3)
	v_add_co_u32 v5, vcc_lo, s26, v11
	v_add_co_ci_u32_e32 v6, vcc_lo, s27, v12, vcc_lo
	v_add_co_u32 v11, vcc_lo, s10, v11
	s_delay_alu instid0(VALU_DEP_4)
	v_mov_b32_e32 v8, v13
	v_add_co_ci_u32_e32 v12, vcc_lo, s11, v12, vcc_lo
	global_load_b64 v[5:6], v[5:6], off
	v_lshlrev_b64 v[13:14], 2, v[7:8]
	global_load_b64 v[7:8], v[11:12], off
	v_add_co_u32 v11, vcc_lo, s4, v13
	v_add_co_ci_u32_e32 v12, vcc_lo, s5, v14, vcc_lo
	global_load_b32 v13, v[11:12], off
	s_waitcnt vmcnt(2)
	v_fma_mixlo_f16 v11, v28, v5, 0 op_sel_hi:[0,1,0]
	s_waitcnt vmcnt(1)
	s_delay_alu instid0(VALU_DEP_1) | instskip(NEXT) | instid1(VALU_DEP_1)
	v_mul_f16_e32 v11, v7, v11
	v_cvt_f32_f16_e32 v11, v11
	s_waitcnt vmcnt(0)
	s_delay_alu instid0(VALU_DEP_1) | instskip(SKIP_1) | instid1(VALU_DEP_2)
	v_div_scale_f32 v12, null, v13, v13, v11
	v_div_scale_f32 v16, vcc_lo, v11, v13, v11
	v_rcp_f32_e32 v14, v12
	s_waitcnt_depctr 0xfff
	v_fma_f32 v15, -v12, v14, 1.0
	s_delay_alu instid0(VALU_DEP_1) | instskip(NEXT) | instid1(VALU_DEP_1)
	v_fmac_f32_e32 v14, v15, v14
	v_mul_f32_e32 v15, v16, v14
	s_delay_alu instid0(VALU_DEP_1) | instskip(NEXT) | instid1(VALU_DEP_1)
	v_fma_f32 v17, -v12, v15, v16
	v_fmac_f32_e32 v15, v17, v14
	s_delay_alu instid0(VALU_DEP_1) | instskip(NEXT) | instid1(VALU_DEP_1)
	v_fma_f32 v12, -v12, v15, v16
	v_div_fmas_f32 v12, v12, v14, v15
	s_delay_alu instid0(VALU_DEP_1) | instskip(SKIP_1) | instid1(VALU_DEP_2)
	v_div_fixup_f32 v11, v12, v13, v11
	v_mov_b32_e32 v12, 0x80
	v_minmax_f32 v14, v11, s7, 0xc3600000
	v_mov_b32_e32 v11, 0x80
	s_delay_alu instid0(VALU_DEP_2) | instskip(NEXT) | instid1(VALU_DEP_1)
	v_and_b32_e32 v15, 0x7fffffff, v14
	v_cmpx_gt_u32_e32 0x43800000, v15
	s_cbranch_execz .LBB61_119
; %bb.114:                              ;   in Loop: Header=BB61_63 Depth=1
	v_cmp_lt_u32_e32 vcc_lo, 0x3bffffff, v15
	s_mov_b32 s14, 0
                                        ; implicit-def: $vgpr15
	s_and_saveexec_b32 s15, vcc_lo
	s_delay_alu instid0(SALU_CYCLE_1)
	s_xor_b32 s15, exec_lo, s15
	s_cbranch_execnz .LBB61_176
; %bb.115:                              ;   in Loop: Header=BB61_63 Depth=1
	s_or_saveexec_b32 s15, s15
                                        ; implicit-def: $sgpr16
	s_delay_alu instid0(SALU_CYCLE_1)
	s_xor_b32 exec_lo, exec_lo, s15
	s_cbranch_execnz .LBB61_177
.LBB61_116:                             ;   in Loop: Header=BB61_63 Depth=1
	s_or_b32 exec_lo, exec_lo, s15
	v_mov_b32_e32 v11, s16
	s_and_saveexec_b32 s15, s14
.LBB61_117:                             ;   in Loop: Header=BB61_63 Depth=1
	v_lshrrev_b32_e32 v11, 24, v14
	s_delay_alu instid0(VALU_DEP_1)
	v_and_or_b32 v11, 0x80, v11, v15
.LBB61_118:                             ;   in Loop: Header=BB61_63 Depth=1
	s_or_b32 exec_lo, exec_lo, s15
.LBB61_119:                             ;   in Loop: Header=BB61_63 Depth=1
	s_delay_alu instid0(SALU_CYCLE_1) | instskip(SKIP_3) | instid1(VALU_DEP_1)
	s_or_b32 exec_lo, exec_lo, s13
	v_lshrrev_b32_e32 v7, 16, v7
	v_fma_mixlo_f16 v5, v28, v5, 0 op_sel:[0,1,0] op_sel_hi:[0,1,0]
	s_mov_b32 s13, exec_lo
	v_mul_f16_e32 v5, v7, v5
	s_delay_alu instid0(VALU_DEP_1) | instskip(NEXT) | instid1(VALU_DEP_1)
	v_cvt_f32_f16_e32 v5, v5
	v_div_scale_f32 v7, null, v13, v13, v5
	s_delay_alu instid0(VALU_DEP_1) | instskip(SKIP_2) | instid1(VALU_DEP_1)
	v_rcp_f32_e32 v14, v7
	s_waitcnt_depctr 0xfff
	v_fma_f32 v15, -v7, v14, 1.0
	v_fmac_f32_e32 v14, v15, v14
	v_div_scale_f32 v15, vcc_lo, v5, v13, v5
	s_delay_alu instid0(VALU_DEP_1) | instskip(NEXT) | instid1(VALU_DEP_1)
	v_mul_f32_e32 v16, v15, v14
	v_fma_f32 v17, -v7, v16, v15
	s_delay_alu instid0(VALU_DEP_1) | instskip(NEXT) | instid1(VALU_DEP_1)
	v_fmac_f32_e32 v16, v17, v14
	v_fma_f32 v7, -v7, v16, v15
	s_delay_alu instid0(VALU_DEP_1) | instskip(NEXT) | instid1(VALU_DEP_1)
	v_div_fmas_f32 v7, v7, v14, v16
	v_div_fixup_f32 v5, v7, v13, v5
	s_delay_alu instid0(VALU_DEP_1) | instskip(NEXT) | instid1(VALU_DEP_1)
	v_minmax_f32 v5, v5, s7, 0xc3600000
	v_and_b32_e32 v7, 0x7fffffff, v5
	s_delay_alu instid0(VALU_DEP_1)
	v_cmpx_gt_u32_e32 0x43800000, v7
	s_cbranch_execz .LBB61_125
; %bb.120:                              ;   in Loop: Header=BB61_63 Depth=1
	v_cmp_lt_u32_e32 vcc_lo, 0x3bffffff, v7
	s_mov_b32 s14, 0
                                        ; implicit-def: $vgpr7
	s_and_saveexec_b32 s15, vcc_lo
	s_delay_alu instid0(SALU_CYCLE_1)
	s_xor_b32 s15, exec_lo, s15
	s_cbranch_execnz .LBB61_178
; %bb.121:                              ;   in Loop: Header=BB61_63 Depth=1
	s_or_saveexec_b32 s15, s15
                                        ; implicit-def: $sgpr16
	s_delay_alu instid0(SALU_CYCLE_1)
	s_xor_b32 exec_lo, exec_lo, s15
	s_cbranch_execnz .LBB61_179
.LBB61_122:                             ;   in Loop: Header=BB61_63 Depth=1
	s_or_b32 exec_lo, exec_lo, s15
	v_mov_b32_e32 v12, s16
	s_and_saveexec_b32 s15, s14
.LBB61_123:                             ;   in Loop: Header=BB61_63 Depth=1
	v_lshrrev_b32_e32 v5, 24, v5
	s_delay_alu instid0(VALU_DEP_1)
	v_and_or_b32 v12, 0x80, v5, v7
.LBB61_124:                             ;   in Loop: Header=BB61_63 Depth=1
	s_or_b32 exec_lo, exec_lo, s15
.LBB61_125:                             ;   in Loop: Header=BB61_63 Depth=1
	s_delay_alu instid0(SALU_CYCLE_1) | instskip(SKIP_2) | instid1(VALU_DEP_1)
	s_or_b32 exec_lo, exec_lo, s13
	v_fma_mixlo_f16 v5, v28, v6, 0 op_sel_hi:[0,1,0]
	s_mov_b32 s13, exec_lo
	v_mul_f16_e32 v5, v8, v5
	s_delay_alu instid0(VALU_DEP_1) | instskip(NEXT) | instid1(VALU_DEP_1)
	v_cvt_f32_f16_e32 v5, v5
	v_div_scale_f32 v7, null, v13, v13, v5
	v_div_scale_f32 v16, vcc_lo, v5, v13, v5
	s_delay_alu instid0(VALU_DEP_2) | instskip(SKIP_2) | instid1(VALU_DEP_1)
	v_rcp_f32_e32 v14, v7
	s_waitcnt_depctr 0xfff
	v_fma_f32 v15, -v7, v14, 1.0
	v_fmac_f32_e32 v14, v15, v14
	s_delay_alu instid0(VALU_DEP_1) | instskip(NEXT) | instid1(VALU_DEP_1)
	v_mul_f32_e32 v15, v16, v14
	v_fma_f32 v17, -v7, v15, v16
	s_delay_alu instid0(VALU_DEP_1) | instskip(NEXT) | instid1(VALU_DEP_1)
	v_fmac_f32_e32 v15, v17, v14
	v_fma_f32 v7, -v7, v15, v16
	s_delay_alu instid0(VALU_DEP_1) | instskip(NEXT) | instid1(VALU_DEP_1)
	v_div_fmas_f32 v7, v7, v14, v15
	v_div_fixup_f32 v5, v7, v13, v5
	v_mov_b32_e32 v7, 0x80
	s_delay_alu instid0(VALU_DEP_2) | instskip(SKIP_1) | instid1(VALU_DEP_2)
	v_minmax_f32 v14, v5, s7, 0xc3600000
	v_mov_b32_e32 v5, 0x80
	v_and_b32_e32 v15, 0x7fffffff, v14
	s_delay_alu instid0(VALU_DEP_1)
	v_cmpx_gt_u32_e32 0x43800000, v15
	s_cbranch_execz .LBB61_131
; %bb.126:                              ;   in Loop: Header=BB61_63 Depth=1
	v_cmp_lt_u32_e32 vcc_lo, 0x3bffffff, v15
	s_mov_b32 s14, 0
                                        ; implicit-def: $vgpr15
	s_and_saveexec_b32 s15, vcc_lo
	s_delay_alu instid0(SALU_CYCLE_1)
	s_xor_b32 s15, exec_lo, s15
	s_cbranch_execnz .LBB61_180
; %bb.127:                              ;   in Loop: Header=BB61_63 Depth=1
	s_or_saveexec_b32 s15, s15
                                        ; implicit-def: $sgpr16
	s_delay_alu instid0(SALU_CYCLE_1)
	s_xor_b32 exec_lo, exec_lo, s15
	s_cbranch_execnz .LBB61_181
.LBB61_128:                             ;   in Loop: Header=BB61_63 Depth=1
	s_or_b32 exec_lo, exec_lo, s15
	v_mov_b32_e32 v7, s16
	s_and_saveexec_b32 s15, s14
.LBB61_129:                             ;   in Loop: Header=BB61_63 Depth=1
	v_lshrrev_b32_e32 v7, 24, v14
	s_delay_alu instid0(VALU_DEP_1)
	v_and_or_b32 v7, 0x80, v7, v15
.LBB61_130:                             ;   in Loop: Header=BB61_63 Depth=1
	s_or_b32 exec_lo, exec_lo, s15
.LBB61_131:                             ;   in Loop: Header=BB61_63 Depth=1
	s_delay_alu instid0(SALU_CYCLE_1) | instskip(SKIP_3) | instid1(VALU_DEP_1)
	s_or_b32 exec_lo, exec_lo, s13
	v_lshrrev_b32_e32 v8, 16, v8
	v_fma_mixlo_f16 v6, v28, v6, 0 op_sel:[0,1,0] op_sel_hi:[0,1,0]
	s_mov_b32 s13, exec_lo
	v_mul_f16_e32 v6, v8, v6
	s_delay_alu instid0(VALU_DEP_1) | instskip(NEXT) | instid1(VALU_DEP_1)
	v_cvt_f32_f16_e32 v6, v6
	v_div_scale_f32 v8, null, v13, v13, v6
	s_delay_alu instid0(VALU_DEP_1) | instskip(SKIP_2) | instid1(VALU_DEP_1)
	v_rcp_f32_e32 v14, v8
	s_waitcnt_depctr 0xfff
	v_fma_f32 v15, -v8, v14, 1.0
	v_fmac_f32_e32 v14, v15, v14
	v_div_scale_f32 v15, vcc_lo, v6, v13, v6
	s_delay_alu instid0(VALU_DEP_1) | instskip(NEXT) | instid1(VALU_DEP_1)
	v_mul_f32_e32 v16, v15, v14
	v_fma_f32 v17, -v8, v16, v15
	s_delay_alu instid0(VALU_DEP_1) | instskip(NEXT) | instid1(VALU_DEP_1)
	v_fmac_f32_e32 v16, v17, v14
	v_fma_f32 v8, -v8, v16, v15
	s_delay_alu instid0(VALU_DEP_1) | instskip(NEXT) | instid1(VALU_DEP_1)
	v_div_fmas_f32 v8, v8, v14, v16
	v_div_fixup_f32 v6, v8, v13, v6
	s_delay_alu instid0(VALU_DEP_1) | instskip(NEXT) | instid1(VALU_DEP_1)
	v_minmax_f32 v6, v6, s7, 0xc3600000
	v_and_b32_e32 v8, 0x7fffffff, v6
	s_delay_alu instid0(VALU_DEP_1)
	v_cmpx_gt_u32_e32 0x43800000, v8
	s_cbranch_execz .LBB61_137
; %bb.132:                              ;   in Loop: Header=BB61_63 Depth=1
	v_cmp_lt_u32_e32 vcc_lo, 0x3bffffff, v8
	s_mov_b32 s14, 0
                                        ; implicit-def: $vgpr8
	s_and_saveexec_b32 s15, vcc_lo
	s_delay_alu instid0(SALU_CYCLE_1)
	s_xor_b32 s15, exec_lo, s15
	s_cbranch_execnz .LBB61_182
; %bb.133:                              ;   in Loop: Header=BB61_63 Depth=1
	s_or_saveexec_b32 s15, s15
                                        ; implicit-def: $sgpr16
	s_delay_alu instid0(SALU_CYCLE_1)
	s_xor_b32 exec_lo, exec_lo, s15
	s_cbranch_execnz .LBB61_183
.LBB61_134:                             ;   in Loop: Header=BB61_63 Depth=1
	s_or_b32 exec_lo, exec_lo, s15
	v_mov_b32_e32 v5, s16
	s_and_saveexec_b32 s15, s14
.LBB61_135:                             ;   in Loop: Header=BB61_63 Depth=1
	v_lshrrev_b32_e32 v5, 24, v6
	s_delay_alu instid0(VALU_DEP_1)
	v_and_or_b32 v5, 0x80, v5, v8
.LBB61_136:                             ;   in Loop: Header=BB61_63 Depth=1
	s_or_b32 exec_lo, exec_lo, s15
.LBB61_137:                             ;   in Loop: Header=BB61_63 Depth=1
	s_delay_alu instid0(SALU_CYCLE_1)
	s_or_b32 exec_lo, exec_lo, s13
	v_lshlrev_b32_e32 v6, 16, v7
	v_lshlrev_b32_e32 v7, 8, v12
	v_lshlrev_b64 v[3:4], 2, v[3:4]
	v_and_b32_e32 v8, 0xff, v11
	v_add_nc_u32_e32 v0, s2, v0
	v_perm_b32 v5, v5, v6, 0x4020c0c
	v_and_b32_e32 v6, 0xff00, v7
	s_mov_b32 s14, -1
	v_add_co_u32 v3, vcc_lo, s0, v3
	v_add_co_ci_u32_e32 v4, vcc_lo, s1, v4, vcc_lo
	s_delay_alu instid0(VALU_DEP_3)
	v_or3_b32 v5, v5, v6, v8
	s_mov_b32 s13, exec_lo
	global_store_b32 v[3:4], v5, off
	v_cmpx_gt_u32_e64 s8, v0
	s_cbranch_execz .LBB61_60
; %bb.138:                              ;   in Loop: Header=BB61_63 Depth=1
	v_bfe_u32 v4, v0, 4, 26
	v_lshlrev_b64 v[7:8], 3, v[0:1]
	s_mov_b32 s14, exec_lo
	s_delay_alu instid0(VALU_DEP_2) | instskip(NEXT) | instid1(VALU_DEP_1)
	v_mad_u64_u32 v[5:6], null, v9, v4, 0
	v_mov_b32_e32 v3, v6
	s_delay_alu instid0(VALU_DEP_1) | instskip(NEXT) | instid1(VALU_DEP_4)
	v_mad_u64_u32 v[11:12], null, v10, v4, v[3:4]
	v_add_co_u32 v3, vcc_lo, s26, v7
	v_add_co_ci_u32_e32 v4, vcc_lo, s27, v8, vcc_lo
	v_add_co_u32 v7, vcc_lo, s10, v7
	s_delay_alu instid0(VALU_DEP_4)
	v_mov_b32_e32 v6, v11
	v_add_co_ci_u32_e32 v8, vcc_lo, s11, v8, vcc_lo
	global_load_b64 v[3:4], v[3:4], off
	v_lshlrev_b64 v[11:12], 2, v[5:6]
	global_load_b64 v[5:6], v[7:8], off
	v_add_co_u32 v7, vcc_lo, s4, v11
	v_add_co_ci_u32_e32 v8, vcc_lo, s5, v12, vcc_lo
	global_load_b32 v11, v[7:8], off
	s_waitcnt vmcnt(2)
	v_fma_mixlo_f16 v7, v28, v3, 0 op_sel_hi:[0,1,0]
	s_waitcnt vmcnt(1)
	s_delay_alu instid0(VALU_DEP_1) | instskip(NEXT) | instid1(VALU_DEP_1)
	v_mul_f16_e32 v7, v5, v7
	v_cvt_f32_f16_e32 v7, v7
	s_waitcnt vmcnt(0)
	s_delay_alu instid0(VALU_DEP_1) | instskip(SKIP_1) | instid1(VALU_DEP_2)
	v_div_scale_f32 v8, null, v11, v11, v7
	v_div_scale_f32 v14, vcc_lo, v7, v11, v7
	v_rcp_f32_e32 v12, v8
	s_waitcnt_depctr 0xfff
	v_fma_f32 v13, -v8, v12, 1.0
	s_delay_alu instid0(VALU_DEP_1) | instskip(NEXT) | instid1(VALU_DEP_1)
	v_fmac_f32_e32 v12, v13, v12
	v_mul_f32_e32 v13, v14, v12
	s_delay_alu instid0(VALU_DEP_1) | instskip(NEXT) | instid1(VALU_DEP_1)
	v_fma_f32 v15, -v8, v13, v14
	v_fmac_f32_e32 v13, v15, v12
	s_delay_alu instid0(VALU_DEP_1) | instskip(NEXT) | instid1(VALU_DEP_1)
	v_fma_f32 v8, -v8, v13, v14
	v_div_fmas_f32 v8, v8, v12, v13
	s_delay_alu instid0(VALU_DEP_1) | instskip(SKIP_1) | instid1(VALU_DEP_2)
	v_div_fixup_f32 v7, v8, v11, v7
	v_mov_b32_e32 v8, 0x80
	v_minmax_f32 v12, v7, s7, 0xc3600000
	v_mov_b32_e32 v7, 0x80
	s_delay_alu instid0(VALU_DEP_2) | instskip(NEXT) | instid1(VALU_DEP_1)
	v_and_b32_e32 v13, 0x7fffffff, v12
	v_cmpx_gt_u32_e32 0x43800000, v13
	s_cbranch_execz .LBB61_144
; %bb.139:                              ;   in Loop: Header=BB61_63 Depth=1
	v_cmp_lt_u32_e32 vcc_lo, 0x3bffffff, v13
	s_mov_b32 s15, 0
                                        ; implicit-def: $vgpr13
	s_and_saveexec_b32 s16, vcc_lo
	s_delay_alu instid0(SALU_CYCLE_1)
	s_xor_b32 s16, exec_lo, s16
	s_cbranch_execnz .LBB61_184
; %bb.140:                              ;   in Loop: Header=BB61_63 Depth=1
	s_or_saveexec_b32 s16, s16
                                        ; implicit-def: $sgpr17
	s_delay_alu instid0(SALU_CYCLE_1)
	s_xor_b32 exec_lo, exec_lo, s16
	s_cbranch_execnz .LBB61_185
.LBB61_141:                             ;   in Loop: Header=BB61_63 Depth=1
	s_or_b32 exec_lo, exec_lo, s16
	v_mov_b32_e32 v7, s17
	s_and_saveexec_b32 s16, s15
.LBB61_142:                             ;   in Loop: Header=BB61_63 Depth=1
	v_lshrrev_b32_e32 v7, 24, v12
	s_delay_alu instid0(VALU_DEP_1)
	v_and_or_b32 v7, 0x80, v7, v13
.LBB61_143:                             ;   in Loop: Header=BB61_63 Depth=1
	s_or_b32 exec_lo, exec_lo, s16
.LBB61_144:                             ;   in Loop: Header=BB61_63 Depth=1
	s_delay_alu instid0(SALU_CYCLE_1) | instskip(SKIP_3) | instid1(VALU_DEP_1)
	s_or_b32 exec_lo, exec_lo, s14
	v_lshrrev_b32_e32 v5, 16, v5
	v_fma_mixlo_f16 v3, v28, v3, 0 op_sel:[0,1,0] op_sel_hi:[0,1,0]
	s_mov_b32 s14, exec_lo
	v_mul_f16_e32 v3, v5, v3
	s_delay_alu instid0(VALU_DEP_1) | instskip(NEXT) | instid1(VALU_DEP_1)
	v_cvt_f32_f16_e32 v3, v3
	v_div_scale_f32 v5, null, v11, v11, v3
	s_delay_alu instid0(VALU_DEP_1) | instskip(SKIP_2) | instid1(VALU_DEP_1)
	v_rcp_f32_e32 v12, v5
	s_waitcnt_depctr 0xfff
	v_fma_f32 v13, -v5, v12, 1.0
	v_fmac_f32_e32 v12, v13, v12
	v_div_scale_f32 v13, vcc_lo, v3, v11, v3
	s_delay_alu instid0(VALU_DEP_1) | instskip(NEXT) | instid1(VALU_DEP_1)
	v_mul_f32_e32 v14, v13, v12
	v_fma_f32 v15, -v5, v14, v13
	s_delay_alu instid0(VALU_DEP_1) | instskip(NEXT) | instid1(VALU_DEP_1)
	v_fmac_f32_e32 v14, v15, v12
	v_fma_f32 v5, -v5, v14, v13
	s_delay_alu instid0(VALU_DEP_1) | instskip(NEXT) | instid1(VALU_DEP_1)
	v_div_fmas_f32 v5, v5, v12, v14
	v_div_fixup_f32 v3, v5, v11, v3
	s_delay_alu instid0(VALU_DEP_1) | instskip(NEXT) | instid1(VALU_DEP_1)
	v_minmax_f32 v3, v3, s7, 0xc3600000
	v_and_b32_e32 v5, 0x7fffffff, v3
	s_delay_alu instid0(VALU_DEP_1)
	v_cmpx_gt_u32_e32 0x43800000, v5
	s_cbranch_execz .LBB61_150
; %bb.145:                              ;   in Loop: Header=BB61_63 Depth=1
	v_cmp_lt_u32_e32 vcc_lo, 0x3bffffff, v5
	s_mov_b32 s15, 0
                                        ; implicit-def: $vgpr5
	s_and_saveexec_b32 s16, vcc_lo
	s_delay_alu instid0(SALU_CYCLE_1)
	s_xor_b32 s16, exec_lo, s16
	s_cbranch_execnz .LBB61_186
; %bb.146:                              ;   in Loop: Header=BB61_63 Depth=1
	s_or_saveexec_b32 s16, s16
                                        ; implicit-def: $sgpr17
	s_delay_alu instid0(SALU_CYCLE_1)
	s_xor_b32 exec_lo, exec_lo, s16
	s_cbranch_execnz .LBB61_187
.LBB61_147:                             ;   in Loop: Header=BB61_63 Depth=1
	s_or_b32 exec_lo, exec_lo, s16
	v_mov_b32_e32 v8, s17
	s_and_saveexec_b32 s16, s15
.LBB61_148:                             ;   in Loop: Header=BB61_63 Depth=1
	v_lshrrev_b32_e32 v3, 24, v3
	s_delay_alu instid0(VALU_DEP_1)
	v_and_or_b32 v8, 0x80, v3, v5
.LBB61_149:                             ;   in Loop: Header=BB61_63 Depth=1
	s_or_b32 exec_lo, exec_lo, s16
.LBB61_150:                             ;   in Loop: Header=BB61_63 Depth=1
	s_delay_alu instid0(SALU_CYCLE_1) | instskip(SKIP_2) | instid1(VALU_DEP_1)
	s_or_b32 exec_lo, exec_lo, s14
	v_fma_mixlo_f16 v3, v28, v4, 0 op_sel_hi:[0,1,0]
	s_mov_b32 s14, exec_lo
	v_mul_f16_e32 v3, v6, v3
	s_delay_alu instid0(VALU_DEP_1) | instskip(NEXT) | instid1(VALU_DEP_1)
	v_cvt_f32_f16_e32 v3, v3
	v_div_scale_f32 v5, null, v11, v11, v3
	v_div_scale_f32 v14, vcc_lo, v3, v11, v3
	s_delay_alu instid0(VALU_DEP_2) | instskip(SKIP_2) | instid1(VALU_DEP_1)
	v_rcp_f32_e32 v12, v5
	s_waitcnt_depctr 0xfff
	v_fma_f32 v13, -v5, v12, 1.0
	v_fmac_f32_e32 v12, v13, v12
	s_delay_alu instid0(VALU_DEP_1) | instskip(NEXT) | instid1(VALU_DEP_1)
	v_mul_f32_e32 v13, v14, v12
	v_fma_f32 v15, -v5, v13, v14
	s_delay_alu instid0(VALU_DEP_1) | instskip(NEXT) | instid1(VALU_DEP_1)
	v_fmac_f32_e32 v13, v15, v12
	v_fma_f32 v5, -v5, v13, v14
	s_delay_alu instid0(VALU_DEP_1) | instskip(NEXT) | instid1(VALU_DEP_1)
	v_div_fmas_f32 v5, v5, v12, v13
	v_div_fixup_f32 v3, v5, v11, v3
	v_mov_b32_e32 v5, 0x80
	s_delay_alu instid0(VALU_DEP_2) | instskip(SKIP_1) | instid1(VALU_DEP_2)
	v_minmax_f32 v12, v3, s7, 0xc3600000
	v_mov_b32_e32 v3, 0x80
	v_and_b32_e32 v13, 0x7fffffff, v12
	s_delay_alu instid0(VALU_DEP_1)
	v_cmpx_gt_u32_e32 0x43800000, v13
	s_cbranch_execz .LBB61_156
; %bb.151:                              ;   in Loop: Header=BB61_63 Depth=1
	v_cmp_lt_u32_e32 vcc_lo, 0x3bffffff, v13
	s_mov_b32 s15, 0
                                        ; implicit-def: $vgpr13
	s_and_saveexec_b32 s16, vcc_lo
	s_delay_alu instid0(SALU_CYCLE_1)
	s_xor_b32 s16, exec_lo, s16
	s_cbranch_execnz .LBB61_188
; %bb.152:                              ;   in Loop: Header=BB61_63 Depth=1
	s_or_saveexec_b32 s16, s16
                                        ; implicit-def: $sgpr17
	s_delay_alu instid0(SALU_CYCLE_1)
	s_xor_b32 exec_lo, exec_lo, s16
	s_cbranch_execnz .LBB61_189
.LBB61_153:                             ;   in Loop: Header=BB61_63 Depth=1
	s_or_b32 exec_lo, exec_lo, s16
	v_mov_b32_e32 v5, s17
	s_and_saveexec_b32 s16, s15
.LBB61_154:                             ;   in Loop: Header=BB61_63 Depth=1
	v_lshrrev_b32_e32 v5, 24, v12
	s_delay_alu instid0(VALU_DEP_1)
	v_and_or_b32 v5, 0x80, v5, v13
.LBB61_155:                             ;   in Loop: Header=BB61_63 Depth=1
	s_or_b32 exec_lo, exec_lo, s16
.LBB61_156:                             ;   in Loop: Header=BB61_63 Depth=1
	s_delay_alu instid0(SALU_CYCLE_1) | instskip(SKIP_3) | instid1(VALU_DEP_1)
	s_or_b32 exec_lo, exec_lo, s14
	v_lshrrev_b32_e32 v6, 16, v6
	v_fma_mixlo_f16 v4, v28, v4, 0 op_sel:[0,1,0] op_sel_hi:[0,1,0]
	s_mov_b32 s14, exec_lo
	v_mul_f16_e32 v4, v6, v4
	s_delay_alu instid0(VALU_DEP_1) | instskip(NEXT) | instid1(VALU_DEP_1)
	v_cvt_f32_f16_e32 v4, v4
	v_div_scale_f32 v6, null, v11, v11, v4
	s_delay_alu instid0(VALU_DEP_1) | instskip(SKIP_2) | instid1(VALU_DEP_1)
	v_rcp_f32_e32 v12, v6
	s_waitcnt_depctr 0xfff
	v_fma_f32 v13, -v6, v12, 1.0
	v_fmac_f32_e32 v12, v13, v12
	v_div_scale_f32 v13, vcc_lo, v4, v11, v4
	s_delay_alu instid0(VALU_DEP_1) | instskip(NEXT) | instid1(VALU_DEP_1)
	v_mul_f32_e32 v14, v13, v12
	v_fma_f32 v15, -v6, v14, v13
	s_delay_alu instid0(VALU_DEP_1) | instskip(NEXT) | instid1(VALU_DEP_1)
	v_fmac_f32_e32 v14, v15, v12
	v_fma_f32 v6, -v6, v14, v13
	s_delay_alu instid0(VALU_DEP_1) | instskip(NEXT) | instid1(VALU_DEP_1)
	v_div_fmas_f32 v6, v6, v12, v14
	v_div_fixup_f32 v4, v6, v11, v4
	s_delay_alu instid0(VALU_DEP_1) | instskip(NEXT) | instid1(VALU_DEP_1)
	v_minmax_f32 v4, v4, s7, 0xc3600000
	v_and_b32_e32 v6, 0x7fffffff, v4
	s_delay_alu instid0(VALU_DEP_1)
	v_cmpx_gt_u32_e32 0x43800000, v6
	s_cbranch_execz .LBB61_59
; %bb.157:                              ;   in Loop: Header=BB61_63 Depth=1
	v_cmp_lt_u32_e32 vcc_lo, 0x3bffffff, v6
	s_mov_b32 s15, 0
                                        ; implicit-def: $vgpr6
	s_and_saveexec_b32 s16, vcc_lo
	s_delay_alu instid0(SALU_CYCLE_1)
	s_xor_b32 s16, exec_lo, s16
	s_cbranch_execnz .LBB61_190
; %bb.158:                              ;   in Loop: Header=BB61_63 Depth=1
	s_or_saveexec_b32 s16, s16
                                        ; implicit-def: $sgpr17
	s_delay_alu instid0(SALU_CYCLE_1)
	s_xor_b32 exec_lo, exec_lo, s16
	s_cbranch_execnz .LBB61_191
.LBB61_159:                             ;   in Loop: Header=BB61_63 Depth=1
	s_or_b32 exec_lo, exec_lo, s16
	v_mov_b32_e32 v3, s17
	s_and_saveexec_b32 s16, s15
	s_cbranch_execz .LBB61_58
	s_branch .LBB61_192
.LBB61_160:                             ;   in Loop: Header=BB61_63 Depth=1
	v_bfe_u32 v7, v11, 20, 1
	s_mov_b32 s12, exec_lo
	s_delay_alu instid0(VALU_DEP_1) | instskip(NEXT) | instid1(VALU_DEP_1)
	v_add3_u32 v7, v11, v7, 0x487ffff
	v_lshrrev_b32_e32 v12, 20, v7
	s_or_saveexec_b32 s13, s13
                                        ; implicit-def: $sgpr14
	s_delay_alu instid0(SALU_CYCLE_1)
	s_xor_b32 exec_lo, exec_lo, s13
	s_cbranch_execz .LBB61_66
.LBB61_161:                             ;   in Loop: Header=BB61_63 Depth=1
	v_add_f32_e64 v7, 0x46000000, |v11|
	s_and_not1_b32 s12, s12, exec_lo
	s_mov_b32 s14, 0
	s_delay_alu instid0(VALU_DEP_1) | instskip(NEXT) | instid1(VALU_DEP_1)
	v_and_b32_e32 v12, 0xff, v7
	v_cmp_ne_u32_e32 vcc_lo, 0, v12
	s_and_b32 s15, vcc_lo, exec_lo
	s_delay_alu instid0(SALU_CYCLE_1)
	s_or_b32 s12, s12, s15
	s_or_b32 exec_lo, exec_lo, s13
	v_mov_b32_e32 v7, s14
	s_and_saveexec_b32 s13, s12
	s_cbranch_execnz .LBB61_67
	s_branch .LBB61_68
.LBB61_162:                             ;   in Loop: Header=BB61_63 Depth=1
	v_bfe_u32 v4, v2, 20, 1
	s_mov_b32 s12, exec_lo
	s_delay_alu instid0(VALU_DEP_1) | instskip(NEXT) | instid1(VALU_DEP_1)
	v_add3_u32 v4, v2, v4, 0x487ffff
	v_lshrrev_b32_e32 v4, 20, v4
	s_or_saveexec_b32 s13, s13
                                        ; implicit-def: $sgpr14
	s_delay_alu instid0(SALU_CYCLE_1)
	s_xor_b32 exec_lo, exec_lo, s13
	s_cbranch_execz .LBB61_72
.LBB61_163:                             ;   in Loop: Header=BB61_63 Depth=1
	v_add_f32_e64 v4, 0x46000000, |v2|
	s_and_not1_b32 s12, s12, exec_lo
	s_mov_b32 s14, 0
	s_delay_alu instid0(VALU_DEP_1) | instskip(NEXT) | instid1(VALU_DEP_1)
	v_and_b32_e32 v4, 0xff, v4
	v_cmp_ne_u32_e32 vcc_lo, 0, v4
	s_and_b32 s15, vcc_lo, exec_lo
	s_delay_alu instid0(SALU_CYCLE_1)
	s_or_b32 s12, s12, s15
	s_or_b32 exec_lo, exec_lo, s13
	v_mov_b32_e32 v6, s14
	s_and_saveexec_b32 s13, s12
	s_cbranch_execnz .LBB61_73
	s_branch .LBB61_74
.LBB61_164:                             ;   in Loop: Header=BB61_63 Depth=1
	v_bfe_u32 v4, v11, 20, 1
	s_mov_b32 s12, exec_lo
	s_delay_alu instid0(VALU_DEP_1) | instskip(NEXT) | instid1(VALU_DEP_1)
	v_add3_u32 v4, v11, v4, 0x487ffff
	v_lshrrev_b32_e32 v12, 20, v4
	s_or_saveexec_b32 s13, s13
                                        ; implicit-def: $sgpr14
	s_delay_alu instid0(SALU_CYCLE_1)
	s_xor_b32 exec_lo, exec_lo, s13
	s_cbranch_execz .LBB61_78
.LBB61_165:                             ;   in Loop: Header=BB61_63 Depth=1
	v_add_f32_e64 v4, 0x46000000, |v11|
	s_and_not1_b32 s12, s12, exec_lo
	s_mov_b32 s14, 0
	s_delay_alu instid0(VALU_DEP_1) | instskip(NEXT) | instid1(VALU_DEP_1)
	v_and_b32_e32 v12, 0xff, v4
	v_cmp_ne_u32_e32 vcc_lo, 0, v12
	s_and_b32 s15, vcc_lo, exec_lo
	s_delay_alu instid0(SALU_CYCLE_1)
	s_or_b32 s12, s12, s15
	s_or_b32 exec_lo, exec_lo, s13
	v_mov_b32_e32 v4, s14
	s_and_saveexec_b32 s13, s12
	s_cbranch_execnz .LBB61_79
	s_branch .LBB61_80
.LBB61_166:                             ;   in Loop: Header=BB61_63 Depth=1
	v_bfe_u32 v2, v3, 20, 1
	s_mov_b32 s12, exec_lo
	s_delay_alu instid0(VALU_DEP_1) | instskip(NEXT) | instid1(VALU_DEP_1)
	v_add3_u32 v2, v3, v2, 0x487ffff
	v_lshrrev_b32_e32 v5, 20, v2
	s_or_saveexec_b32 s13, s13
                                        ; implicit-def: $sgpr14
	s_delay_alu instid0(SALU_CYCLE_1)
	s_xor_b32 exec_lo, exec_lo, s13
	s_cbranch_execz .LBB61_84
.LBB61_167:                             ;   in Loop: Header=BB61_63 Depth=1
	v_add_f32_e64 v2, 0x46000000, |v3|
	s_and_not1_b32 s12, s12, exec_lo
	s_mov_b32 s14, 0
	s_delay_alu instid0(VALU_DEP_1) | instskip(NEXT) | instid1(VALU_DEP_1)
	v_and_b32_e32 v5, 0xff, v2
	v_cmp_ne_u32_e32 vcc_lo, 0, v5
	s_and_b32 s15, vcc_lo, exec_lo
	s_delay_alu instid0(SALU_CYCLE_1)
	s_or_b32 s12, s12, s15
	s_or_b32 exec_lo, exec_lo, s13
	v_mov_b32_e32 v2, s14
	s_and_saveexec_b32 s13, s12
	s_cbranch_execnz .LBB61_85
	s_branch .LBB61_86
.LBB61_168:                             ;   in Loop: Header=BB61_63 Depth=1
	v_bfe_u32 v8, v13, 20, 1
	s_mov_b32 s13, exec_lo
	s_delay_alu instid0(VALU_DEP_1) | instskip(NEXT) | instid1(VALU_DEP_1)
	v_add3_u32 v8, v13, v8, 0x487ffff
	v_lshrrev_b32_e32 v14, 20, v8
	s_or_saveexec_b32 s14, s14
                                        ; implicit-def: $sgpr15
	s_delay_alu instid0(SALU_CYCLE_1)
	s_xor_b32 exec_lo, exec_lo, s14
	s_cbranch_execz .LBB61_91
.LBB61_169:                             ;   in Loop: Header=BB61_63 Depth=1
	v_add_f32_e64 v8, 0x46000000, |v13|
	s_and_not1_b32 s13, s13, exec_lo
	s_mov_b32 s15, 0
	s_delay_alu instid0(VALU_DEP_1) | instskip(NEXT) | instid1(VALU_DEP_1)
	v_and_b32_e32 v14, 0xff, v8
	v_cmp_ne_u32_e32 vcc_lo, 0, v14
	s_and_b32 s16, vcc_lo, exec_lo
	s_delay_alu instid0(SALU_CYCLE_1)
	s_or_b32 s13, s13, s16
	s_or_b32 exec_lo, exec_lo, s14
	v_mov_b32_e32 v8, s15
	s_and_saveexec_b32 s14, s13
	s_cbranch_execnz .LBB61_92
	s_branch .LBB61_93
.LBB61_170:                             ;   in Loop: Header=BB61_63 Depth=1
	v_bfe_u32 v6, v4, 20, 1
	s_mov_b32 s13, exec_lo
	s_delay_alu instid0(VALU_DEP_1) | instskip(NEXT) | instid1(VALU_DEP_1)
	v_add3_u32 v6, v4, v6, 0x487ffff
	v_lshrrev_b32_e32 v6, 20, v6
	s_or_saveexec_b32 s14, s14
                                        ; implicit-def: $sgpr15
	s_delay_alu instid0(SALU_CYCLE_1)
	s_xor_b32 exec_lo, exec_lo, s14
	s_cbranch_execz .LBB61_97
.LBB61_171:                             ;   in Loop: Header=BB61_63 Depth=1
	v_add_f32_e64 v6, 0x46000000, |v4|
	s_and_not1_b32 s13, s13, exec_lo
	s_mov_b32 s15, 0
	s_delay_alu instid0(VALU_DEP_1) | instskip(NEXT) | instid1(VALU_DEP_1)
	v_and_b32_e32 v6, 0xff, v6
	v_cmp_ne_u32_e32 vcc_lo, 0, v6
	s_and_b32 s16, vcc_lo, exec_lo
	s_delay_alu instid0(SALU_CYCLE_1)
	s_or_b32 s13, s13, s16
	s_or_b32 exec_lo, exec_lo, s14
	v_mov_b32_e32 v11, s15
	s_and_saveexec_b32 s14, s13
	s_cbranch_execnz .LBB61_98
	s_branch .LBB61_99
.LBB61_172:                             ;   in Loop: Header=BB61_63 Depth=1
	v_bfe_u32 v6, v13, 20, 1
	s_mov_b32 s13, exec_lo
	s_delay_alu instid0(VALU_DEP_1) | instskip(NEXT) | instid1(VALU_DEP_1)
	v_add3_u32 v6, v13, v6, 0x487ffff
	v_lshrrev_b32_e32 v14, 20, v6
	s_or_saveexec_b32 s14, s14
                                        ; implicit-def: $sgpr15
	s_delay_alu instid0(SALU_CYCLE_1)
	s_xor_b32 exec_lo, exec_lo, s14
	s_cbranch_execz .LBB61_103
.LBB61_173:                             ;   in Loop: Header=BB61_63 Depth=1
	v_add_f32_e64 v6, 0x46000000, |v13|
	s_and_not1_b32 s13, s13, exec_lo
	s_mov_b32 s15, 0
	s_delay_alu instid0(VALU_DEP_1) | instskip(NEXT) | instid1(VALU_DEP_1)
	v_and_b32_e32 v14, 0xff, v6
	v_cmp_ne_u32_e32 vcc_lo, 0, v14
	s_and_b32 s16, vcc_lo, exec_lo
	s_delay_alu instid0(SALU_CYCLE_1)
	s_or_b32 s13, s13, s16
	s_or_b32 exec_lo, exec_lo, s14
	v_mov_b32_e32 v6, s15
	s_and_saveexec_b32 s14, s13
	s_cbranch_execnz .LBB61_104
	s_branch .LBB61_105
.LBB61_174:                             ;   in Loop: Header=BB61_63 Depth=1
	v_bfe_u32 v4, v5, 20, 1
	s_mov_b32 s13, exec_lo
	s_delay_alu instid0(VALU_DEP_1) | instskip(NEXT) | instid1(VALU_DEP_1)
	v_add3_u32 v4, v5, v4, 0x487ffff
	v_lshrrev_b32_e32 v7, 20, v4
	s_or_saveexec_b32 s14, s14
                                        ; implicit-def: $sgpr15
	s_delay_alu instid0(SALU_CYCLE_1)
	s_xor_b32 exec_lo, exec_lo, s14
	s_cbranch_execz .LBB61_109
.LBB61_175:                             ;   in Loop: Header=BB61_63 Depth=1
	v_add_f32_e64 v4, 0x46000000, |v5|
	s_and_not1_b32 s13, s13, exec_lo
	s_mov_b32 s15, 0
	s_delay_alu instid0(VALU_DEP_1) | instskip(NEXT) | instid1(VALU_DEP_1)
	v_and_b32_e32 v7, 0xff, v4
	v_cmp_ne_u32_e32 vcc_lo, 0, v7
	s_and_b32 s16, vcc_lo, exec_lo
	s_delay_alu instid0(SALU_CYCLE_1)
	s_or_b32 s13, s13, s16
	s_or_b32 exec_lo, exec_lo, s14
	v_mov_b32_e32 v4, s15
	s_and_saveexec_b32 s14, s13
	s_cbranch_execnz .LBB61_110
	s_branch .LBB61_111
.LBB61_176:                             ;   in Loop: Header=BB61_63 Depth=1
	v_bfe_u32 v11, v14, 20, 1
	s_mov_b32 s14, exec_lo
	s_delay_alu instid0(VALU_DEP_1) | instskip(NEXT) | instid1(VALU_DEP_1)
	v_add3_u32 v11, v14, v11, 0x487ffff
	v_lshrrev_b32_e32 v15, 20, v11
	s_or_saveexec_b32 s15, s15
                                        ; implicit-def: $sgpr16
	s_delay_alu instid0(SALU_CYCLE_1)
	s_xor_b32 exec_lo, exec_lo, s15
	s_cbranch_execz .LBB61_116
.LBB61_177:                             ;   in Loop: Header=BB61_63 Depth=1
	v_add_f32_e64 v11, 0x46000000, |v14|
	s_and_not1_b32 s14, s14, exec_lo
	s_mov_b32 s16, 0
	s_delay_alu instid0(VALU_DEP_1) | instskip(NEXT) | instid1(VALU_DEP_1)
	v_and_b32_e32 v15, 0xff, v11
	v_cmp_ne_u32_e32 vcc_lo, 0, v15
	s_and_b32 s17, vcc_lo, exec_lo
	s_delay_alu instid0(SALU_CYCLE_1)
	s_or_b32 s14, s14, s17
	s_or_b32 exec_lo, exec_lo, s15
	v_mov_b32_e32 v11, s16
	s_and_saveexec_b32 s15, s14
	s_cbranch_execnz .LBB61_117
	s_branch .LBB61_118
.LBB61_178:                             ;   in Loop: Header=BB61_63 Depth=1
	v_bfe_u32 v7, v5, 20, 1
	s_mov_b32 s14, exec_lo
	s_delay_alu instid0(VALU_DEP_1) | instskip(NEXT) | instid1(VALU_DEP_1)
	v_add3_u32 v7, v5, v7, 0x487ffff
	v_lshrrev_b32_e32 v7, 20, v7
	s_or_saveexec_b32 s15, s15
                                        ; implicit-def: $sgpr16
	s_delay_alu instid0(SALU_CYCLE_1)
	s_xor_b32 exec_lo, exec_lo, s15
	s_cbranch_execz .LBB61_122
.LBB61_179:                             ;   in Loop: Header=BB61_63 Depth=1
	v_add_f32_e64 v7, 0x46000000, |v5|
	s_and_not1_b32 s14, s14, exec_lo
	s_mov_b32 s16, 0
	s_delay_alu instid0(VALU_DEP_1) | instskip(NEXT) | instid1(VALU_DEP_1)
	v_and_b32_e32 v7, 0xff, v7
	v_cmp_ne_u32_e32 vcc_lo, 0, v7
	s_and_b32 s17, vcc_lo, exec_lo
	s_delay_alu instid0(SALU_CYCLE_1)
	s_or_b32 s14, s14, s17
	s_or_b32 exec_lo, exec_lo, s15
	v_mov_b32_e32 v12, s16
	s_and_saveexec_b32 s15, s14
	s_cbranch_execnz .LBB61_123
	s_branch .LBB61_124
.LBB61_180:                             ;   in Loop: Header=BB61_63 Depth=1
	v_bfe_u32 v7, v14, 20, 1
	s_mov_b32 s14, exec_lo
	s_delay_alu instid0(VALU_DEP_1) | instskip(NEXT) | instid1(VALU_DEP_1)
	v_add3_u32 v7, v14, v7, 0x487ffff
	v_lshrrev_b32_e32 v15, 20, v7
	s_or_saveexec_b32 s15, s15
                                        ; implicit-def: $sgpr16
	s_delay_alu instid0(SALU_CYCLE_1)
	s_xor_b32 exec_lo, exec_lo, s15
	s_cbranch_execz .LBB61_128
.LBB61_181:                             ;   in Loop: Header=BB61_63 Depth=1
	v_add_f32_e64 v7, 0x46000000, |v14|
	s_and_not1_b32 s14, s14, exec_lo
	s_mov_b32 s16, 0
	s_delay_alu instid0(VALU_DEP_1) | instskip(NEXT) | instid1(VALU_DEP_1)
	v_and_b32_e32 v15, 0xff, v7
	v_cmp_ne_u32_e32 vcc_lo, 0, v15
	s_and_b32 s17, vcc_lo, exec_lo
	s_delay_alu instid0(SALU_CYCLE_1)
	s_or_b32 s14, s14, s17
	s_or_b32 exec_lo, exec_lo, s15
	v_mov_b32_e32 v7, s16
	s_and_saveexec_b32 s15, s14
	s_cbranch_execnz .LBB61_129
	s_branch .LBB61_130
.LBB61_182:                             ;   in Loop: Header=BB61_63 Depth=1
	v_bfe_u32 v5, v6, 20, 1
	s_mov_b32 s14, exec_lo
	s_delay_alu instid0(VALU_DEP_1) | instskip(NEXT) | instid1(VALU_DEP_1)
	v_add3_u32 v5, v6, v5, 0x487ffff
	v_lshrrev_b32_e32 v8, 20, v5
	s_or_saveexec_b32 s15, s15
                                        ; implicit-def: $sgpr16
	s_delay_alu instid0(SALU_CYCLE_1)
	s_xor_b32 exec_lo, exec_lo, s15
	s_cbranch_execz .LBB61_134
.LBB61_183:                             ;   in Loop: Header=BB61_63 Depth=1
	v_add_f32_e64 v5, 0x46000000, |v6|
	s_and_not1_b32 s14, s14, exec_lo
	s_mov_b32 s16, 0
	s_delay_alu instid0(VALU_DEP_1) | instskip(NEXT) | instid1(VALU_DEP_1)
	v_and_b32_e32 v8, 0xff, v5
	v_cmp_ne_u32_e32 vcc_lo, 0, v8
	s_and_b32 s17, vcc_lo, exec_lo
	s_delay_alu instid0(SALU_CYCLE_1)
	s_or_b32 s14, s14, s17
	s_or_b32 exec_lo, exec_lo, s15
	v_mov_b32_e32 v5, s16
	s_and_saveexec_b32 s15, s14
	s_cbranch_execnz .LBB61_135
	s_branch .LBB61_136
.LBB61_184:                             ;   in Loop: Header=BB61_63 Depth=1
	v_bfe_u32 v7, v12, 20, 1
	s_mov_b32 s15, exec_lo
	s_delay_alu instid0(VALU_DEP_1) | instskip(NEXT) | instid1(VALU_DEP_1)
	v_add3_u32 v7, v12, v7, 0x487ffff
	v_lshrrev_b32_e32 v13, 20, v7
	s_or_saveexec_b32 s16, s16
                                        ; implicit-def: $sgpr17
	s_delay_alu instid0(SALU_CYCLE_1)
	s_xor_b32 exec_lo, exec_lo, s16
	s_cbranch_execz .LBB61_141
.LBB61_185:                             ;   in Loop: Header=BB61_63 Depth=1
	v_add_f32_e64 v7, 0x46000000, |v12|
	s_and_not1_b32 s15, s15, exec_lo
	s_mov_b32 s17, 0
	s_delay_alu instid0(VALU_DEP_1) | instskip(NEXT) | instid1(VALU_DEP_1)
	v_and_b32_e32 v13, 0xff, v7
	v_cmp_ne_u32_e32 vcc_lo, 0, v13
	s_and_b32 s18, vcc_lo, exec_lo
	s_delay_alu instid0(SALU_CYCLE_1)
	s_or_b32 s15, s15, s18
	s_or_b32 exec_lo, exec_lo, s16
	v_mov_b32_e32 v7, s17
	s_and_saveexec_b32 s16, s15
	s_cbranch_execnz .LBB61_142
	s_branch .LBB61_143
.LBB61_186:                             ;   in Loop: Header=BB61_63 Depth=1
	v_bfe_u32 v5, v3, 20, 1
	s_mov_b32 s15, exec_lo
	s_delay_alu instid0(VALU_DEP_1) | instskip(NEXT) | instid1(VALU_DEP_1)
	v_add3_u32 v5, v3, v5, 0x487ffff
	v_lshrrev_b32_e32 v5, 20, v5
	s_or_saveexec_b32 s16, s16
                                        ; implicit-def: $sgpr17
	s_delay_alu instid0(SALU_CYCLE_1)
	s_xor_b32 exec_lo, exec_lo, s16
	s_cbranch_execz .LBB61_147
.LBB61_187:                             ;   in Loop: Header=BB61_63 Depth=1
	v_add_f32_e64 v5, 0x46000000, |v3|
	s_and_not1_b32 s15, s15, exec_lo
	s_mov_b32 s17, 0
	s_delay_alu instid0(VALU_DEP_1) | instskip(NEXT) | instid1(VALU_DEP_1)
	v_and_b32_e32 v5, 0xff, v5
	v_cmp_ne_u32_e32 vcc_lo, 0, v5
	s_and_b32 s18, vcc_lo, exec_lo
	s_delay_alu instid0(SALU_CYCLE_1)
	s_or_b32 s15, s15, s18
	s_or_b32 exec_lo, exec_lo, s16
	v_mov_b32_e32 v8, s17
	s_and_saveexec_b32 s16, s15
	s_cbranch_execnz .LBB61_148
	s_branch .LBB61_149
.LBB61_188:                             ;   in Loop: Header=BB61_63 Depth=1
	v_bfe_u32 v5, v12, 20, 1
	s_mov_b32 s15, exec_lo
	s_delay_alu instid0(VALU_DEP_1) | instskip(NEXT) | instid1(VALU_DEP_1)
	v_add3_u32 v5, v12, v5, 0x487ffff
	v_lshrrev_b32_e32 v13, 20, v5
	s_or_saveexec_b32 s16, s16
                                        ; implicit-def: $sgpr17
	s_delay_alu instid0(SALU_CYCLE_1)
	s_xor_b32 exec_lo, exec_lo, s16
	s_cbranch_execz .LBB61_153
.LBB61_189:                             ;   in Loop: Header=BB61_63 Depth=1
	v_add_f32_e64 v5, 0x46000000, |v12|
	s_and_not1_b32 s15, s15, exec_lo
	s_mov_b32 s17, 0
	s_delay_alu instid0(VALU_DEP_1) | instskip(NEXT) | instid1(VALU_DEP_1)
	v_and_b32_e32 v13, 0xff, v5
	v_cmp_ne_u32_e32 vcc_lo, 0, v13
	s_and_b32 s18, vcc_lo, exec_lo
	s_delay_alu instid0(SALU_CYCLE_1)
	s_or_b32 s15, s15, s18
	s_or_b32 exec_lo, exec_lo, s16
	v_mov_b32_e32 v5, s17
	s_and_saveexec_b32 s16, s15
	s_cbranch_execnz .LBB61_154
	s_branch .LBB61_155
.LBB61_190:                             ;   in Loop: Header=BB61_63 Depth=1
	v_bfe_u32 v3, v4, 20, 1
	s_mov_b32 s15, exec_lo
	s_delay_alu instid0(VALU_DEP_1) | instskip(NEXT) | instid1(VALU_DEP_1)
	v_add3_u32 v3, v4, v3, 0x487ffff
	v_lshrrev_b32_e32 v6, 20, v3
	s_or_saveexec_b32 s16, s16
                                        ; implicit-def: $sgpr17
	s_delay_alu instid0(SALU_CYCLE_1)
	s_xor_b32 exec_lo, exec_lo, s16
	s_cbranch_execz .LBB61_159
.LBB61_191:                             ;   in Loop: Header=BB61_63 Depth=1
	v_add_f32_e64 v3, 0x46000000, |v4|
	s_and_not1_b32 s15, s15, exec_lo
	s_mov_b32 s17, 0
	s_delay_alu instid0(VALU_DEP_1) | instskip(NEXT) | instid1(VALU_DEP_1)
	v_and_b32_e32 v6, 0xff, v3
	v_cmp_ne_u32_e32 vcc_lo, 0, v6
	s_and_b32 s18, vcc_lo, exec_lo
	s_delay_alu instid0(SALU_CYCLE_1)
	s_or_b32 s15, s15, s18
	s_or_b32 exec_lo, exec_lo, s16
	v_mov_b32_e32 v3, s17
	s_and_saveexec_b32 s16, s15
	s_cbranch_execz .LBB61_58
.LBB61_192:                             ;   in Loop: Header=BB61_63 Depth=1
	v_lshrrev_b32_e32 v3, 24, v4
	s_delay_alu instid0(VALU_DEP_1)
	v_and_or_b32 v3, 0x80, v3, v6
	s_branch .LBB61_58
.LBB61_193:
	s_nop 0
	s_sendmsg sendmsg(MSG_DEALLOC_VGPRS)
	s_endpgm
.LBB61_194:
                                        ; implicit-def: $vgpr3_vgpr4
	s_branch .LBB61_51
.LBB61_195:
                                        ; implicit-def: $vgpr1_vgpr2
	s_branch .LBB61_56
	.section	.rodata,"a",@progbits
	.p2align	6, 0x0
	.amdhsa_kernel _ZN4vllm31rms_norm_per_block_quant_kernelIN3c104HalfENS1_15Float8_e4m3fnuzELb0ELb1ELi64EEEvPT0_PfPKT_S9_PKffiiPS7_l
		.amdhsa_group_segment_fixed_size 4228
		.amdhsa_private_segment_fixed_size 0
		.amdhsa_kernarg_size 328
		.amdhsa_user_sgpr_count 15
		.amdhsa_user_sgpr_dispatch_ptr 0
		.amdhsa_user_sgpr_queue_ptr 0
		.amdhsa_user_sgpr_kernarg_segment_ptr 1
		.amdhsa_user_sgpr_dispatch_id 0
		.amdhsa_user_sgpr_private_segment_size 0
		.amdhsa_wavefront_size32 1
		.amdhsa_uses_dynamic_stack 0
		.amdhsa_enable_private_segment 0
		.amdhsa_system_sgpr_workgroup_id_x 1
		.amdhsa_system_sgpr_workgroup_id_y 0
		.amdhsa_system_sgpr_workgroup_id_z 0
		.amdhsa_system_sgpr_workgroup_info 0
		.amdhsa_system_vgpr_workitem_id 0
		.amdhsa_next_free_vgpr 35
		.amdhsa_next_free_sgpr 38
		.amdhsa_reserve_vcc 1
		.amdhsa_float_round_mode_32 0
		.amdhsa_float_round_mode_16_64 0
		.amdhsa_float_denorm_mode_32 3
		.amdhsa_float_denorm_mode_16_64 3
		.amdhsa_dx10_clamp 1
		.amdhsa_ieee_mode 1
		.amdhsa_fp16_overflow 0
		.amdhsa_workgroup_processor_mode 1
		.amdhsa_memory_ordered 1
		.amdhsa_forward_progress 0
		.amdhsa_shared_vgpr_count 0
		.amdhsa_exception_fp_ieee_invalid_op 0
		.amdhsa_exception_fp_denorm_src 0
		.amdhsa_exception_fp_ieee_div_zero 0
		.amdhsa_exception_fp_ieee_overflow 0
		.amdhsa_exception_fp_ieee_underflow 0
		.amdhsa_exception_fp_ieee_inexact 0
		.amdhsa_exception_int_div_zero 0
	.end_amdhsa_kernel
	.section	.text._ZN4vllm31rms_norm_per_block_quant_kernelIN3c104HalfENS1_15Float8_e4m3fnuzELb0ELb1ELi64EEEvPT0_PfPKT_S9_PKffiiPS7_l,"axG",@progbits,_ZN4vllm31rms_norm_per_block_quant_kernelIN3c104HalfENS1_15Float8_e4m3fnuzELb0ELb1ELi64EEEvPT0_PfPKT_S9_PKffiiPS7_l,comdat
.Lfunc_end61:
	.size	_ZN4vllm31rms_norm_per_block_quant_kernelIN3c104HalfENS1_15Float8_e4m3fnuzELb0ELb1ELi64EEEvPT0_PfPKT_S9_PKffiiPS7_l, .Lfunc_end61-_ZN4vllm31rms_norm_per_block_quant_kernelIN3c104HalfENS1_15Float8_e4m3fnuzELb0ELb1ELi64EEEvPT0_PfPKT_S9_PKffiiPS7_l
                                        ; -- End function
	.section	.AMDGPU.csdata,"",@progbits
; Kernel info:
; codeLenInByte = 12968
; NumSgprs: 40
; NumVgprs: 35
; ScratchSize: 0
; MemoryBound: 0
; FloatMode: 240
; IeeeMode: 1
; LDSByteSize: 4228 bytes/workgroup (compile time only)
; SGPRBlocks: 4
; VGPRBlocks: 4
; NumSGPRsForWavesPerEU: 40
; NumVGPRsForWavesPerEU: 35
; Occupancy: 16
; WaveLimiterHint : 0
; COMPUTE_PGM_RSRC2:SCRATCH_EN: 0
; COMPUTE_PGM_RSRC2:USER_SGPR: 15
; COMPUTE_PGM_RSRC2:TRAP_HANDLER: 0
; COMPUTE_PGM_RSRC2:TGID_X_EN: 1
; COMPUTE_PGM_RSRC2:TGID_Y_EN: 0
; COMPUTE_PGM_RSRC2:TGID_Z_EN: 0
; COMPUTE_PGM_RSRC2:TIDIG_COMP_CNT: 0
	.section	.text._ZN4vllm31rms_norm_per_block_quant_kernelIN3c104HalfEaLb0ELb1ELi64EEEvPT0_PfPKT_S8_PKffiiPS6_l,"axG",@progbits,_ZN4vllm31rms_norm_per_block_quant_kernelIN3c104HalfEaLb0ELb1ELi64EEEvPT0_PfPKT_S8_PKffiiPS6_l,comdat
	.protected	_ZN4vllm31rms_norm_per_block_quant_kernelIN3c104HalfEaLb0ELb1ELi64EEEvPT0_PfPKT_S8_PKffiiPS6_l ; -- Begin function _ZN4vllm31rms_norm_per_block_quant_kernelIN3c104HalfEaLb0ELb1ELi64EEEvPT0_PfPKT_S8_PKffiiPS6_l
	.globl	_ZN4vllm31rms_norm_per_block_quant_kernelIN3c104HalfEaLb0ELb1ELi64EEEvPT0_PfPKT_S8_PKffiiPS6_l
	.p2align	8
	.type	_ZN4vllm31rms_norm_per_block_quant_kernelIN3c104HalfEaLb0ELb1ELi64EEEvPT0_PfPKT_S8_PKffiiPS6_l,@function
_ZN4vllm31rms_norm_per_block_quant_kernelIN3c104HalfEaLb0ELb1ELi64EEEvPT0_PfPKT_S8_PKffiiPS6_l: ; @_ZN4vllm31rms_norm_per_block_quant_kernelIN3c104HalfEaLb0ELb1ELi64EEEvPT0_PfPKT_S8_PKffiiPS6_l
; %bb.0:
	s_mov_b32 s16, s15
	s_clause 0x2
	s_load_b128 s[12:15], s[0:1], 0x28
	s_load_b256 s[4:11], s[0:1], 0x0
	s_load_b32 s29, s[0:1], 0x48
	v_mov_b32_e32 v6, 0
	s_mov_b32 s17, 0
	s_waitcnt lgkmcnt(0)
	s_ashr_i32 s2, s14, 31
	s_mul_hi_u32 s3, s14, s16
	s_mul_i32 s15, s2, s16
	s_mul_i32 s2, s14, s16
	s_add_i32 s3, s3, s15
	s_mov_b32 s14, s13
	s_lshl_b64 s[2:3], s[2:3], 1
	s_delay_alu instid0(SALU_CYCLE_1)
	s_add_u32 s26, s8, s2
	s_addc_u32 s27, s9, s3
	s_ashr_i32 s8, s13, 2
	s_add_u32 s18, s0, 0x48
	v_cmp_gt_u32_e64 s2, s8, v0
	s_addc_u32 s19, s1, 0
	s_delay_alu instid0(VALU_DEP_1)
	s_and_saveexec_b32 s3, s2
	s_cbranch_execz .LBB62_10
; %bb.1:
	s_cmp_lt_u32 s16, s29
	v_mov_b32_e32 v2, 0
	s_cselect_b32 s9, 12, 18
                                        ; implicit-def: $sgpr15
	v_mov_b32_e32 v1, v0
	s_add_u32 s20, s18, s9
	s_addc_u32 s21, s19, 0
	s_mov_b32 s9, s17
	global_load_u16 v7, v2, s[20:21]
	s_waitcnt vmcnt(0)
	v_lshlrev_b32_e32 v9, 1, v7
	v_mul_lo_u32 v8, v7, 3
	v_add_nc_u32_e32 v10, v7, v7
	v_mov_b32_e32 v6, v2
	s_branch .LBB62_5
.LBB62_2:                               ;   in Loop: Header=BB62_5 Depth=1
	s_or_b32 exec_lo, exec_lo, s22
	s_delay_alu instid0(SALU_CYCLE_1)
	s_or_not1_b32 s22, s23, exec_lo
.LBB62_3:                               ;   in Loop: Header=BB62_5 Depth=1
	s_or_b32 exec_lo, exec_lo, s21
	s_delay_alu instid0(SALU_CYCLE_1) | instskip(SKIP_1) | instid1(SALU_CYCLE_1)
	s_and_not1_b32 s15, s15, exec_lo
	s_and_b32 s21, s22, exec_lo
	s_or_b32 s15, s15, s21
.LBB62_4:                               ;   in Loop: Header=BB62_5 Depth=1
	s_or_b32 exec_lo, exec_lo, s20
	s_delay_alu instid0(SALU_CYCLE_1) | instskip(NEXT) | instid1(SALU_CYCLE_1)
	s_and_b32 s20, exec_lo, s15
	s_or_b32 s9, s20, s9
	s_delay_alu instid0(SALU_CYCLE_1)
	s_and_not1_b32 exec_lo, exec_lo, s9
	s_cbranch_execz .LBB62_9
.LBB62_5:                               ; =>This Inner Loop Header: Depth=1
	v_lshlrev_b64 v[3:4], 3, v[1:2]
	s_or_b32 s15, s15, exec_lo
	s_mov_b32 s20, exec_lo
	s_delay_alu instid0(VALU_DEP_1) | instskip(NEXT) | instid1(VALU_DEP_2)
	v_add_co_u32 v3, vcc_lo, s26, v3
	v_add_co_ci_u32_e32 v4, vcc_lo, s27, v4, vcc_lo
	global_load_b64 v[3:4], v[3:4], off
	s_waitcnt vmcnt(0)
	v_fma_mix_f32 v5, v3, v3, v6 op_sel_hi:[1,1,0]
	s_delay_alu instid0(VALU_DEP_1) | instskip(NEXT) | instid1(VALU_DEP_1)
	v_fma_mix_f32 v3, v3, v3, v5 op_sel:[1,1,0] op_sel_hi:[1,1,0]
	v_fma_mix_f32 v5, v4, v4, v3 op_sel_hi:[1,1,0]
	v_add_nc_u32_e32 v3, v1, v7
	s_delay_alu instid0(VALU_DEP_2) | instskip(NEXT) | instid1(VALU_DEP_2)
	v_fma_mix_f32 v6, v4, v4, v5 op_sel:[1,1,0] op_sel_hi:[1,1,0]
	v_cmpx_gt_u32_e64 s8, v3
	s_cbranch_execz .LBB62_4
; %bb.6:                                ;   in Loop: Header=BB62_5 Depth=1
	v_mov_b32_e32 v4, v2
	s_mov_b32 s22, -1
	s_mov_b32 s21, exec_lo
	s_delay_alu instid0(VALU_DEP_1) | instskip(NEXT) | instid1(VALU_DEP_1)
	v_lshlrev_b64 v[4:5], 3, v[3:4]
	v_add_co_u32 v4, vcc_lo, s26, v4
	s_delay_alu instid0(VALU_DEP_2) | instskip(SKIP_3) | instid1(VALU_DEP_1)
	v_add_co_ci_u32_e32 v5, vcc_lo, s27, v5, vcc_lo
	global_load_b64 v[4:5], v[4:5], off
	s_waitcnt vmcnt(0)
	v_fma_mix_f32 v6, v4, v4, v6 op_sel_hi:[1,1,0]
	v_fma_mix_f32 v4, v4, v4, v6 op_sel:[1,1,0] op_sel_hi:[1,1,0]
	s_delay_alu instid0(VALU_DEP_1) | instskip(SKIP_1) | instid1(VALU_DEP_2)
	v_fma_mix_f32 v6, v5, v5, v4 op_sel_hi:[1,1,0]
	v_add_nc_u32_e32 v4, v9, v1
	v_fma_mix_f32 v6, v5, v5, v6 op_sel:[1,1,0] op_sel_hi:[1,1,0]
	s_delay_alu instid0(VALU_DEP_2)
	v_cmpx_gt_u32_e64 s8, v4
	s_cbranch_execz .LBB62_3
; %bb.7:                                ;   in Loop: Header=BB62_5 Depth=1
	v_mov_b32_e32 v5, v2
	v_add_nc_u32_e32 v1, v8, v1
	s_mov_b32 s23, -1
	s_mov_b32 s22, exec_lo
	s_delay_alu instid0(VALU_DEP_2) | instskip(NEXT) | instid1(VALU_DEP_1)
	v_lshlrev_b64 v[4:5], 3, v[4:5]
	v_add_co_u32 v4, vcc_lo, s26, v4
	s_delay_alu instid0(VALU_DEP_2) | instskip(SKIP_3) | instid1(VALU_DEP_1)
	v_add_co_ci_u32_e32 v5, vcc_lo, s27, v5, vcc_lo
	global_load_b64 v[4:5], v[4:5], off
	s_waitcnt vmcnt(0)
	v_fma_mix_f32 v6, v4, v4, v6 op_sel_hi:[1,1,0]
	v_fma_mix_f32 v4, v4, v4, v6 op_sel:[1,1,0] op_sel_hi:[1,1,0]
	s_delay_alu instid0(VALU_DEP_1) | instskip(NEXT) | instid1(VALU_DEP_1)
	v_fma_mix_f32 v4, v5, v5, v4 op_sel_hi:[1,1,0]
	v_fma_mix_f32 v6, v5, v5, v4 op_sel:[1,1,0] op_sel_hi:[1,1,0]
	v_cmpx_gt_u32_e64 s8, v1
	s_xor_b32 s22, exec_lo, s22
	s_cbranch_execz .LBB62_2
; %bb.8:                                ;   in Loop: Header=BB62_5 Depth=1
	v_lshlrev_b64 v[4:5], 3, v[1:2]
	s_delay_alu instid0(VALU_DEP_1) | instskip(NEXT) | instid1(VALU_DEP_2)
	v_add_co_u32 v4, vcc_lo, s26, v4
	v_add_co_ci_u32_e32 v5, vcc_lo, s27, v5, vcc_lo
	global_load_b64 v[4:5], v[4:5], off
	s_waitcnt vmcnt(0)
	v_fma_mix_f32 v1, v4, v4, v6 op_sel_hi:[1,1,0]
	s_delay_alu instid0(VALU_DEP_1) | instskip(SKIP_1) | instid1(VALU_DEP_2)
	v_fma_mix_f32 v4, v4, v4, v1 op_sel:[1,1,0] op_sel_hi:[1,1,0]
	v_add3_u32 v1, v10, v7, v3
	v_fma_mix_f32 v3, v5, v5, v4 op_sel_hi:[1,1,0]
	s_delay_alu instid0(VALU_DEP_2) | instskip(NEXT) | instid1(VALU_DEP_2)
	v_cmp_le_u32_e32 vcc_lo, s8, v1
	v_fma_mix_f32 v6, v5, v5, v3 op_sel:[1,1,0] op_sel_hi:[1,1,0]
	s_or_not1_b32 s23, vcc_lo, exec_lo
	s_branch .LBB62_2
.LBB62_9:
	s_or_b32 exec_lo, exec_lo, s9
.LBB62_10:
	s_delay_alu instid0(SALU_CYCLE_1) | instskip(SKIP_4) | instid1(VALU_DEP_2)
	s_or_b32 exec_lo, exec_lo, s3
	v_mbcnt_lo_u32_b32 v1, -1, 0
	s_load_b32 s3, s[18:19], 0xc
	v_and_b32_e32 v7, 0x3e0, v0
	s_mov_b32 s9, exec_lo
	v_cmp_ne_u32_e32 vcc_lo, 31, v1
	v_add_nc_u32_e32 v3, 1, v1
	v_add_co_ci_u32_e32 v2, vcc_lo, 0, v1, vcc_lo
	v_cmp_gt_u32_e32 vcc_lo, 30, v1
	s_delay_alu instid0(VALU_DEP_2)
	v_lshlrev_b32_e32 v2, 2, v2
	v_cndmask_b32_e64 v5, 0, 1, vcc_lo
	ds_bpermute_b32 v4, v2, v6
	s_waitcnt lgkmcnt(0)
	s_and_b32 s3, s3, 0xffff
	v_lshlrev_b32_e32 v5, 1, v5
	v_sub_nc_u32_e64 v12, s3, v7 clamp
	s_delay_alu instid0(VALU_DEP_1) | instskip(SKIP_1) | instid1(VALU_DEP_4)
	v_cmp_lt_u32_e32 vcc_lo, v3, v12
	v_add_f32_e32 v7, v6, v4
	v_add_lshl_u32 v4, v5, v1, 2
	s_delay_alu instid0(VALU_DEP_2) | instskip(SKIP_2) | instid1(VALU_DEP_1)
	v_cndmask_b32_e32 v7, v6, v7, vcc_lo
	v_cmp_gt_u32_e32 vcc_lo, 28, v1
	v_cndmask_b32_e64 v5, 0, 1, vcc_lo
	v_lshlrev_b32_e32 v8, 2, v5
	ds_bpermute_b32 v6, v4, v7
	v_add_nc_u32_e32 v5, 2, v1
	s_delay_alu instid0(VALU_DEP_1) | instskip(SKIP_3) | instid1(VALU_DEP_2)
	v_cmp_lt_u32_e32 vcc_lo, v5, v12
	s_waitcnt lgkmcnt(0)
	v_add_f32_e32 v9, v7, v6
	v_add_lshl_u32 v6, v8, v1, 2
	v_cndmask_b32_e32 v9, v7, v9, vcc_lo
	v_cmp_gt_u32_e32 vcc_lo, 24, v1
	ds_bpermute_b32 v8, v6, v9
	v_cndmask_b32_e64 v7, 0, 1, vcc_lo
	s_delay_alu instid0(VALU_DEP_1) | instskip(SKIP_1) | instid1(VALU_DEP_1)
	v_lshlrev_b32_e32 v10, 3, v7
	v_add_nc_u32_e32 v7, 4, v1
	v_cmp_lt_u32_e32 vcc_lo, v7, v12
	s_waitcnt lgkmcnt(0)
	v_add_f32_e32 v11, v9, v8
	v_add_lshl_u32 v8, v10, v1, 2
	s_delay_alu instid0(VALU_DEP_2) | instskip(SKIP_3) | instid1(VALU_DEP_1)
	v_cndmask_b32_e32 v11, v9, v11, vcc_lo
	v_cmp_gt_u32_e32 vcc_lo, 16, v1
	ds_bpermute_b32 v10, v8, v11
	v_cndmask_b32_e64 v9, 0, 1, vcc_lo
	v_lshlrev_b32_e32 v13, 4, v9
	v_add_nc_u32_e32 v9, 8, v1
	s_delay_alu instid0(VALU_DEP_1) | instskip(SKIP_3) | instid1(VALU_DEP_2)
	v_cmp_lt_u32_e32 vcc_lo, v9, v12
	s_waitcnt lgkmcnt(0)
	v_add_f32_e32 v14, v11, v10
	v_add_lshl_u32 v10, v13, v1, 2
	v_cndmask_b32_e32 v13, v11, v14, vcc_lo
	v_add_nc_u32_e32 v11, 16, v1
	ds_bpermute_b32 v14, v10, v13
	v_cmp_lt_u32_e32 vcc_lo, v11, v12
	s_waitcnt lgkmcnt(0)
	v_add_f32_e32 v14, v13, v14
	s_delay_alu instid0(VALU_DEP_1)
	v_cndmask_b32_e32 v12, v13, v14, vcc_lo
	v_cmpx_eq_u32_e32 0, v1
	s_cbranch_execz .LBB62_12
; %bb.11:
	v_lshrrev_b32_e32 v13, 3, v0
	s_delay_alu instid0(VALU_DEP_1)
	v_and_b32_e32 v13, 0x7c, v13
	ds_store_b32 v13, v12 offset:4096
.LBB62_12:
	s_or_b32 exec_lo, exec_lo, s9
	s_delay_alu instid0(SALU_CYCLE_1)
	s_mov_b32 s9, exec_lo
	s_waitcnt lgkmcnt(0)
	s_barrier
	buffer_gl0_inv
	v_cmpx_gt_u32_e32 32, v0
	s_cbranch_execz .LBB62_14
; %bb.13:
	v_lshlrev_b32_e32 v1, 2, v1
	s_add_i32 s3, s3, 31
	s_delay_alu instid0(SALU_CYCLE_1) | instskip(NEXT) | instid1(SALU_CYCLE_1)
	s_lshr_b32 s3, s3, 5
	v_cmp_gt_u32_e32 vcc_lo, s3, v3
	ds_load_b32 v1, v1 offset:4096
	s_waitcnt lgkmcnt(0)
	ds_bpermute_b32 v2, v2, v1
	s_waitcnt lgkmcnt(0)
	v_add_f32_e32 v2, v1, v2
	s_delay_alu instid0(VALU_DEP_1) | instskip(SKIP_4) | instid1(VALU_DEP_1)
	v_cndmask_b32_e32 v1, v1, v2, vcc_lo
	v_cmp_gt_u32_e32 vcc_lo, s3, v5
	ds_bpermute_b32 v2, v4, v1
	s_waitcnt lgkmcnt(0)
	v_add_f32_e32 v2, v1, v2
	v_cndmask_b32_e32 v1, v1, v2, vcc_lo
	v_cmp_gt_u32_e32 vcc_lo, s3, v7
	ds_bpermute_b32 v2, v6, v1
	s_waitcnt lgkmcnt(0)
	v_add_f32_e32 v2, v1, v2
	s_delay_alu instid0(VALU_DEP_1) | instskip(SKIP_4) | instid1(VALU_DEP_1)
	v_cndmask_b32_e32 v1, v1, v2, vcc_lo
	v_cmp_gt_u32_e32 vcc_lo, s3, v9
	ds_bpermute_b32 v2, v8, v1
	s_waitcnt lgkmcnt(0)
	v_add_f32_e32 v2, v1, v2
	v_cndmask_b32_e32 v1, v1, v2, vcc_lo
	v_cmp_gt_u32_e32 vcc_lo, s3, v11
	ds_bpermute_b32 v2, v10, v1
	s_waitcnt lgkmcnt(0)
	v_add_f32_e32 v2, v1, v2
	s_delay_alu instid0(VALU_DEP_1)
	v_cndmask_b32_e32 v12, v1, v2, vcc_lo
.LBB62_14:
	s_or_b32 exec_lo, exec_lo, s9
	s_delay_alu instid0(SALU_CYCLE_1)
	s_mov_b32 s3, exec_lo
	v_cmpx_eq_u32_e32 0, v0
	s_cbranch_execz .LBB62_16
; %bb.15:
	v_cvt_f32_i32_e32 v1, s13
	s_delay_alu instid0(VALU_DEP_1) | instskip(SKIP_1) | instid1(VALU_DEP_2)
	v_div_scale_f32 v2, null, v1, v1, v12
	v_div_scale_f32 v5, vcc_lo, v12, v1, v12
	v_rcp_f32_e32 v3, v2
	s_waitcnt_depctr 0xfff
	v_fma_f32 v4, -v2, v3, 1.0
	s_delay_alu instid0(VALU_DEP_1) | instskip(NEXT) | instid1(VALU_DEP_1)
	v_fmac_f32_e32 v3, v4, v3
	v_mul_f32_e32 v4, v5, v3
	s_delay_alu instid0(VALU_DEP_1) | instskip(NEXT) | instid1(VALU_DEP_1)
	v_fma_f32 v6, -v2, v4, v5
	v_fmac_f32_e32 v4, v6, v3
	s_delay_alu instid0(VALU_DEP_1) | instskip(NEXT) | instid1(VALU_DEP_1)
	v_fma_f32 v2, -v2, v4, v5
	v_div_fmas_f32 v2, v2, v3, v4
	s_delay_alu instid0(VALU_DEP_1) | instskip(NEXT) | instid1(VALU_DEP_1)
	v_div_fixup_f32 v1, v2, v1, v12
	v_add_f32_e32 v1, s12, v1
	s_delay_alu instid0(VALU_DEP_1) | instskip(SKIP_1) | instid1(VALU_DEP_2)
	v_mul_f32_e32 v2, 0x4b800000, v1
	v_cmp_gt_f32_e32 vcc_lo, 0x800000, v1
	v_cndmask_b32_e32 v1, v1, v2, vcc_lo
	s_delay_alu instid0(VALU_DEP_1) | instskip(SKIP_2) | instid1(VALU_DEP_1)
	v_rsq_f32_e32 v1, v1
	s_waitcnt_depctr 0xfff
	v_mul_f32_e32 v2, 0x45800000, v1
	v_dual_cndmask_b32 v1, v1, v2 :: v_dual_mov_b32 v2, 0
	ds_store_b32 v2, v1 offset:4224
.LBB62_16:
	s_or_b32 exec_lo, exec_lo, s3
	s_ashr_i32 s15, s13, 31
	v_mov_b32_e32 v4, 0
	s_lshr_b32 s3, s15, 26
	s_waitcnt lgkmcnt(0)
	s_add_i32 s3, s13, s3
	s_barrier
	s_ashr_i32 s12, s3, 6
	s_cmp_lt_u32 s16, s29
	buffer_gl0_inv
	s_cselect_b32 s9, 12, 18
	ds_load_b32 v28, v4 offset:4224
	s_add_u32 s18, s18, s9
	s_addc_u32 s19, s19, 0
	s_abs_i32 s9, s12
	global_load_u16 v1, v4, s[18:19]
	v_cvt_f32_u32_e32 v2, s9
	s_sub_i32 s18, 0, s9
	s_ashr_i32 s3, s3, 31
	s_delay_alu instid0(VALU_DEP_1) | instskip(SKIP_2) | instid1(VALU_DEP_1)
	v_rcp_iflag_f32_e32 v2, v2
	s_waitcnt_depctr 0xfff
	v_mul_f32_e32 v2, 0x4f7ffffe, v2
	v_cvt_u32_f32_e32 v2, v2
	s_delay_alu instid0(VALU_DEP_1) | instskip(NEXT) | instid1(VALU_DEP_1)
	v_readfirstlane_b32 s13, v2
	s_mul_i32 s18, s18, s13
	s_delay_alu instid0(SALU_CYCLE_1) | instskip(NEXT) | instid1(SALU_CYCLE_1)
	s_mul_hi_u32 s18, s13, s18
	s_add_i32 s13, s13, s18
	s_waitcnt vmcnt(0)
	v_readfirstlane_b32 s28, v1
	s_delay_alu instid0(VALU_DEP_1) | instskip(NEXT) | instid1(SALU_CYCLE_1)
	s_mul_hi_u32 s13, s28, s13
	s_mul_i32 s18, s13, s9
	s_add_i32 s19, s13, 1
	s_sub_i32 s18, s28, s18
	s_delay_alu instid0(SALU_CYCLE_1)
	s_sub_i32 s20, s18, s9
	s_cmp_ge_u32 s18, s9
	s_cselect_b32 s13, s19, s13
	s_cselect_b32 s18, s20, s18
	s_add_i32 s19, s13, 1
	s_cmp_ge_u32 s18, s9
	s_cselect_b32 s9, s19, s13
	s_delay_alu instid0(SALU_CYCLE_1) | instskip(NEXT) | instid1(SALU_CYCLE_1)
	s_xor_b32 s9, s9, s3
	s_sub_i32 s18, s9, s3
	s_delay_alu instid0(SALU_CYCLE_1) | instskip(SKIP_3) | instid1(VALU_DEP_1)
	s_abs_i32 s3, s18
	s_ashr_i32 s19, s18, 31
	v_cvt_f32_u32_e32 v1, s3
	s_sub_i32 s9, 0, s3
	v_rcp_iflag_f32_e32 v1, v1
	s_waitcnt_depctr 0xfff
	v_mul_f32_e32 v1, 0x4f7ffffe, v1
	s_delay_alu instid0(VALU_DEP_1) | instskip(NEXT) | instid1(VALU_DEP_1)
	v_cvt_u32_f32_e32 v1, v1
	v_mul_lo_u32 v2, s9, v1
	s_ashr_i32 s9, s8, 31
	s_delay_alu instid0(VALU_DEP_1) | instskip(NEXT) | instid1(VALU_DEP_1)
	v_mul_hi_u32 v2, v1, v2
	v_add_nc_u32_e32 v1, v1, v2
	s_delay_alu instid0(VALU_DEP_1) | instskip(NEXT) | instid1(VALU_DEP_1)
	v_mul_hi_u32 v1, v0, v1
	v_mul_lo_u32 v2, v1, s3
	v_add_nc_u32_e32 v3, 1, v1
	s_delay_alu instid0(VALU_DEP_2) | instskip(NEXT) | instid1(VALU_DEP_1)
	v_sub_nc_u32_e32 v2, v0, v2
	v_subrev_nc_u32_e32 v5, s3, v2
	v_cmp_le_u32_e32 vcc_lo, s3, v2
	s_delay_alu instid0(VALU_DEP_2) | instskip(NEXT) | instid1(VALU_DEP_1)
	v_dual_cndmask_b32 v2, v2, v5 :: v_dual_cndmask_b32 v1, v1, v3
	v_cmp_le_u32_e32 vcc_lo, s3, v2
	s_delay_alu instid0(VALU_DEP_2) | instskip(NEXT) | instid1(VALU_DEP_1)
	v_add_nc_u32_e32 v3, 1, v1
	v_cndmask_b32_e32 v1, v1, v3, vcc_lo
	s_delay_alu instid0(VALU_DEP_1) | instskip(NEXT) | instid1(VALU_DEP_1)
	v_xor_b32_e32 v1, s19, v1
	v_subrev_nc_u32_e32 v1, s19, v1
	s_delay_alu instid0(VALU_DEP_1) | instskip(SKIP_1) | instid1(VALU_DEP_2)
	v_ashrrev_i32_e32 v2, 31, v1
	v_mul_lo_u32 v3, v1, s18
	v_lshlrev_b64 v[7:8], 4, v[1:2]
	s_delay_alu instid0(VALU_DEP_2) | instskip(NEXT) | instid1(VALU_DEP_2)
	v_sub_nc_u32_e32 v3, v0, v3
	v_add_co_u32 v5, vcc_lo, v7, 16
	s_delay_alu instid0(VALU_DEP_3) | instskip(NEXT) | instid1(VALU_DEP_1)
	v_add_co_ci_u32_e32 v6, vcc_lo, 0, v8, vcc_lo
	v_cmp_gt_i64_e32 vcc_lo, s[8:9], v[5:6]
	v_cndmask_b32_e32 v6, s9, v6, vcc_lo
	v_cndmask_b32_e32 v5, s8, v5, vcc_lo
	v_add_co_u32 v7, vcc_lo, v7, v3
	v_add_co_ci_u32_e32 v8, vcc_lo, 0, v8, vcc_lo
	s_delay_alu instid0(VALU_DEP_3) | instskip(SKIP_2) | instid1(VALU_DEP_1)
	v_ashrrev_i32_e32 v10, 31, v5
	v_mov_b32_e32 v9, v5
	s_mov_b32 s9, exec_lo
	v_cmpx_lt_i64_e64 v[7:8], v[9:10]
	s_cbranch_execz .LBB62_26
; %bb.17:
	v_lshlrev_b64 v[11:12], 7, v[1:2]
	v_lshlrev_b64 v[13:14], 3, v[3:4]
	v_mov_b32_e32 v4, 0
	s_lshl_b64 s[20:21], s[18:19], 5
	s_mul_hi_i32 s13, s18, 3
	s_mul_i32 s30, s18, 3
	s_lshl_b64 s[22:23], s[18:19], 1
	v_add_co_u32 v19, vcc_lo, v11, v13
	v_add_co_ci_u32_e32 v20, vcc_lo, v12, v14, vcc_lo
	v_dual_mov_b32 v12, v8 :: v_dual_mov_b32 v11, v7
	s_lshl_b64 s[24:25], s[18:19], 3
	s_mov_b32 s31, 0
                                        ; implicit-def: $sgpr33
	s_branch .LBB62_21
.LBB62_18:                              ;   in Loop: Header=BB62_21 Depth=1
	s_or_b32 exec_lo, exec_lo, s36
	s_delay_alu instid0(SALU_CYCLE_1)
	s_or_not1_b32 s3, s3, exec_lo
.LBB62_19:                              ;   in Loop: Header=BB62_21 Depth=1
	s_or_b32 exec_lo, exec_lo, s35
	s_delay_alu instid0(SALU_CYCLE_1) | instskip(SKIP_1) | instid1(SALU_CYCLE_1)
	s_and_not1_b32 s33, s33, exec_lo
	s_and_b32 s3, s3, exec_lo
	s_or_b32 s33, s33, s3
.LBB62_20:                              ;   in Loop: Header=BB62_21 Depth=1
	s_or_b32 exec_lo, exec_lo, s34
	s_delay_alu instid0(SALU_CYCLE_1) | instskip(NEXT) | instid1(SALU_CYCLE_1)
	s_and_b32 s3, exec_lo, s33
	s_or_b32 s31, s3, s31
	s_delay_alu instid0(SALU_CYCLE_1)
	s_and_not1_b32 exec_lo, exec_lo, s31
	s_cbranch_execz .LBB62_25
.LBB62_21:                              ; =>This Inner Loop Header: Depth=1
	v_add_co_u32 v17, vcc_lo, s10, v19
	v_add_co_ci_u32_e32 v18, vcc_lo, s11, v20, vcc_lo
	v_add_co_u32 v15, vcc_lo, s26, v19
	v_add_co_ci_u32_e32 v16, vcc_lo, s27, v20, vcc_lo
	s_or_b32 s33, s33, exec_lo
	global_load_b64 v[13:14], v[17:18], off
	global_load_b64 v[21:22], v[15:16], off
	s_mov_b32 s34, exec_lo
	s_waitcnt vmcnt(1)
	v_lshrrev_b32_e32 v23, 16, v13
	s_waitcnt vmcnt(0) lgkmcnt(0)
	v_fma_mixlo_f16 v24, v28, v21, 0 op_sel_hi:[0,1,0]
	v_fma_mixlo_f16 v21, v28, v21, 0 op_sel:[0,1,0] op_sel_hi:[0,1,0]
	v_lshrrev_b32_e32 v25, 16, v14
	v_fma_mixlo_f16 v26, v28, v22, 0 op_sel_hi:[0,1,0]
	v_fma_mixlo_f16 v22, v28, v22, 0 op_sel:[0,1,0] op_sel_hi:[0,1,0]
	v_mul_f16_e32 v13, v13, v24
	v_mul_f16_e32 v21, v23, v21
	s_delay_alu instid0(VALU_DEP_4) | instskip(NEXT) | instid1(VALU_DEP_4)
	v_mul_f16_e32 v23, v14, v26
	v_mul_f16_e32 v22, v25, v22
	s_delay_alu instid0(VALU_DEP_4) | instskip(NEXT) | instid1(VALU_DEP_4)
	v_cvt_f32_f16_e64 v24, |v13|
	v_cvt_f32_f16_e64 v21, |v21|
	v_add_co_u32 v13, vcc_lo, v11, s18
	v_cvt_f32_f16_e64 v23, |v23|
	v_add_co_ci_u32_e32 v14, vcc_lo, s19, v12, vcc_lo
	s_delay_alu instid0(VALU_DEP_4) | instskip(SKIP_1) | instid1(VALU_DEP_1)
	v_max3_f32 v4, v4, v24, v21
	v_cvt_f32_f16_e64 v21, |v22|
	v_max3_f32 v4, v4, v23, v21
	s_delay_alu instid0(VALU_DEP_4)
	v_cmpx_lt_i64_e64 v[13:14], v[9:10]
	s_cbranch_execz .LBB62_20
; %bb.22:                               ;   in Loop: Header=BB62_21 Depth=1
	v_add_co_u32 v17, vcc_lo, v17, s24
	v_add_co_ci_u32_e32 v18, vcc_lo, s25, v18, vcc_lo
	v_add_co_u32 v15, vcc_lo, v15, s24
	v_add_co_ci_u32_e32 v16, vcc_lo, s25, v16, vcc_lo
	s_mov_b32 s3, -1
	global_load_b64 v[21:22], v[17:18], off
	global_load_b64 v[23:24], v[15:16], off
	s_mov_b32 s35, exec_lo
	s_waitcnt vmcnt(1)
	v_lshrrev_b32_e32 v25, 16, v21
	s_waitcnt vmcnt(0)
	v_fma_mixlo_f16 v26, v28, v23, 0 op_sel_hi:[0,1,0]
	v_fma_mixlo_f16 v23, v28, v23, 0 op_sel:[0,1,0] op_sel_hi:[0,1,0]
	v_lshrrev_b32_e32 v27, 16, v22
	v_fma_mixlo_f16 v29, v28, v24, 0 op_sel_hi:[0,1,0]
	v_fma_mixlo_f16 v24, v28, v24, 0 op_sel:[0,1,0] op_sel_hi:[0,1,0]
	v_mul_f16_e32 v21, v21, v26
	v_mul_f16_e32 v23, v25, v23
	s_delay_alu instid0(VALU_DEP_4) | instskip(NEXT) | instid1(VALU_DEP_4)
	v_mul_f16_e32 v25, v22, v29
	v_mul_f16_e32 v24, v27, v24
	s_delay_alu instid0(VALU_DEP_4) | instskip(NEXT) | instid1(VALU_DEP_4)
	v_cvt_f32_f16_e64 v26, |v21|
	v_cvt_f32_f16_e64 v23, |v23|
	v_add_co_u32 v21, vcc_lo, s22, v11
	v_cvt_f32_f16_e64 v25, |v25|
	v_add_co_ci_u32_e32 v22, vcc_lo, s23, v12, vcc_lo
	s_delay_alu instid0(VALU_DEP_4) | instskip(SKIP_1) | instid1(VALU_DEP_1)
	v_max3_f32 v4, v4, v26, v23
	v_cvt_f32_f16_e64 v23, |v24|
	v_max3_f32 v4, v4, v25, v23
	s_delay_alu instid0(VALU_DEP_4)
	v_cmpx_lt_i64_e64 v[21:22], v[9:10]
	s_cbranch_execz .LBB62_19
; %bb.23:                               ;   in Loop: Header=BB62_21 Depth=1
	v_add_co_u32 v17, vcc_lo, v17, s24
	v_add_co_ci_u32_e32 v18, vcc_lo, s25, v18, vcc_lo
	v_add_co_u32 v15, vcc_lo, v15, s24
	v_add_co_ci_u32_e32 v16, vcc_lo, s25, v16, vcc_lo
	v_add_co_u32 v11, vcc_lo, s30, v11
	global_load_b64 v[21:22], v[17:18], off
	global_load_b64 v[23:24], v[15:16], off
	v_add_co_ci_u32_e32 v12, vcc_lo, s13, v12, vcc_lo
	s_delay_alu instid0(VALU_DEP_1)
	v_cmp_lt_i64_e32 vcc_lo, v[11:12], v[9:10]
                                        ; implicit-def: $vgpr11_vgpr12
	s_waitcnt vmcnt(1)
	v_lshrrev_b32_e32 v25, 16, v21
	s_waitcnt vmcnt(0)
	v_fma_mixlo_f16 v26, v28, v23, 0 op_sel_hi:[0,1,0]
	v_fma_mixlo_f16 v23, v28, v23, 0 op_sel:[0,1,0] op_sel_hi:[0,1,0]
	v_lshrrev_b32_e32 v27, 16, v22
	v_fma_mixlo_f16 v29, v28, v24, 0 op_sel_hi:[0,1,0]
	v_fma_mixlo_f16 v24, v28, v24, 0 op_sel:[0,1,0] op_sel_hi:[0,1,0]
	v_mul_f16_e32 v21, v21, v26
	v_mul_f16_e32 v23, v25, v23
	s_delay_alu instid0(VALU_DEP_4) | instskip(NEXT) | instid1(VALU_DEP_4)
	v_mul_f16_e32 v22, v22, v29
	v_mul_f16_e32 v24, v27, v24
	s_delay_alu instid0(VALU_DEP_4) | instskip(NEXT) | instid1(VALU_DEP_4)
	v_cvt_f32_f16_e64 v21, |v21|
	v_cvt_f32_f16_e64 v23, |v23|
	s_delay_alu instid0(VALU_DEP_4) | instskip(NEXT) | instid1(VALU_DEP_2)
	v_cvt_f32_f16_e64 v22, |v22|
	v_max3_f32 v4, v4, v21, v23
	v_cvt_f32_f16_e64 v21, |v24|
	s_delay_alu instid0(VALU_DEP_1) | instskip(SKIP_1) | instid1(SALU_CYCLE_1)
	v_max3_f32 v4, v4, v22, v21
	s_and_saveexec_b32 s36, vcc_lo
	s_xor_b32 s36, exec_lo, s36
	s_cbranch_execz .LBB62_18
; %bb.24:                               ;   in Loop: Header=BB62_21 Depth=1
	v_add_co_u32 v11, vcc_lo, v17, s24
	v_add_co_ci_u32_e32 v12, vcc_lo, s25, v18, vcc_lo
	v_add_co_u32 v15, vcc_lo, v15, s24
	v_add_co_ci_u32_e32 v16, vcc_lo, s25, v16, vcc_lo
	s_add_u32 s3, s18, s18
	global_load_b64 v[11:12], v[11:12], off
	global_load_b64 v[15:16], v[15:16], off
	s_addc_u32 s37, s19, s19
	s_add_u32 s3, s3, s18
	s_addc_u32 s37, s37, s19
	s_waitcnt vmcnt(1)
	v_lshrrev_b32_e32 v17, 16, v11
	s_waitcnt vmcnt(0)
	v_fma_mixlo_f16 v18, v28, v15, 0 op_sel_hi:[0,1,0]
	v_fma_mixlo_f16 v15, v28, v15, 0 op_sel:[0,1,0] op_sel_hi:[0,1,0]
	v_lshrrev_b32_e32 v21, 16, v12
	v_fma_mixlo_f16 v22, v28, v16, 0 op_sel_hi:[0,1,0]
	v_fma_mixlo_f16 v16, v28, v16, 0 op_sel:[0,1,0] op_sel_hi:[0,1,0]
	v_mul_f16_e32 v11, v11, v18
	v_mul_f16_e32 v15, v17, v15
	s_delay_alu instid0(VALU_DEP_4) | instskip(NEXT) | instid1(VALU_DEP_4)
	v_mul_f16_e32 v17, v12, v22
	v_mul_f16_e32 v16, v21, v16
	s_delay_alu instid0(VALU_DEP_4) | instskip(NEXT) | instid1(VALU_DEP_4)
	v_cvt_f32_f16_e64 v18, |v11|
	v_cvt_f32_f16_e64 v15, |v15|
	v_add_co_u32 v11, vcc_lo, s3, v13
	v_add_co_ci_u32_e32 v12, vcc_lo, s37, v14, vcc_lo
	v_cvt_f32_f16_e64 v13, |v17|
	v_cvt_f32_f16_e64 v14, |v16|
	v_max3_f32 v4, v4, v18, v15
	s_delay_alu instid0(VALU_DEP_4) | instskip(SKIP_1) | instid1(VALU_DEP_1)
	v_cmp_ge_i64_e32 vcc_lo, v[11:12], v[9:10]
	v_add_co_u32 v19, s3, v19, s20
	v_add_co_ci_u32_e64 v20, s3, s21, v20, s3
	s_delay_alu instid0(VALU_DEP_4)
	v_max3_f32 v4, v4, v13, v14
	s_or_not1_b32 s3, vcc_lo, exec_lo
	s_branch .LBB62_18
.LBB62_25:
	s_or_b32 exec_lo, exec_lo, s31
.LBB62_26:
	s_delay_alu instid0(SALU_CYCLE_1)
	s_or_b32 exec_lo, exec_lo, s9
	s_lshr_b32 s9, s28, 5
	v_lshlrev_b32_e32 v29, 2, v0
	v_cvt_f32_u32_e32 v9, s9
	s_sub_i32 s13, 0, s9
	s_add_i32 s20, s12, s9
	s_delay_alu instid0(SALU_CYCLE_1) | instskip(NEXT) | instid1(VALU_DEP_1)
	s_add_i32 s20, s20, -1
	v_rcp_iflag_f32_e32 v9, v9
	s_abs_i32 s21, s20
	s_ashr_i32 s20, s20, 31
	ds_store_b32 v29, v4
	s_waitcnt lgkmcnt(0)
	s_barrier
	buffer_gl0_inv
	v_mul_f32_e32 v9, 0x4f7ffffe, v9
	s_delay_alu instid0(VALU_DEP_1) | instskip(NEXT) | instid1(VALU_DEP_1)
	v_cvt_u32_f32_e32 v9, v9
	v_readfirstlane_b32 s3, v9
	s_delay_alu instid0(VALU_DEP_1) | instskip(NEXT) | instid1(SALU_CYCLE_1)
	s_mul_i32 s13, s13, s3
	s_mul_hi_u32 s13, s3, s13
	s_delay_alu instid0(SALU_CYCLE_1) | instskip(NEXT) | instid1(SALU_CYCLE_1)
	s_add_i32 s3, s3, s13
	s_mul_hi_u32 s3, s21, s3
	s_delay_alu instid0(SALU_CYCLE_1) | instskip(NEXT) | instid1(SALU_CYCLE_1)
	s_mul_i32 s13, s3, s9
	s_sub_i32 s13, s21, s13
	s_add_i32 s21, s3, 1
	s_sub_i32 s22, s13, s9
	s_cmp_ge_u32 s13, s9
	s_cselect_b32 s3, s21, s3
	s_cselect_b32 s13, s22, s13
	s_add_i32 s21, s3, 1
	s_cmp_ge_u32 s13, s9
	s_cselect_b32 s3, s21, s3
	s_delay_alu instid0(SALU_CYCLE_1) | instskip(NEXT) | instid1(SALU_CYCLE_1)
	s_xor_b32 s3, s3, s20
	s_sub_i32 s20, s3, s20
	s_delay_alu instid0(SALU_CYCLE_1) | instskip(NEXT) | instid1(SALU_CYCLE_1)
	s_ashr_i32 s21, s20, 31
	v_cmp_lt_i64_e64 s3, s[20:21], 1
	s_delay_alu instid0(VALU_DEP_1)
	s_and_b32 vcc_lo, exec_lo, s3
	s_cbranch_vccnz .LBB62_46
; %bb.27:
	v_lshrrev_b32_e32 v9, 5, v0
	v_and_b32_e32 v4, 31, v0
	s_ashr_i32 s13, s12, 31
	s_mov_b64 s[22:23], 0
	s_mov_b64 s[24:25], src_shared_base
	v_mul_lo_u32 v19, s18, v9
	v_add_co_u32 v11, s3, v4, 16
	s_delay_alu instid0(VALU_DEP_1) | instskip(SKIP_1) | instid1(VALU_DEP_1)
	v_add_co_ci_u32_e64 v12, null, 0, 0, s3
	v_add_co_u32 v13, s3, v4, 8
	v_add_co_ci_u32_e64 v14, null, 0, 0, s3
	v_add_co_u32 v15, s3, v4, 4
	v_dual_mov_b32 v10, 0 :: v_dual_lshlrev_b32 v21, 2, v19
	v_lshlrev_b32_e32 v22, 2, v4
	v_add_co_ci_u32_e64 v16, null, 0, 0, s3
	v_add_co_u32 v17, s3, v4, 2
	s_delay_alu instid0(VALU_DEP_1) | instskip(SKIP_1) | instid1(VALU_DEP_1)
	v_add_co_ci_u32_e64 v18, null, 0, 0, s3
	v_add_co_u32 v19, s3, v4, 1
	v_add_co_ci_u32_e64 v20, null, 0, 0, s3
	v_add3_u32 v30, v21, v22, 0x80
	s_mul_i32 s3, s18, s9
	s_delay_alu instid0(SALU_CYCLE_1)
	s_lshl_b32 s30, s3, 2
	s_branch .LBB62_30
.LBB62_28:                              ;   in Loop: Header=BB62_30 Depth=1
	s_or_b32 exec_lo, exec_lo, s3
	v_mov_b32_e32 v22, s25
	flat_load_b32 v21, v[21:22] glc dlc
	s_waitcnt vmcnt(0)
.LBB62_29:                              ;   in Loop: Header=BB62_30 Depth=1
	s_or_b32 exec_lo, exec_lo, s24
	s_add_u32 s22, s22, 1
	v_add_nc_u32_e32 v30, s30, v30
	s_addc_u32 s23, s23, 0
	s_delay_alu instid0(SALU_CYCLE_1)
	s_cmp_eq_u64 s[22:23], s[20:21]
	s_cbranch_scc1 .LBB62_46
.LBB62_30:                              ; =>This Loop Header: Depth=1
                                        ;     Child Loop BB62_33 Depth 2
	s_waitcnt lgkmcnt(0)
	v_mad_u64_u32 v[21:22], null, s22, s9, v[9:10]
	s_mov_b32 s24, exec_lo
	s_delay_alu instid0(VALU_DEP_1) | instskip(NEXT) | instid1(VALU_DEP_1)
	v_mad_u64_u32 v[23:24], null, s23, s9, v[22:23]
	v_mov_b32_e32 v22, v23
	s_delay_alu instid0(VALU_DEP_1)
	v_cmpx_gt_i64_e64 s[12:13], v[21:22]
	s_cbranch_execz .LBB62_29
; %bb.31:                               ;   in Loop: Header=BB62_30 Depth=1
	v_mul_lo_u32 v24, v22, s18
	v_mul_lo_u32 v25, v21, s19
	v_mad_u64_u32 v[22:23], null, v21, s18, 0
	s_delay_alu instid0(VALU_DEP_1) | instskip(NEXT) | instid1(VALU_DEP_2)
	v_add3_u32 v23, v23, v25, v24
	v_add_co_u32 v24, vcc_lo, v22, s18
	v_add_co_u32 v31, s3, v22, v4
	s_delay_alu instid0(VALU_DEP_3) | instskip(SKIP_2) | instid1(VALU_DEP_2)
	v_add_co_ci_u32_e32 v25, vcc_lo, s19, v23, vcc_lo
	v_add_co_ci_u32_e64 v21, s3, 0, v23, s3
	s_mov_b32 s3, exec_lo
	v_cmp_gt_i64_e32 vcc_lo, s[14:15], v[24:25]
	v_cndmask_b32_e32 v25, s15, v25, vcc_lo
	v_cndmask_b32_e32 v24, s14, v24, vcc_lo
	v_add_co_u32 v26, vcc_lo, v31, 32
	v_add_co_ci_u32_e32 v27, vcc_lo, 0, v21, vcc_lo
	v_lshlrev_b32_e32 v21, 2, v31
	s_delay_alu instid0(VALU_DEP_2)
	v_cmpx_lt_i64_e64 v[26:27], v[24:25]
	s_cbranch_execz .LBB62_34
; %bb.32:                               ;   in Loop: Header=BB62_30 Depth=1
	ds_load_b32 v33, v21
	v_mov_b32_e32 v32, v30
	s_mov_b32 s31, 0
.LBB62_33:                              ;   Parent Loop BB62_30 Depth=1
                                        ; =>  This Inner Loop Header: Depth=2
	ds_load_b32 v34, v32
	v_add_co_u32 v26, vcc_lo, v26, 32
	v_add_co_ci_u32_e32 v27, vcc_lo, 0, v27, vcc_lo
	s_waitcnt lgkmcnt(1)
	v_dual_max_f32 v33, v33, v33 :: v_dual_add_nc_u32 v32, 0x80, v32
	s_delay_alu instid0(VALU_DEP_2) | instskip(SKIP_3) | instid1(VALU_DEP_1)
	v_cmp_ge_i64_e32 vcc_lo, v[26:27], v[24:25]
	s_or_b32 s31, vcc_lo, s31
	s_waitcnt lgkmcnt(0)
	v_max_f32_e32 v34, v34, v34
	v_max_f32_e32 v33, v33, v34
	ds_store_b32 v21, v33
	s_and_not1_b32 exec_lo, exec_lo, s31
	s_cbranch_execnz .LBB62_33
.LBB62_34:                              ;   in Loop: Header=BB62_30 Depth=1
	s_or_b32 exec_lo, exec_lo, s3
	v_sub_co_u32 v22, vcc_lo, v24, v22
	v_sub_co_ci_u32_e32 v23, vcc_lo, v25, v23, vcc_lo
	s_mov_b32 s3, exec_lo
	s_delay_alu instid0(VALU_DEP_1) | instskip(SKIP_1) | instid1(VALU_DEP_1)
	v_cmp_gt_i64_e32 vcc_lo, 32, v[22:23]
	v_dual_cndmask_b32 v24, 0, v23 :: v_dual_cndmask_b32 v23, 32, v22
	v_cmpx_lt_i64_e64 v[11:12], v[23:24]
	s_cbranch_execz .LBB62_36
; %bb.35:                               ;   in Loop: Header=BB62_30 Depth=1
	v_dual_mov_b32 v22, s25 :: v_dual_add_nc_u32 v25, 64, v21
	v_mov_b32_e32 v26, s25
	flat_load_b32 v27, v[21:22] glc dlc
	s_waitcnt vmcnt(0)
	flat_load_b32 v25, v[25:26] glc dlc
	s_waitcnt vmcnt(0) lgkmcnt(0)
	v_dual_max_f32 v26, v27, v27 :: v_dual_max_f32 v25, v25, v25
	s_delay_alu instid0(VALU_DEP_1)
	v_max_f32_e32 v25, v26, v25
	flat_store_b32 v[21:22], v25 dlc
	s_waitcnt_vscnt null, 0x0
.LBB62_36:                              ;   in Loop: Header=BB62_30 Depth=1
	s_or_b32 exec_lo, exec_lo, s3
	s_delay_alu instid0(SALU_CYCLE_1)
	s_mov_b32 s3, exec_lo
	v_cmpx_lt_i64_e64 v[13:14], v[23:24]
	s_cbranch_execz .LBB62_38
; %bb.37:                               ;   in Loop: Header=BB62_30 Depth=1
	v_dual_mov_b32 v22, s25 :: v_dual_add_nc_u32 v25, 32, v21
	v_mov_b32_e32 v26, s25
	flat_load_b32 v27, v[21:22] glc dlc
	s_waitcnt vmcnt(0)
	flat_load_b32 v25, v[25:26] glc dlc
	s_waitcnt vmcnt(0) lgkmcnt(0)
	v_dual_max_f32 v26, v27, v27 :: v_dual_max_f32 v25, v25, v25
	s_delay_alu instid0(VALU_DEP_1)
	v_max_f32_e32 v25, v26, v25
	flat_store_b32 v[21:22], v25 dlc
	s_waitcnt_vscnt null, 0x0
.LBB62_38:                              ;   in Loop: Header=BB62_30 Depth=1
	s_or_b32 exec_lo, exec_lo, s3
	s_delay_alu instid0(SALU_CYCLE_1)
	s_mov_b32 s3, exec_lo
	v_cmpx_ge_i64_e64 v[15:16], v[23:24]
	s_xor_b32 s3, exec_lo, s3
; %bb.39:                               ;   in Loop: Header=BB62_30 Depth=1
                                        ; implicit-def: $vgpr21
; %bb.40:                               ;   in Loop: Header=BB62_30 Depth=1
	s_delay_alu instid0(SALU_CYCLE_1)
	s_and_not1_saveexec_b32 s3, s3
	s_cbranch_execz .LBB62_42
; %bb.41:                               ;   in Loop: Header=BB62_30 Depth=1
	v_dual_mov_b32 v22, s25 :: v_dual_add_nc_u32 v25, 16, v21
	v_mov_b32_e32 v26, s25
	flat_load_b32 v27, v[21:22] glc dlc
	s_waitcnt vmcnt(0)
	flat_load_b32 v25, v[25:26] glc dlc
	s_waitcnt vmcnt(0) lgkmcnt(0)
	v_dual_max_f32 v26, v27, v27 :: v_dual_max_f32 v25, v25, v25
	s_delay_alu instid0(VALU_DEP_1)
	v_max_f32_e32 v25, v26, v25
	flat_store_b32 v[21:22], v25 dlc
	s_waitcnt_vscnt null, 0x0
.LBB62_42:                              ;   in Loop: Header=BB62_30 Depth=1
	s_or_b32 exec_lo, exec_lo, s3
	v_lshlrev_b32_e32 v21, 2, v31
	s_mov_b32 s3, exec_lo
	v_cmpx_lt_i64_e64 v[17:18], v[23:24]
	s_cbranch_execz .LBB62_44
; %bb.43:                               ;   in Loop: Header=BB62_30 Depth=1
	s_delay_alu instid0(VALU_DEP_2)
	v_dual_mov_b32 v22, s25 :: v_dual_add_nc_u32 v25, 8, v21
	v_mov_b32_e32 v26, s25
	flat_load_b32 v27, v[21:22] glc dlc
	s_waitcnt vmcnt(0)
	flat_load_b32 v25, v[25:26] glc dlc
	s_waitcnt vmcnt(0) lgkmcnt(0)
	v_dual_max_f32 v26, v27, v27 :: v_dual_max_f32 v25, v25, v25
	s_delay_alu instid0(VALU_DEP_1)
	v_max_f32_e32 v25, v26, v25
	flat_store_b32 v[21:22], v25 dlc
	s_waitcnt_vscnt null, 0x0
.LBB62_44:                              ;   in Loop: Header=BB62_30 Depth=1
	s_or_b32 exec_lo, exec_lo, s3
	s_delay_alu instid0(SALU_CYCLE_1)
	s_mov_b32 s3, exec_lo
	v_cmpx_lt_i64_e64 v[19:20], v[23:24]
	s_cbranch_execz .LBB62_28
; %bb.45:                               ;   in Loop: Header=BB62_30 Depth=1
	v_dual_mov_b32 v22, s25 :: v_dual_add_nc_u32 v23, 4, v21
	v_mov_b32_e32 v24, s25
	flat_load_b32 v25, v[21:22] glc dlc
	s_waitcnt vmcnt(0)
	flat_load_b32 v23, v[23:24] glc dlc
	s_waitcnt vmcnt(0) lgkmcnt(0)
	v_dual_max_f32 v24, v25, v25 :: v_dual_max_f32 v23, v23, v23
	s_delay_alu instid0(VALU_DEP_1)
	v_max_f32_e32 v23, v24, v23
	flat_store_b32 v[21:22], v23 dlc
	s_waitcnt_vscnt null, 0x0
	s_branch .LBB62_28
.LBB62_46:
	s_load_b64 s[12:13], s[0:1], 0x40
	v_cmp_lt_i64_e32 vcc_lo, v[7:8], v[5:6]
	v_cmp_eq_u32_e64 s3, 0, v3
	s_waitcnt lgkmcnt(0)
	s_barrier
	buffer_gl0_inv
	s_and_b32 s9, s3, vcc_lo
	s_delay_alu instid0(SALU_CYCLE_1)
	s_and_saveexec_b32 s3, s9
	s_cbranch_execz .LBB62_53
; %bb.47:
	s_load_b64 s[0:1], s[0:1], 0x20
	ds_load_b32 v5, v29
	s_waitcnt lgkmcnt(0)
	s_cmp_eq_u64 s[0:1], 0
	s_cbranch_scc1 .LBB62_49
; %bb.48:
	s_load_b32 s0, s[0:1], 0x0
	v_max_f32_e32 v3, v5, v5
	s_waitcnt lgkmcnt(0)
	v_max_f32_e64 v4, s0, s0
	s_delay_alu instid0(VALU_DEP_1)
	v_min_f32_e32 v5, v3, v4
.LBB62_49:
	s_add_u32 s0, s12, s29
	s_addc_u32 s1, s13, 0
	s_add_u32 s18, s0, -1
	s_addc_u32 s19, s1, -1
	s_delay_alu instid0(SALU_CYCLE_1) | instskip(SKIP_1) | instid1(SALU_CYCLE_1)
	s_or_b64 s[20:21], s[18:19], s[12:13]
	s_mov_b32 s20, 0
	s_cmp_lg_u64 s[20:21], 0
	s_cbranch_scc0 .LBB62_66
; %bb.50:
	s_ashr_i32 s0, s13, 31
	s_delay_alu instid0(SALU_CYCLE_1) | instskip(SKIP_2) | instid1(SALU_CYCLE_1)
	s_add_u32 s22, s12, s0
	s_mov_b32 s1, s0
	s_addc_u32 s23, s13, s0
	s_xor_b64 s[0:1], s[22:23], s[0:1]
	s_delay_alu instid0(SALU_CYCLE_1) | instskip(SKIP_3) | instid1(VALU_DEP_1)
	v_cvt_f32_u32_e32 v3, s0
	v_cvt_f32_u32_e32 v4, s1
	s_sub_u32 s22, 0, s0
	s_subb_u32 s23, 0, s1
	v_fmamk_f32 v3, v4, 0x4f800000, v3
	s_delay_alu instid0(VALU_DEP_1) | instskip(SKIP_2) | instid1(VALU_DEP_1)
	v_rcp_f32_e32 v3, v3
	s_waitcnt_depctr 0xfff
	v_mul_f32_e32 v3, 0x5f7ffffc, v3
	v_mul_f32_e32 v4, 0x2f800000, v3
	s_delay_alu instid0(VALU_DEP_1) | instskip(NEXT) | instid1(VALU_DEP_1)
	v_trunc_f32_e32 v4, v4
	v_fmamk_f32 v3, v4, 0xcf800000, v3
	v_cvt_u32_f32_e32 v4, v4
	s_delay_alu instid0(VALU_DEP_2) | instskip(NEXT) | instid1(VALU_DEP_2)
	v_cvt_u32_f32_e32 v3, v3
	v_readfirstlane_b32 s9, v4
	s_delay_alu instid0(VALU_DEP_2) | instskip(NEXT) | instid1(VALU_DEP_2)
	v_readfirstlane_b32 s21, v3
	s_mul_i32 s24, s22, s9
	s_delay_alu instid0(VALU_DEP_1)
	s_mul_hi_u32 s30, s22, s21
	s_mul_i32 s25, s23, s21
	s_add_i32 s24, s30, s24
	s_mul_i32 s31, s22, s21
	s_add_i32 s24, s24, s25
	s_mul_hi_u32 s30, s21, s31
	s_mul_hi_u32 s33, s9, s31
	s_mul_i32 s25, s9, s31
	s_mul_hi_u32 s31, s21, s24
	s_mul_i32 s21, s21, s24
	s_mul_hi_u32 s34, s9, s24
	s_add_u32 s21, s30, s21
	s_addc_u32 s30, 0, s31
	s_add_u32 s21, s21, s25
	s_mul_i32 s24, s9, s24
	s_addc_u32 s21, s30, s33
	s_addc_u32 s25, s34, 0
	s_add_u32 s21, s21, s24
	s_addc_u32 s24, 0, s25
	v_add_co_u32 v3, s21, v3, s21
	s_delay_alu instid0(VALU_DEP_1) | instskip(SKIP_1) | instid1(VALU_DEP_1)
	s_cmp_lg_u32 s21, 0
	s_addc_u32 s9, s9, s24
	v_readfirstlane_b32 s21, v3
	s_mul_i32 s24, s22, s9
	s_delay_alu instid0(VALU_DEP_1)
	s_mul_hi_u32 s25, s22, s21
	s_mul_i32 s23, s23, s21
	s_add_i32 s24, s25, s24
	s_mul_i32 s22, s22, s21
	s_add_i32 s24, s24, s23
	s_mul_hi_u32 s25, s9, s22
	s_mul_i32 s30, s9, s22
	s_mul_hi_u32 s22, s21, s22
	s_mul_hi_u32 s31, s21, s24
	s_mul_i32 s21, s21, s24
	s_mul_hi_u32 s23, s9, s24
	s_add_u32 s21, s22, s21
	s_addc_u32 s22, 0, s31
	s_add_u32 s21, s21, s30
	s_mul_i32 s24, s9, s24
	s_addc_u32 s21, s22, s25
	s_addc_u32 s22, s23, 0
	s_add_u32 s21, s21, s24
	s_addc_u32 s22, 0, s22
	v_add_co_u32 v3, s21, v3, s21
	s_delay_alu instid0(VALU_DEP_1) | instskip(SKIP_2) | instid1(VALU_DEP_1)
	s_cmp_lg_u32 s21, 0
	s_addc_u32 s9, s9, s22
	s_ashr_i32 s22, s19, 31
	v_readfirstlane_b32 s21, v3
	s_add_u32 s24, s18, s22
	s_mov_b32 s23, s22
	s_addc_u32 s25, s19, s22
	s_delay_alu instid0(SALU_CYCLE_1) | instskip(NEXT) | instid1(SALU_CYCLE_1)
	s_xor_b64 s[24:25], s[24:25], s[22:23]
	s_mul_i32 s30, s24, s9
	s_mul_hi_u32 s31, s24, s21
	s_mul_hi_u32 s23, s24, s9
	;; [unrolled: 1-line block ×3, first 2 shown]
	s_mul_i32 s21, s25, s21
	s_add_u32 s30, s31, s30
	s_addc_u32 s23, 0, s23
	s_mul_hi_u32 s33, s25, s9
	s_add_u32 s21, s30, s21
	s_mul_i32 s9, s25, s9
	s_addc_u32 s21, s23, s34
	s_addc_u32 s23, s33, 0
	s_add_u32 s9, s21, s9
	s_addc_u32 s21, 0, s23
	s_mul_hi_u32 s23, s0, s9
	s_mul_i32 s21, s0, s21
	s_mul_i32 s30, s1, s9
	;; [unrolled: 1-line block ×3, first 2 shown]
	s_add_i32 s21, s23, s21
	v_sub_co_u32 v3, s9, s24, s9
	s_add_i32 s21, s21, s30
	s_delay_alu instid0(SALU_CYCLE_1) | instskip(SKIP_1) | instid1(VALU_DEP_1)
	s_sub_i32 s23, s25, s21
	s_cmp_lg_u32 s9, 0
	v_sub_co_u32 v4, s24, v3, s0
	s_subb_u32 s23, s23, s1
	s_cmp_lg_u32 s24, 0
	s_subb_u32 s30, s23, 0
	s_delay_alu instid0(VALU_DEP_1)
	v_cmp_le_u32_e32 vcc_lo, s0, v4
	s_cmp_ge_u32 s30, s1
	s_cselect_b32 s31, -1, 0
	s_cmp_eq_u32 s30, s1
	v_cndmask_b32_e64 v6, 0, -1, vcc_lo
	s_cselect_b32 vcc_lo, -1, 0
	s_cmp_lg_u32 s24, 0
	v_sub_co_u32 v7, s24, v4, s0
	s_subb_u32 s23, s23, s1
	s_cmp_lg_u32 s24, 0
	v_cndmask_b32_e32 v6, s31, v6, vcc_lo
	s_subb_u32 s23, s23, 0
	s_cmp_lg_u32 s9, 0
	v_cmp_le_u32_e32 vcc_lo, s0, v3
	s_subb_u32 s9, s25, s21
	s_delay_alu instid0(SALU_CYCLE_1)
	s_cmp_ge_u32 s9, s1
	v_cndmask_b32_e64 v8, 0, -1, vcc_lo
	s_cselect_b32 s21, -1, 0
	s_cmp_eq_u32 s9, s1
	v_cmp_ne_u32_e32 vcc_lo, 0, v6
	v_mov_b32_e32 v6, s23
	s_cselect_b32 s0, -1, 0
	s_delay_alu instid0(SALU_CYCLE_1) | instskip(SKIP_1) | instid1(VALU_DEP_3)
	v_cndmask_b32_e64 v8, s21, v8, s0
	v_cndmask_b32_e32 v4, v4, v7, vcc_lo
	v_cndmask_b32_e32 v6, s30, v6, vcc_lo
	s_delay_alu instid0(VALU_DEP_3) | instskip(NEXT) | instid1(VALU_DEP_3)
	v_cmp_ne_u32_e32 vcc_lo, 0, v8
	v_cndmask_b32_e32 v3, v3, v4, vcc_lo
	s_delay_alu instid0(VALU_DEP_3) | instskip(NEXT) | instid1(VALU_DEP_2)
	v_cndmask_b32_e32 v6, s9, v6, vcc_lo
	v_xor_b32_e32 v3, s22, v3
	s_delay_alu instid0(VALU_DEP_2) | instskip(NEXT) | instid1(VALU_DEP_2)
	v_xor_b32_e32 v4, s22, v6
	v_sub_co_u32 v3, vcc_lo, v3, s22
	s_delay_alu instid0(VALU_DEP_2)
	v_subrev_co_ci_u32_e32 v4, vcc_lo, s22, v4, vcc_lo
	s_and_not1_b32 vcc_lo, exec_lo, s20
	s_cbranch_vccnz .LBB62_52
.LBB62_51:
	v_cvt_f32_u32_e32 v3, s12
	s_sub_i32 s0, 0, s12
	s_delay_alu instid0(VALU_DEP_1) | instskip(SKIP_2) | instid1(VALU_DEP_1)
	v_rcp_iflag_f32_e32 v3, v3
	s_waitcnt_depctr 0xfff
	v_mul_f32_e32 v3, 0x4f7ffffe, v3
	v_cvt_u32_f32_e32 v3, v3
	s_delay_alu instid0(VALU_DEP_1) | instskip(NEXT) | instid1(VALU_DEP_1)
	v_mul_lo_u32 v4, s0, v3
	v_mul_hi_u32 v4, v3, v4
	s_delay_alu instid0(VALU_DEP_1) | instskip(NEXT) | instid1(VALU_DEP_1)
	v_add_nc_u32_e32 v3, v3, v4
	v_mul_hi_u32 v3, s18, v3
	s_delay_alu instid0(VALU_DEP_1) | instskip(NEXT) | instid1(VALU_DEP_1)
	v_mul_lo_u32 v3, v3, s12
	v_sub_nc_u32_e32 v3, s18, v3
	s_delay_alu instid0(VALU_DEP_1) | instskip(SKIP_1) | instid1(VALU_DEP_2)
	v_subrev_nc_u32_e32 v4, s12, v3
	v_cmp_le_u32_e32 vcc_lo, s12, v3
	v_cndmask_b32_e32 v3, v3, v4, vcc_lo
	s_delay_alu instid0(VALU_DEP_1) | instskip(SKIP_1) | instid1(VALU_DEP_2)
	v_subrev_nc_u32_e32 v4, s12, v3
	v_cmp_le_u32_e32 vcc_lo, s12, v3
	v_dual_cndmask_b32 v3, v3, v4 :: v_dual_mov_b32 v4, 0
.LBB62_52:
	v_div_scale_f32 v6, null, 0x42fe0000, 0x42fe0000, v5
	v_div_scale_f32 v9, vcc_lo, v5, 0x42fe0000, v5
	s_delay_alu instid0(VALU_DEP_3) | instskip(NEXT) | instid1(VALU_DEP_3)
	v_sub_co_u32 v10, s0, s18, v3
	v_rcp_f32_e32 v7, v6
	v_sub_co_ci_u32_e64 v3, s0, s19, v4, s0
	s_lshl_b64 s[0:1], s[16:17], 2
	s_delay_alu instid0(SALU_CYCLE_1) | instskip(NEXT) | instid1(VALU_DEP_1)
	s_add_u32 s0, s0, s6
	v_mul_lo_u32 v11, v3, v1
	s_addc_u32 s1, s1, s7
	s_waitcnt_depctr 0xfff
	v_fma_f32 v8, -v6, v7, 1.0
	s_delay_alu instid0(VALU_DEP_1) | instskip(NEXT) | instid1(VALU_DEP_1)
	v_fmac_f32_e32 v7, v8, v7
	v_mul_f32_e32 v8, v9, v7
	s_delay_alu instid0(VALU_DEP_1) | instskip(NEXT) | instid1(VALU_DEP_1)
	v_fma_f32 v4, -v6, v8, v9
	v_fmac_f32_e32 v8, v4, v7
	v_mul_lo_u32 v4, v10, v2
	v_mad_u64_u32 v[2:3], null, v10, v1, 0
	s_delay_alu instid0(VALU_DEP_3) | instskip(NEXT) | instid1(VALU_DEP_2)
	v_fma_f32 v1, -v6, v8, v9
	v_add3_u32 v3, v3, v4, v11
	s_delay_alu instid0(VALU_DEP_2) | instskip(NEXT) | instid1(VALU_DEP_1)
	v_div_fmas_f32 v1, v1, v7, v8
	v_div_fixup_f32 v4, v1, 0x42fe0000, v5
	s_delay_alu instid0(VALU_DEP_3) | instskip(NEXT) | instid1(VALU_DEP_2)
	v_lshlrev_b64 v[1:2], 2, v[2:3]
	v_max_f32_e32 v3, 0x34000000, v4
	s_delay_alu instid0(VALU_DEP_2) | instskip(NEXT) | instid1(VALU_DEP_3)
	v_add_co_u32 v1, vcc_lo, s0, v1
	v_add_co_ci_u32_e32 v2, vcc_lo, s1, v2, vcc_lo
	global_store_b32 v[1:2], v3, off
.LBB62_53:
	s_or_b32 exec_lo, exec_lo, s3
	s_waitcnt_vscnt null, 0x0
	s_barrier
	buffer_gl0_inv
	s_and_saveexec_b32 s0, s2
	s_cbranch_execz .LBB62_65
; %bb.54:
	s_add_u32 s0, s12, s29
	s_addc_u32 s1, s13, 0
	s_add_u32 s2, s0, -1
	s_addc_u32 s3, s1, -1
	s_delay_alu instid0(SALU_CYCLE_1) | instskip(SKIP_1) | instid1(SALU_CYCLE_1)
	s_or_b64 s[18:19], s[2:3], s[12:13]
	s_mov_b32 s18, 0
	s_cmp_lg_u64 s[18:19], 0
	s_cbranch_scc0 .LBB62_67
; %bb.55:
	s_ashr_i32 s0, s13, 31
	s_delay_alu instid0(SALU_CYCLE_1) | instskip(SKIP_2) | instid1(SALU_CYCLE_1)
	s_add_u32 s20, s12, s0
	s_mov_b32 s1, s0
	s_addc_u32 s21, s13, s0
	s_xor_b64 s[0:1], s[20:21], s[0:1]
	s_delay_alu instid0(SALU_CYCLE_1) | instskip(SKIP_3) | instid1(VALU_DEP_1)
	v_cvt_f32_u32_e32 v1, s0
	v_cvt_f32_u32_e32 v2, s1
	s_sub_u32 s19, 0, s0
	s_subb_u32 s20, 0, s1
	v_fmamk_f32 v1, v2, 0x4f800000, v1
	s_delay_alu instid0(VALU_DEP_1) | instskip(SKIP_2) | instid1(VALU_DEP_1)
	v_rcp_f32_e32 v1, v1
	s_waitcnt_depctr 0xfff
	v_mul_f32_e32 v1, 0x5f7ffffc, v1
	v_mul_f32_e32 v2, 0x2f800000, v1
	s_delay_alu instid0(VALU_DEP_1) | instskip(NEXT) | instid1(VALU_DEP_1)
	v_trunc_f32_e32 v2, v2
	v_fmamk_f32 v1, v2, 0xcf800000, v1
	v_cvt_u32_f32_e32 v2, v2
	s_delay_alu instid0(VALU_DEP_2) | instskip(NEXT) | instid1(VALU_DEP_2)
	v_cvt_u32_f32_e32 v1, v1
	v_readfirstlane_b32 s9, v2
	s_delay_alu instid0(VALU_DEP_2) | instskip(NEXT) | instid1(VALU_DEP_2)
	v_readfirstlane_b32 s13, v1
	s_mul_i32 s21, s19, s9
	s_delay_alu instid0(VALU_DEP_1)
	s_mul_hi_u32 s23, s19, s13
	s_mul_i32 s22, s20, s13
	s_add_i32 s21, s23, s21
	s_mul_i32 s24, s19, s13
	s_add_i32 s21, s21, s22
	s_mul_hi_u32 s23, s13, s24
	s_mul_hi_u32 s25, s9, s24
	s_mul_i32 s22, s9, s24
	s_mul_hi_u32 s24, s13, s21
	s_mul_i32 s13, s13, s21
	s_mul_hi_u32 s29, s9, s21
	s_add_u32 s13, s23, s13
	s_addc_u32 s23, 0, s24
	s_add_u32 s13, s13, s22
	s_mul_i32 s21, s9, s21
	s_addc_u32 s13, s23, s25
	s_addc_u32 s22, s29, 0
	s_add_u32 s13, s13, s21
	s_addc_u32 s21, 0, s22
	v_add_co_u32 v1, s13, v1, s13
	s_delay_alu instid0(VALU_DEP_1) | instskip(SKIP_1) | instid1(VALU_DEP_1)
	s_cmp_lg_u32 s13, 0
	s_addc_u32 s9, s9, s21
	v_readfirstlane_b32 s13, v1
	s_mul_i32 s21, s19, s9
	s_delay_alu instid0(VALU_DEP_1)
	s_mul_hi_u32 s22, s19, s13
	s_mul_i32 s20, s20, s13
	s_add_i32 s21, s22, s21
	s_mul_i32 s19, s19, s13
	s_add_i32 s21, s21, s20
	s_mul_hi_u32 s22, s9, s19
	s_mul_i32 s23, s9, s19
	s_mul_hi_u32 s19, s13, s19
	s_mul_hi_u32 s24, s13, s21
	s_mul_i32 s13, s13, s21
	s_mul_hi_u32 s20, s9, s21
	s_add_u32 s13, s19, s13
	s_addc_u32 s19, 0, s24
	s_add_u32 s13, s13, s23
	s_mul_i32 s21, s9, s21
	s_addc_u32 s13, s19, s22
	s_addc_u32 s19, s20, 0
	s_add_u32 s13, s13, s21
	s_addc_u32 s19, 0, s19
	v_add_co_u32 v1, s13, v1, s13
	s_delay_alu instid0(VALU_DEP_1) | instskip(SKIP_2) | instid1(VALU_DEP_1)
	s_cmp_lg_u32 s13, 0
	s_addc_u32 s9, s9, s19
	s_ashr_i32 s20, s3, 31
	v_readfirstlane_b32 s13, v1
	s_add_u32 s22, s2, s20
	s_mov_b32 s21, s20
	s_addc_u32 s23, s3, s20
	s_delay_alu instid0(SALU_CYCLE_1) | instskip(NEXT) | instid1(SALU_CYCLE_1)
	s_xor_b64 s[22:23], s[22:23], s[20:21]
	s_mul_i32 s21, s22, s9
	s_mul_hi_u32 s24, s22, s13
	s_mul_hi_u32 s19, s22, s9
	;; [unrolled: 1-line block ×3, first 2 shown]
	s_mul_i32 s13, s23, s13
	s_add_u32 s21, s24, s21
	s_addc_u32 s19, 0, s19
	s_mul_hi_u32 s25, s23, s9
	s_add_u32 s13, s21, s13
	s_mul_i32 s9, s23, s9
	s_addc_u32 s13, s19, s29
	s_addc_u32 s19, s25, 0
	s_add_u32 s9, s13, s9
	s_addc_u32 s13, 0, s19
	s_mul_hi_u32 s19, s0, s9
	s_mul_i32 s13, s0, s13
	s_mul_i32 s21, s1, s9
	;; [unrolled: 1-line block ×3, first 2 shown]
	s_add_i32 s13, s19, s13
	v_sub_co_u32 v1, s9, s22, s9
	s_add_i32 s13, s13, s21
	s_delay_alu instid0(SALU_CYCLE_1) | instskip(SKIP_1) | instid1(VALU_DEP_1)
	s_sub_i32 s19, s23, s13
	s_cmp_lg_u32 s9, 0
	v_sub_co_u32 v2, s21, v1, s0
	s_subb_u32 s19, s19, s1
	s_cmp_lg_u32 s21, 0
	s_subb_u32 s22, s19, 0
	s_delay_alu instid0(VALU_DEP_1)
	v_cmp_le_u32_e32 vcc_lo, s0, v2
	s_cmp_ge_u32 s22, s1
	s_cselect_b32 s24, -1, 0
	s_cmp_eq_u32 s22, s1
	v_cndmask_b32_e64 v3, 0, -1, vcc_lo
	s_cselect_b32 vcc_lo, -1, 0
	s_cmp_lg_u32 s21, 0
	v_sub_co_u32 v4, s21, v2, s0
	s_subb_u32 s19, s19, s1
	s_cmp_lg_u32 s21, 0
	v_cndmask_b32_e32 v3, s24, v3, vcc_lo
	s_subb_u32 s19, s19, 0
	s_cmp_lg_u32 s9, 0
	v_cmp_le_u32_e32 vcc_lo, s0, v1
	s_subb_u32 s9, s23, s13
	s_delay_alu instid0(SALU_CYCLE_1)
	s_cmp_ge_u32 s9, s1
	v_cndmask_b32_e64 v5, 0, -1, vcc_lo
	s_cselect_b32 s13, -1, 0
	s_cmp_eq_u32 s9, s1
	v_cmp_ne_u32_e32 vcc_lo, 0, v3
	v_mov_b32_e32 v3, s19
	s_cselect_b32 s0, -1, 0
	s_delay_alu instid0(SALU_CYCLE_1) | instskip(SKIP_1) | instid1(VALU_DEP_3)
	v_cndmask_b32_e64 v5, s13, v5, s0
	v_cndmask_b32_e32 v2, v2, v4, vcc_lo
	v_cndmask_b32_e32 v3, s22, v3, vcc_lo
	s_delay_alu instid0(VALU_DEP_3) | instskip(NEXT) | instid1(VALU_DEP_3)
	v_cmp_ne_u32_e32 vcc_lo, 0, v5
	v_cndmask_b32_e32 v1, v1, v2, vcc_lo
	s_delay_alu instid0(VALU_DEP_3) | instskip(NEXT) | instid1(VALU_DEP_2)
	v_cndmask_b32_e32 v3, s9, v3, vcc_lo
	v_xor_b32_e32 v1, s20, v1
	s_delay_alu instid0(VALU_DEP_2) | instskip(NEXT) | instid1(VALU_DEP_2)
	v_xor_b32_e32 v2, s20, v3
	v_sub_co_u32 v1, vcc_lo, v1, s20
	s_delay_alu instid0(VALU_DEP_2)
	v_subrev_co_ci_u32_e32 v2, vcc_lo, s20, v2, vcc_lo
	s_and_not1_b32 vcc_lo, exec_lo, s18
	s_cbranch_vccnz .LBB62_57
.LBB62_56:
	v_cvt_f32_u32_e32 v1, s12
	s_sub_i32 s0, 0, s12
	s_delay_alu instid0(VALU_DEP_1) | instskip(SKIP_2) | instid1(VALU_DEP_1)
	v_rcp_iflag_f32_e32 v1, v1
	s_waitcnt_depctr 0xfff
	v_mul_f32_e32 v1, 0x4f7ffffe, v1
	v_cvt_u32_f32_e32 v1, v1
	s_delay_alu instid0(VALU_DEP_1) | instskip(NEXT) | instid1(VALU_DEP_1)
	v_mul_lo_u32 v2, s0, v1
	v_mul_hi_u32 v2, v1, v2
	s_delay_alu instid0(VALU_DEP_1) | instskip(NEXT) | instid1(VALU_DEP_1)
	v_add_nc_u32_e32 v1, v1, v2
	v_mul_hi_u32 v1, s2, v1
	s_delay_alu instid0(VALU_DEP_1) | instskip(NEXT) | instid1(VALU_DEP_1)
	v_mul_lo_u32 v1, v1, s12
	v_sub_nc_u32_e32 v1, s2, v1
	s_delay_alu instid0(VALU_DEP_1) | instskip(SKIP_1) | instid1(VALU_DEP_2)
	v_subrev_nc_u32_e32 v2, s12, v1
	v_cmp_le_u32_e32 vcc_lo, s12, v1
	v_cndmask_b32_e32 v1, v1, v2, vcc_lo
	s_delay_alu instid0(VALU_DEP_1) | instskip(SKIP_1) | instid1(VALU_DEP_2)
	v_subrev_nc_u32_e32 v2, s12, v1
	v_cmp_le_u32_e32 vcc_lo, s12, v1
	v_dual_cndmask_b32 v1, v1, v2 :: v_dual_mov_b32 v2, 0
.LBB62_57:
	s_mul_i32 s0, s15, s16
	s_mul_hi_u32 s1, s14, s16
	s_mul_i32 s9, s14, s16
	s_add_i32 s1, s1, s0
	v_sub_co_u32 v5, vcc_lo, s2, v1
	s_add_u32 s0, s4, s9
	s_addc_u32 s1, s5, s1
	s_lshl_b64 s[4:5], s[16:17], 2
	v_sub_co_ci_u32_e32 v6, vcc_lo, s3, v2, vcc_lo
	v_mov_b32_e32 v1, 0
	s_add_u32 s4, s6, s4
	s_addc_u32 s5, s7, s5
	s_mul_i32 s2, s28, 3
	s_lshl_b32 s3, s28, 1
	s_mov_b32 s6, 0
	s_add_i32 s7, s28, s28
                                        ; implicit-def: $sgpr9
	s_branch .LBB62_61
.LBB62_58:                              ;   in Loop: Header=BB62_61 Depth=1
	s_or_b32 exec_lo, exec_lo, s14
	s_delay_alu instid0(SALU_CYCLE_1)
	s_or_not1_b32 s14, s15, exec_lo
.LBB62_59:                              ;   in Loop: Header=BB62_61 Depth=1
	s_or_b32 exec_lo, exec_lo, s13
	s_delay_alu instid0(SALU_CYCLE_1) | instskip(SKIP_1) | instid1(SALU_CYCLE_1)
	s_and_not1_b32 s9, s9, exec_lo
	s_and_b32 s13, s14, exec_lo
	s_or_b32 s9, s9, s13
.LBB62_60:                              ;   in Loop: Header=BB62_61 Depth=1
	s_or_b32 exec_lo, exec_lo, s12
	s_delay_alu instid0(SALU_CYCLE_1) | instskip(NEXT) | instid1(SALU_CYCLE_1)
	s_and_b32 s12, exec_lo, s9
	s_or_b32 s6, s12, s6
	s_delay_alu instid0(SALU_CYCLE_1)
	s_and_not1_b32 exec_lo, exec_lo, s6
	s_cbranch_execz .LBB62_65
.LBB62_61:                              ; =>This Inner Loop Header: Depth=1
	v_bfe_u32 v4, v0, 4, 26
	s_or_b32 s9, s9, exec_lo
	s_mov_b32 s12, exec_lo
	s_delay_alu instid0(VALU_DEP_1) | instskip(NEXT) | instid1(VALU_DEP_1)
	v_mad_u64_u32 v[2:3], null, v5, v4, 0
	v_mad_u64_u32 v[7:8], null, v6, v4, v[3:4]
	s_delay_alu instid0(VALU_DEP_1) | instskip(NEXT) | instid1(VALU_DEP_1)
	v_mov_b32_e32 v3, v7
	v_lshlrev_b64 v[2:3], 2, v[2:3]
	s_delay_alu instid0(VALU_DEP_1) | instskip(NEXT) | instid1(VALU_DEP_2)
	v_add_co_u32 v2, vcc_lo, s4, v2
	v_add_co_ci_u32_e32 v3, vcc_lo, s5, v3, vcc_lo
	global_load_b32 v4, v[2:3], off
	v_lshlrev_b64 v[2:3], 3, v[0:1]
	s_delay_alu instid0(VALU_DEP_1) | instskip(NEXT) | instid1(VALU_DEP_2)
	v_add_co_u32 v7, vcc_lo, s10, v2
	v_add_co_ci_u32_e32 v8, vcc_lo, s11, v3, vcc_lo
	v_add_co_u32 v2, vcc_lo, s26, v2
	v_add_co_ci_u32_e32 v3, vcc_lo, s27, v3, vcc_lo
	global_load_b64 v[7:8], v[7:8], off
	global_load_b64 v[2:3], v[2:3], off
	s_waitcnt vmcnt(2)
	v_div_scale_f32 v9, null, v4, v4, 1.0
	v_div_scale_f32 v12, vcc_lo, 1.0, v4, 1.0
	s_delay_alu instid0(VALU_DEP_2)
	v_rcp_f32_e32 v10, v9
	s_waitcnt_depctr 0xfff
	v_fma_f32 v11, -v9, v10, 1.0
	s_waitcnt vmcnt(1)
	v_lshrrev_b32_e32 v14, 16, v7
	s_waitcnt vmcnt(0)
	v_fma_mixlo_f16 v16, v28, v2, 0 op_sel_hi:[0,1,0]
	v_fma_mixlo_f16 v15, v28, v3, 0 op_sel_hi:[0,1,0]
	v_fma_mixlo_f16 v2, v28, v2, 0 op_sel:[0,1,0] op_sel_hi:[0,1,0]
	v_fma_mixlo_f16 v3, v28, v3, 0 op_sel:[0,1,0] op_sel_hi:[0,1,0]
	s_delay_alu instid0(VALU_DEP_4) | instskip(NEXT) | instid1(VALU_DEP_3)
	v_mul_f16_e32 v7, v7, v16
	v_mul_f16_e32 v2, v14, v2
	s_delay_alu instid0(VALU_DEP_2) | instskip(SKIP_1) | instid1(VALU_DEP_3)
	v_cvt_f32_f16_e32 v7, v7
	v_fmac_f32_e32 v10, v11, v10
	v_cvt_f32_f16_e32 v2, v2
	s_delay_alu instid0(VALU_DEP_2) | instskip(NEXT) | instid1(VALU_DEP_1)
	v_mul_f32_e32 v11, v12, v10
	v_fma_f32 v13, -v9, v11, v12
	s_delay_alu instid0(VALU_DEP_1) | instskip(SKIP_2) | instid1(VALU_DEP_3)
	v_fmac_f32_e32 v11, v13, v10
	v_lshrrev_b32_e32 v13, 16, v8
	v_mul_f16_e32 v8, v8, v15
	v_fma_f32 v9, -v9, v11, v12
	s_delay_alu instid0(VALU_DEP_3) | instskip(NEXT) | instid1(VALU_DEP_3)
	v_mul_f16_e32 v3, v13, v3
	v_cvt_f32_f16_e32 v8, v8
	s_delay_alu instid0(VALU_DEP_3) | instskip(NEXT) | instid1(VALU_DEP_3)
	v_div_fmas_f32 v9, v9, v10, v11
	v_cvt_f32_f16_e32 v3, v3
	s_delay_alu instid0(VALU_DEP_2) | instskip(NEXT) | instid1(VALU_DEP_1)
	v_div_fixup_f32 v4, v9, v4, 1.0
	v_mul_f32_e32 v8, v4, v8
	v_mul_f32_e32 v7, v4, v7
	s_delay_alu instid0(VALU_DEP_4) | instskip(NEXT) | instid1(VALU_DEP_2)
	v_mul_f32_e32 v3, v4, v3
	v_rndne_f32_e32 v7, v7
	v_mul_f32_e32 v2, v4, v2
	v_rndne_f32_e32 v4, v8
	s_delay_alu instid0(VALU_DEP_1) | instskip(SKIP_4) | instid1(VALU_DEP_1)
	v_cmp_nlt_f32_e32 vcc_lo, 0x42fe0000, v4
	v_cndmask_b32_e32 v8, 0x42fe0000, v4, vcc_lo
	v_cmp_nlt_f32_e32 vcc_lo, 0x42fe0000, v7
	v_cndmask_b32_e32 v9, 0x42fe0000, v7, vcc_lo
	v_rndne_f32_e32 v2, v2
	v_cmp_nlt_f32_e32 vcc_lo, 0x42fe0000, v2
	v_cndmask_b32_e32 v10, 0x42fe0000, v2, vcc_lo
	v_cmp_ngt_f32_e32 vcc_lo, 0xc3000000, v4
	v_rndne_f32_e32 v3, v3
	v_cndmask_b32_e32 v4, 0xc3000000, v8, vcc_lo
	s_delay_alu instid0(VALU_DEP_2) | instskip(NEXT) | instid1(VALU_DEP_2)
	v_cmp_nlt_f32_e32 vcc_lo, 0x42fe0000, v3
	v_cvt_i32_f32_e32 v4, v4
	s_delay_alu instid0(VALU_DEP_1) | instskip(SKIP_4) | instid1(VALU_DEP_2)
	v_and_b32_e32 v4, 0xff, v4
	v_cndmask_b32_e32 v8, 0x42fe0000, v3, vcc_lo
	v_cmp_ngt_f32_e32 vcc_lo, 0xc3000000, v2
	v_cndmask_b32_e32 v2, 0xc3000000, v10, vcc_lo
	v_cmp_ngt_f32_e32 vcc_lo, 0xc3000000, v7
	v_cvt_i32_f32_e32 v2, v2
	s_delay_alu instid0(VALU_DEP_1) | instskip(SKIP_3) | instid1(VALU_DEP_4)
	v_and_b32_e32 v2, 0xff, v2
	v_cndmask_b32_e32 v7, 0xc3000000, v9, vcc_lo
	v_cmp_ngt_f32_e32 vcc_lo, 0xc3000000, v3
	v_lshlrev_b32_e32 v9, 16, v4
	v_lshlrev_b32_e32 v10, 8, v2
	s_delay_alu instid0(VALU_DEP_4) | instskip(SKIP_2) | instid1(VALU_DEP_3)
	v_cvt_i32_f32_e32 v7, v7
	v_cndmask_b32_e32 v3, 0xc3000000, v8, vcc_lo
	v_add_nc_u32_e32 v2, s28, v0
	v_and_b32_e32 v7, 0xff, v7
	s_delay_alu instid0(VALU_DEP_3) | instskip(SKIP_1) | instid1(VALU_DEP_2)
	v_cvt_i32_f32_e32 v8, v3
	v_lshlrev_b64 v[3:4], 2, v[0:1]
	v_lshl_or_b32 v8, v8, 24, v9
	s_delay_alu instid0(VALU_DEP_2) | instskip(NEXT) | instid1(VALU_DEP_3)
	v_add_co_u32 v3, vcc_lo, s0, v3
	v_add_co_ci_u32_e32 v4, vcc_lo, s1, v4, vcc_lo
	s_delay_alu instid0(VALU_DEP_3)
	v_or3_b32 v7, v8, v10, v7
	global_store_b32 v[3:4], v7, off
	v_cmpx_gt_u32_e64 s8, v2
	s_cbranch_execz .LBB62_60
; %bb.62:                               ;   in Loop: Header=BB62_61 Depth=1
	v_bfe_u32 v9, v2, 4, 26
	s_mov_b32 s14, -1
	s_mov_b32 s13, exec_lo
	s_delay_alu instid0(VALU_DEP_1) | instskip(NEXT) | instid1(VALU_DEP_1)
	v_mad_u64_u32 v[3:4], null, v5, v9, 0
	v_mad_u64_u32 v[7:8], null, v6, v9, v[4:5]
	s_delay_alu instid0(VALU_DEP_1) | instskip(NEXT) | instid1(VALU_DEP_1)
	v_mov_b32_e32 v4, v7
	v_lshlrev_b64 v[3:4], 2, v[3:4]
	s_delay_alu instid0(VALU_DEP_1) | instskip(NEXT) | instid1(VALU_DEP_2)
	v_add_co_u32 v3, vcc_lo, s4, v3
	v_add_co_ci_u32_e32 v4, vcc_lo, s5, v4, vcc_lo
	global_load_b32 v4, v[3:4], off
	v_mov_b32_e32 v3, v1
	s_delay_alu instid0(VALU_DEP_1) | instskip(NEXT) | instid1(VALU_DEP_1)
	v_lshlrev_b64 v[7:8], 3, v[2:3]
	v_add_co_u32 v9, vcc_lo, s10, v7
	s_delay_alu instid0(VALU_DEP_2)
	v_add_co_ci_u32_e32 v10, vcc_lo, s11, v8, vcc_lo
	v_add_co_u32 v7, vcc_lo, s26, v7
	v_add_co_ci_u32_e32 v8, vcc_lo, s27, v8, vcc_lo
	global_load_b64 v[9:10], v[9:10], off
	global_load_b64 v[7:8], v[7:8], off
	s_waitcnt vmcnt(2)
	v_div_scale_f32 v11, null, v4, v4, 1.0
	v_div_scale_f32 v14, vcc_lo, 1.0, v4, 1.0
	s_delay_alu instid0(VALU_DEP_2)
	v_rcp_f32_e32 v12, v11
	s_waitcnt_depctr 0xfff
	v_fma_f32 v13, -v11, v12, 1.0
	s_waitcnt vmcnt(1)
	v_lshrrev_b32_e32 v16, 16, v9
	s_waitcnt vmcnt(0)
	v_fma_mixlo_f16 v18, v28, v7, 0 op_sel_hi:[0,1,0]
	v_fma_mixlo_f16 v17, v28, v8, 0 op_sel_hi:[0,1,0]
	v_fma_mixlo_f16 v7, v28, v7, 0 op_sel:[0,1,0] op_sel_hi:[0,1,0]
	v_fma_mixlo_f16 v8, v28, v8, 0 op_sel:[0,1,0] op_sel_hi:[0,1,0]
	s_delay_alu instid0(VALU_DEP_4) | instskip(NEXT) | instid1(VALU_DEP_3)
	v_mul_f16_e32 v9, v9, v18
	v_mul_f16_e32 v7, v16, v7
	s_delay_alu instid0(VALU_DEP_2) | instskip(SKIP_1) | instid1(VALU_DEP_3)
	v_cvt_f32_f16_e32 v9, v9
	v_fmac_f32_e32 v12, v13, v12
	v_cvt_f32_f16_e32 v7, v7
	s_delay_alu instid0(VALU_DEP_2) | instskip(NEXT) | instid1(VALU_DEP_1)
	v_mul_f32_e32 v13, v14, v12
	v_fma_f32 v15, -v11, v13, v14
	s_delay_alu instid0(VALU_DEP_1) | instskip(SKIP_2) | instid1(VALU_DEP_3)
	v_fmac_f32_e32 v13, v15, v12
	v_lshrrev_b32_e32 v15, 16, v10
	v_mul_f16_e32 v10, v10, v17
	v_fma_f32 v11, -v11, v13, v14
	s_delay_alu instid0(VALU_DEP_3) | instskip(NEXT) | instid1(VALU_DEP_3)
	v_mul_f16_e32 v8, v15, v8
	v_cvt_f32_f16_e32 v10, v10
	s_delay_alu instid0(VALU_DEP_3) | instskip(NEXT) | instid1(VALU_DEP_3)
	v_div_fmas_f32 v11, v11, v12, v13
	v_cvt_f32_f16_e32 v8, v8
	s_delay_alu instid0(VALU_DEP_2) | instskip(NEXT) | instid1(VALU_DEP_1)
	v_div_fixup_f32 v4, v11, v4, 1.0
	v_mul_f32_e32 v10, v4, v10
	v_mul_f32_e32 v9, v4, v9
	;; [unrolled: 1-line block ×3, first 2 shown]
	s_delay_alu instid0(VALU_DEP_2) | instskip(SKIP_2) | instid1(VALU_DEP_1)
	v_rndne_f32_e32 v9, v9
	v_mul_f32_e32 v4, v4, v8
	v_rndne_f32_e32 v8, v10
	v_cmp_nlt_f32_e32 vcc_lo, 0x42fe0000, v8
	v_cndmask_b32_e32 v10, 0x42fe0000, v8, vcc_lo
	v_rndne_f32_e32 v7, v7
	v_cmp_nlt_f32_e32 vcc_lo, 0x42fe0000, v9
	v_cndmask_b32_e32 v11, 0x42fe0000, v9, vcc_lo
	s_delay_alu instid0(VALU_DEP_3) | instskip(SKIP_4) | instid1(VALU_DEP_4)
	v_cmp_nlt_f32_e32 vcc_lo, 0x42fe0000, v7
	v_rndne_f32_e32 v4, v4
	v_cndmask_b32_e32 v12, 0x42fe0000, v7, vcc_lo
	v_cmp_ngt_f32_e32 vcc_lo, 0xc3000000, v8
	v_cndmask_b32_e32 v8, 0xc3000000, v10, vcc_lo
	v_cmp_nlt_f32_e32 vcc_lo, 0x42fe0000, v4
	s_delay_alu instid0(VALU_DEP_2) | instskip(SKIP_2) | instid1(VALU_DEP_3)
	v_cvt_i32_f32_e32 v8, v8
	v_cndmask_b32_e32 v10, 0x42fe0000, v4, vcc_lo
	v_cmp_ngt_f32_e32 vcc_lo, 0xc3000000, v7
	v_and_b32_e32 v8, 0xff, v8
	v_cndmask_b32_e32 v7, 0xc3000000, v12, vcc_lo
	v_cmp_ngt_f32_e32 vcc_lo, 0xc3000000, v9
	s_delay_alu instid0(VALU_DEP_2) | instskip(SKIP_3) | instid1(VALU_DEP_3)
	v_cvt_i32_f32_e32 v7, v7
	v_cndmask_b32_e32 v9, 0xc3000000, v11, vcc_lo
	v_cmp_ngt_f32_e32 vcc_lo, 0xc3000000, v4
	v_lshlrev_b32_e32 v11, 16, v8
	v_cvt_i32_f32_e32 v9, v9
	v_cndmask_b32_e32 v4, 0xc3000000, v10, vcc_lo
	v_and_b32_e32 v10, 0xff, v7
	v_lshlrev_b64 v[7:8], 2, v[2:3]
	v_add_nc_u32_e32 v3, s3, v0
	v_and_b32_e32 v9, 0xff, v9
	v_cvt_i32_f32_e32 v4, v4
	v_lshlrev_b32_e32 v10, 8, v10
	v_add_co_u32 v7, vcc_lo, s0, v7
	s_delay_alu instid0(VALU_DEP_3) | instskip(SKIP_1) | instid1(VALU_DEP_2)
	v_lshl_or_b32 v4, v4, 24, v11
	v_add_co_ci_u32_e32 v8, vcc_lo, s1, v8, vcc_lo
	v_or3_b32 v4, v4, v10, v9
	global_store_b32 v[7:8], v4, off
	v_cmpx_gt_u32_e64 s8, v3
	s_cbranch_execz .LBB62_59
; %bb.63:                               ;   in Loop: Header=BB62_61 Depth=1
	v_bfe_u32 v10, v3, 4, 26
	v_add_nc_u32_e32 v0, s2, v0
	s_mov_b32 s15, -1
	s_mov_b32 s14, exec_lo
	s_delay_alu instid0(VALU_DEP_2) | instskip(NEXT) | instid1(VALU_DEP_1)
	v_mad_u64_u32 v[7:8], null, v5, v10, 0
	v_mov_b32_e32 v4, v8
	s_delay_alu instid0(VALU_DEP_1) | instskip(SKIP_1) | instid1(VALU_DEP_2)
	v_mad_u64_u32 v[8:9], null, v6, v10, v[4:5]
	v_mov_b32_e32 v4, v1
	v_lshlrev_b64 v[7:8], 2, v[7:8]
	s_delay_alu instid0(VALU_DEP_1) | instskip(NEXT) | instid1(VALU_DEP_2)
	v_add_co_u32 v7, vcc_lo, s4, v7
	v_add_co_ci_u32_e32 v8, vcc_lo, s5, v8, vcc_lo
	global_load_b32 v11, v[7:8], off
	v_lshlrev_b64 v[7:8], 3, v[3:4]
	s_delay_alu instid0(VALU_DEP_1) | instskip(NEXT) | instid1(VALU_DEP_2)
	v_add_co_u32 v9, vcc_lo, s10, v7
	v_add_co_ci_u32_e32 v10, vcc_lo, s11, v8, vcc_lo
	v_add_co_u32 v7, vcc_lo, s26, v7
	v_add_co_ci_u32_e32 v8, vcc_lo, s27, v8, vcc_lo
	global_load_b64 v[9:10], v[9:10], off
	global_load_b64 v[7:8], v[7:8], off
	s_waitcnt vmcnt(2)
	v_div_scale_f32 v12, null, v11, v11, 1.0
	v_div_scale_f32 v15, vcc_lo, 1.0, v11, 1.0
	s_delay_alu instid0(VALU_DEP_2)
	v_rcp_f32_e32 v13, v12
	s_waitcnt_depctr 0xfff
	v_fma_f32 v14, -v12, v13, 1.0
	s_waitcnt vmcnt(1)
	v_lshrrev_b32_e32 v17, 16, v9
	s_waitcnt vmcnt(0)
	v_fma_mixlo_f16 v19, v28, v7, 0 op_sel_hi:[0,1,0]
	v_fma_mixlo_f16 v7, v28, v7, 0 op_sel:[0,1,0] op_sel_hi:[0,1,0]
	v_fma_mixlo_f16 v18, v28, v8, 0 op_sel_hi:[0,1,0]
	v_fmac_f32_e32 v13, v14, v13
	v_fma_mixlo_f16 v8, v28, v8, 0 op_sel:[0,1,0] op_sel_hi:[0,1,0]
	v_mul_f16_e32 v9, v9, v19
	v_mul_f16_e32 v7, v17, v7
	s_delay_alu instid0(VALU_DEP_4) | instskip(NEXT) | instid1(VALU_DEP_3)
	v_mul_f32_e32 v14, v15, v13
	v_cvt_f32_f16_e32 v9, v9
	s_delay_alu instid0(VALU_DEP_3) | instskip(NEXT) | instid1(VALU_DEP_3)
	v_cvt_f32_f16_e32 v7, v7
	v_fma_f32 v16, -v12, v14, v15
	s_delay_alu instid0(VALU_DEP_1) | instskip(SKIP_2) | instid1(VALU_DEP_3)
	v_fmac_f32_e32 v14, v16, v13
	v_lshrrev_b32_e32 v16, 16, v10
	v_mul_f16_e32 v10, v10, v18
	v_fma_f32 v12, -v12, v14, v15
	s_delay_alu instid0(VALU_DEP_3) | instskip(NEXT) | instid1(VALU_DEP_3)
	v_mul_f16_e32 v8, v16, v8
	v_cvt_f32_f16_e32 v10, v10
	s_delay_alu instid0(VALU_DEP_3) | instskip(NEXT) | instid1(VALU_DEP_3)
	v_div_fmas_f32 v12, v12, v13, v14
	v_cvt_f32_f16_e32 v8, v8
	s_delay_alu instid0(VALU_DEP_2) | instskip(NEXT) | instid1(VALU_DEP_1)
	v_div_fixup_f32 v11, v12, v11, 1.0
	v_mul_f32_e32 v7, v11, v7
	v_mul_f32_e32 v9, v11, v9
	s_delay_alu instid0(VALU_DEP_4) | instskip(SKIP_1) | instid1(VALU_DEP_4)
	v_mul_f32_e32 v8, v11, v8
	v_lshlrev_b64 v[3:4], 2, v[3:4]
	v_rndne_f32_e32 v7, v7
	v_mul_f32_e32 v10, v11, v10
	v_rndne_f32_e32 v9, v9
	v_rndne_f32_e32 v8, v8
	s_delay_alu instid0(VALU_DEP_3) | instskip(NEXT) | instid1(VALU_DEP_1)
	v_rndne_f32_e32 v10, v10
	v_cmp_nlt_f32_e32 vcc_lo, 0x42fe0000, v10
	v_cndmask_b32_e32 v11, 0x42fe0000, v10, vcc_lo
	v_cmp_nlt_f32_e32 vcc_lo, 0x42fe0000, v9
	v_cndmask_b32_e32 v12, 0x42fe0000, v9, vcc_lo
	;; [unrolled: 2-line block ×3, first 2 shown]
	v_cmp_ngt_f32_e32 vcc_lo, 0xc3000000, v10
	v_cndmask_b32_e32 v10, 0xc3000000, v11, vcc_lo
	v_cmp_nlt_f32_e32 vcc_lo, 0x42fe0000, v8
	s_delay_alu instid0(VALU_DEP_2) | instskip(NEXT) | instid1(VALU_DEP_1)
	v_cvt_i32_f32_e32 v10, v10
	v_and_b32_e32 v10, 0xff, v10
	v_cndmask_b32_e32 v11, 0x42fe0000, v8, vcc_lo
	v_cmp_ngt_f32_e32 vcc_lo, 0xc3000000, v7
	s_delay_alu instid0(VALU_DEP_3) | instskip(SKIP_1) | instid1(VALU_DEP_2)
	v_dual_cndmask_b32 v7, 0xc3000000, v13 :: v_dual_lshlrev_b32 v10, 16, v10
	v_cmp_ngt_f32_e32 vcc_lo, 0xc3000000, v9
	v_cvt_i32_f32_e32 v7, v7
	s_delay_alu instid0(VALU_DEP_1) | instskip(NEXT) | instid1(VALU_DEP_1)
	v_and_b32_e32 v7, 0xff, v7
	v_lshlrev_b32_e32 v7, 8, v7
	v_cndmask_b32_e32 v9, 0xc3000000, v12, vcc_lo
	v_cmp_ngt_f32_e32 vcc_lo, 0xc3000000, v8
	s_delay_alu instid0(VALU_DEP_2) | instskip(SKIP_3) | instid1(VALU_DEP_3)
	v_cvt_i32_f32_e32 v9, v9
	v_cndmask_b32_e32 v8, 0xc3000000, v11, vcc_lo
	v_add_co_u32 v3, vcc_lo, s0, v3
	v_add_co_ci_u32_e32 v4, vcc_lo, s1, v4, vcc_lo
	v_cvt_i32_f32_e32 v8, v8
	v_and_b32_e32 v9, 0xff, v9
	s_delay_alu instid0(VALU_DEP_2) | instskip(NEXT) | instid1(VALU_DEP_1)
	v_lshl_or_b32 v8, v8, 24, v10
	v_or3_b32 v7, v8, v7, v9
	global_store_b32 v[3:4], v7, off
	v_cmpx_gt_u32_e64 s8, v0
	s_cbranch_execz .LBB62_58
; %bb.64:                               ;   in Loop: Header=BB62_61 Depth=1
	v_bfe_u32 v9, v0, 4, 26
	s_delay_alu instid0(VALU_DEP_1) | instskip(NEXT) | instid1(VALU_DEP_1)
	v_mad_u64_u32 v[3:4], null, v5, v9, 0
	v_mad_u64_u32 v[7:8], null, v6, v9, v[4:5]
	s_delay_alu instid0(VALU_DEP_1) | instskip(NEXT) | instid1(VALU_DEP_1)
	v_mov_b32_e32 v4, v7
	v_lshlrev_b64 v[3:4], 2, v[3:4]
	s_delay_alu instid0(VALU_DEP_1) | instskip(NEXT) | instid1(VALU_DEP_2)
	v_add_co_u32 v3, vcc_lo, s4, v3
	v_add_co_ci_u32_e32 v4, vcc_lo, s5, v4, vcc_lo
	global_load_b32 v9, v[3:4], off
	v_lshlrev_b64 v[3:4], 3, v[0:1]
	s_delay_alu instid0(VALU_DEP_1) | instskip(NEXT) | instid1(VALU_DEP_2)
	v_add_co_u32 v7, vcc_lo, s10, v3
	v_add_co_ci_u32_e32 v8, vcc_lo, s11, v4, vcc_lo
	v_add_co_u32 v3, vcc_lo, s26, v3
	v_add_co_ci_u32_e32 v4, vcc_lo, s27, v4, vcc_lo
	global_load_b64 v[7:8], v[7:8], off
	global_load_b64 v[3:4], v[3:4], off
	s_waitcnt vmcnt(2)
	v_div_scale_f32 v10, null, v9, v9, 1.0
	v_div_scale_f32 v13, vcc_lo, 1.0, v9, 1.0
	s_delay_alu instid0(VALU_DEP_2)
	v_rcp_f32_e32 v11, v10
	s_waitcnt_depctr 0xfff
	v_fma_f32 v12, -v10, v11, 1.0
	s_waitcnt vmcnt(1)
	v_lshrrev_b32_e32 v15, 16, v7
	s_waitcnt vmcnt(0)
	v_fma_mixlo_f16 v17, v28, v3, 0 op_sel_hi:[0,1,0]
	v_fma_mixlo_f16 v3, v28, v3, 0 op_sel:[0,1,0] op_sel_hi:[0,1,0]
	v_fma_mixlo_f16 v16, v28, v4, 0 op_sel_hi:[0,1,0]
	v_fmac_f32_e32 v11, v12, v11
	v_fma_mixlo_f16 v4, v28, v4, 0 op_sel:[0,1,0] op_sel_hi:[0,1,0]
	v_mul_f16_e32 v7, v7, v17
	v_mul_f16_e32 v3, v15, v3
	s_delay_alu instid0(VALU_DEP_4) | instskip(NEXT) | instid1(VALU_DEP_3)
	v_mul_f32_e32 v12, v13, v11
	v_cvt_f32_f16_e32 v7, v7
	s_delay_alu instid0(VALU_DEP_3) | instskip(NEXT) | instid1(VALU_DEP_3)
	v_cvt_f32_f16_e32 v3, v3
	v_fma_f32 v14, -v10, v12, v13
	s_delay_alu instid0(VALU_DEP_1) | instskip(SKIP_2) | instid1(VALU_DEP_3)
	v_fmac_f32_e32 v12, v14, v11
	v_lshrrev_b32_e32 v14, 16, v8
	v_mul_f16_e32 v8, v8, v16
	v_fma_f32 v10, -v10, v12, v13
	s_delay_alu instid0(VALU_DEP_3) | instskip(NEXT) | instid1(VALU_DEP_3)
	v_mul_f16_e32 v4, v14, v4
	v_cvt_f32_f16_e32 v8, v8
	s_delay_alu instid0(VALU_DEP_3) | instskip(NEXT) | instid1(VALU_DEP_3)
	v_div_fmas_f32 v10, v10, v11, v12
	v_cvt_f32_f16_e32 v4, v4
	s_delay_alu instid0(VALU_DEP_2) | instskip(NEXT) | instid1(VALU_DEP_1)
	v_div_fixup_f32 v9, v10, v9, 1.0
	v_mul_f32_e32 v3, v9, v3
	v_mul_f32_e32 v7, v9, v7
	s_delay_alu instid0(VALU_DEP_4) | instskip(NEXT) | instid1(VALU_DEP_3)
	v_mul_f32_e32 v4, v9, v4
	v_rndne_f32_e32 v3, v3
	v_mul_f32_e32 v8, v9, v8
	s_delay_alu instid0(VALU_DEP_4) | instskip(NEXT) | instid1(VALU_DEP_4)
	v_rndne_f32_e32 v7, v7
	v_rndne_f32_e32 v4, v4
	s_delay_alu instid0(VALU_DEP_3) | instskip(NEXT) | instid1(VALU_DEP_1)
	v_rndne_f32_e32 v8, v8
	v_cmp_nlt_f32_e32 vcc_lo, 0x42fe0000, v8
	v_cndmask_b32_e32 v9, 0x42fe0000, v8, vcc_lo
	v_cmp_nlt_f32_e32 vcc_lo, 0x42fe0000, v7
	v_cndmask_b32_e32 v10, 0x42fe0000, v7, vcc_lo
	;; [unrolled: 2-line block ×3, first 2 shown]
	v_cmp_ngt_f32_e32 vcc_lo, 0xc3000000, v8
	v_cndmask_b32_e32 v8, 0xc3000000, v9, vcc_lo
	v_cmp_nlt_f32_e32 vcc_lo, 0x42fe0000, v4
	s_delay_alu instid0(VALU_DEP_2) | instskip(SKIP_2) | instid1(VALU_DEP_3)
	v_cvt_i32_f32_e32 v8, v8
	v_cndmask_b32_e32 v9, 0x42fe0000, v4, vcc_lo
	v_cmp_ngt_f32_e32 vcc_lo, 0xc3000000, v3
	v_and_b32_e32 v8, 0xff, v8
	v_cndmask_b32_e32 v3, 0xc3000000, v11, vcc_lo
	v_cmp_ngt_f32_e32 vcc_lo, 0xc3000000, v7
	s_delay_alu instid0(VALU_DEP_3) | instskip(NEXT) | instid1(VALU_DEP_3)
	v_lshlrev_b32_e32 v8, 16, v8
	v_cvt_i32_f32_e32 v3, v3
	v_cndmask_b32_e32 v7, 0xc3000000, v10, vcc_lo
	v_cmp_ngt_f32_e32 vcc_lo, 0xc3000000, v4
	s_delay_alu instid0(VALU_DEP_3) | instskip(NEXT) | instid1(VALU_DEP_3)
	v_and_b32_e32 v10, 0xff, v3
	v_cvt_i32_f32_e32 v7, v7
	v_cndmask_b32_e32 v4, 0xc3000000, v9, vcc_lo
	s_delay_alu instid0(VALU_DEP_3) | instskip(NEXT) | instid1(VALU_DEP_3)
	v_lshlrev_b32_e32 v10, 8, v10
	v_and_b32_e32 v7, 0xff, v7
	s_delay_alu instid0(VALU_DEP_3) | instskip(SKIP_2) | instid1(VALU_DEP_3)
	v_cvt_i32_f32_e32 v9, v4
	v_lshlrev_b64 v[3:4], 2, v[0:1]
	v_add3_u32 v0, s7, s28, v2
	v_lshl_or_b32 v8, v9, 24, v8
	s_delay_alu instid0(VALU_DEP_3) | instskip(NEXT) | instid1(VALU_DEP_4)
	v_add_co_u32 v2, vcc_lo, s0, v3
	v_add_co_ci_u32_e32 v3, vcc_lo, s1, v4, vcc_lo
	s_delay_alu instid0(VALU_DEP_4) | instskip(NEXT) | instid1(VALU_DEP_4)
	v_cmp_le_u32_e32 vcc_lo, s8, v0
	v_or3_b32 v4, v8, v10, v7
	s_or_not1_b32 s15, vcc_lo, exec_lo
	global_store_b32 v[2:3], v4, off
	s_branch .LBB62_58
.LBB62_65:
	s_nop 0
	s_sendmsg sendmsg(MSG_DEALLOC_VGPRS)
	s_endpgm
.LBB62_66:
                                        ; implicit-def: $vgpr3_vgpr4
	s_branch .LBB62_51
.LBB62_67:
                                        ; implicit-def: $vgpr1_vgpr2
	s_branch .LBB62_56
	.section	.rodata,"a",@progbits
	.p2align	6, 0x0
	.amdhsa_kernel _ZN4vllm31rms_norm_per_block_quant_kernelIN3c104HalfEaLb0ELb1ELi64EEEvPT0_PfPKT_S8_PKffiiPS6_l
		.amdhsa_group_segment_fixed_size 4228
		.amdhsa_private_segment_fixed_size 0
		.amdhsa_kernarg_size 328
		.amdhsa_user_sgpr_count 15
		.amdhsa_user_sgpr_dispatch_ptr 0
		.amdhsa_user_sgpr_queue_ptr 0
		.amdhsa_user_sgpr_kernarg_segment_ptr 1
		.amdhsa_user_sgpr_dispatch_id 0
		.amdhsa_user_sgpr_private_segment_size 0
		.amdhsa_wavefront_size32 1
		.amdhsa_uses_dynamic_stack 0
		.amdhsa_enable_private_segment 0
		.amdhsa_system_sgpr_workgroup_id_x 1
		.amdhsa_system_sgpr_workgroup_id_y 0
		.amdhsa_system_sgpr_workgroup_id_z 0
		.amdhsa_system_sgpr_workgroup_info 0
		.amdhsa_system_vgpr_workitem_id 0
		.amdhsa_next_free_vgpr 35
		.amdhsa_next_free_sgpr 38
		.amdhsa_reserve_vcc 1
		.amdhsa_float_round_mode_32 0
		.amdhsa_float_round_mode_16_64 0
		.amdhsa_float_denorm_mode_32 3
		.amdhsa_float_denorm_mode_16_64 3
		.amdhsa_dx10_clamp 1
		.amdhsa_ieee_mode 1
		.amdhsa_fp16_overflow 0
		.amdhsa_workgroup_processor_mode 1
		.amdhsa_memory_ordered 1
		.amdhsa_forward_progress 0
		.amdhsa_shared_vgpr_count 0
		.amdhsa_exception_fp_ieee_invalid_op 0
		.amdhsa_exception_fp_denorm_src 0
		.amdhsa_exception_fp_ieee_div_zero 0
		.amdhsa_exception_fp_ieee_overflow 0
		.amdhsa_exception_fp_ieee_underflow 0
		.amdhsa_exception_fp_ieee_inexact 0
		.amdhsa_exception_int_div_zero 0
	.end_amdhsa_kernel
	.section	.text._ZN4vllm31rms_norm_per_block_quant_kernelIN3c104HalfEaLb0ELb1ELi64EEEvPT0_PfPKT_S8_PKffiiPS6_l,"axG",@progbits,_ZN4vllm31rms_norm_per_block_quant_kernelIN3c104HalfEaLb0ELb1ELi64EEEvPT0_PfPKT_S8_PKffiiPS6_l,comdat
.Lfunc_end62:
	.size	_ZN4vllm31rms_norm_per_block_quant_kernelIN3c104HalfEaLb0ELb1ELi64EEEvPT0_PfPKT_S8_PKffiiPS6_l, .Lfunc_end62-_ZN4vllm31rms_norm_per_block_quant_kernelIN3c104HalfEaLb0ELb1ELi64EEEvPT0_PfPKT_S8_PKffiiPS6_l
                                        ; -- End function
	.section	.AMDGPU.csdata,"",@progbits
; Kernel info:
; codeLenInByte = 8588
; NumSgprs: 40
; NumVgprs: 35
; ScratchSize: 0
; MemoryBound: 0
; FloatMode: 240
; IeeeMode: 1
; LDSByteSize: 4228 bytes/workgroup (compile time only)
; SGPRBlocks: 4
; VGPRBlocks: 4
; NumSGPRsForWavesPerEU: 40
; NumVGPRsForWavesPerEU: 35
; Occupancy: 16
; WaveLimiterHint : 0
; COMPUTE_PGM_RSRC2:SCRATCH_EN: 0
; COMPUTE_PGM_RSRC2:USER_SGPR: 15
; COMPUTE_PGM_RSRC2:TRAP_HANDLER: 0
; COMPUTE_PGM_RSRC2:TGID_X_EN: 1
; COMPUTE_PGM_RSRC2:TGID_Y_EN: 0
; COMPUTE_PGM_RSRC2:TGID_Z_EN: 0
; COMPUTE_PGM_RSRC2:TIDIG_COMP_CNT: 0
	.section	.text._ZN4vllm31rms_norm_per_block_quant_kernelIN3c104HalfENS1_13Float8_e4m3fnELb0ELb0ELi64EEEvPT0_PfPKT_S9_PKffiiPS7_l,"axG",@progbits,_ZN4vllm31rms_norm_per_block_quant_kernelIN3c104HalfENS1_13Float8_e4m3fnELb0ELb0ELi64EEEvPT0_PfPKT_S9_PKffiiPS7_l,comdat
	.protected	_ZN4vllm31rms_norm_per_block_quant_kernelIN3c104HalfENS1_13Float8_e4m3fnELb0ELb0ELi64EEEvPT0_PfPKT_S9_PKffiiPS7_l ; -- Begin function _ZN4vllm31rms_norm_per_block_quant_kernelIN3c104HalfENS1_13Float8_e4m3fnELb0ELb0ELi64EEEvPT0_PfPKT_S9_PKffiiPS7_l
	.globl	_ZN4vllm31rms_norm_per_block_quant_kernelIN3c104HalfENS1_13Float8_e4m3fnELb0ELb0ELi64EEEvPT0_PfPKT_S9_PKffiiPS7_l
	.p2align	8
	.type	_ZN4vllm31rms_norm_per_block_quant_kernelIN3c104HalfENS1_13Float8_e4m3fnELb0ELb0ELi64EEEvPT0_PfPKT_S9_PKffiiPS7_l,@function
_ZN4vllm31rms_norm_per_block_quant_kernelIN3c104HalfENS1_13Float8_e4m3fnELb0ELb0ELi64EEEvPT0_PfPKT_S9_PKffiiPS7_l: ; @_ZN4vllm31rms_norm_per_block_quant_kernelIN3c104HalfENS1_13Float8_e4m3fnELb0ELb0ELi64EEEvPT0_PfPKT_S9_PKffiiPS7_l
; %bb.0:
	s_clause 0x1
	s_load_b128 s[16:19], s[0:1], 0x28
	s_load_b256 s[4:11], s[0:1], 0x0
	v_mov_b32_e32 v6, 0
	s_waitcnt lgkmcnt(0)
	s_ashr_i32 s2, s18, 31
	s_mul_hi_u32 s3, s18, s15
	s_mul_i32 s12, s2, s15
	s_mul_i32 s2, s18, s15
	s_add_i32 s3, s3, s12
	s_mov_b32 s12, s17
	s_lshl_b64 s[2:3], s[2:3], 1
	s_delay_alu instid0(SALU_CYCLE_1)
	s_add_u32 s14, s8, s2
	s_addc_u32 s26, s9, s3
	s_ashr_i32 s8, s17, 2
	s_add_u32 s18, s0, 0x48
	v_cmp_gt_u32_e64 s2, s8, v0
	s_mov_b32 s9, 0
	s_addc_u32 s19, s1, 0
	s_delay_alu instid0(VALU_DEP_1)
	s_and_saveexec_b32 s3, s2
	s_cbranch_execz .LBB63_10
; %bb.1:
	s_load_b32 s13, s[18:19], 0x0
	v_dual_mov_b32 v2, 0 :: v_dual_mov_b32 v1, v0
	s_waitcnt lgkmcnt(0)
	s_cmp_lt_u32 s15, s13
	s_cselect_b32 s13, 12, 18
	s_delay_alu instid0(SALU_CYCLE_1)
	s_add_u32 s20, s18, s13
	s_addc_u32 s21, s19, 0
                                        ; implicit-def: $sgpr13
	global_load_u16 v7, v2, s[20:21]
	s_waitcnt vmcnt(0)
	v_lshlrev_b32_e32 v9, 1, v7
	v_mul_lo_u32 v8, v7, 3
	v_add_nc_u32_e32 v10, v7, v7
	v_mov_b32_e32 v6, v2
	s_branch .LBB63_5
.LBB63_2:                               ;   in Loop: Header=BB63_5 Depth=1
	s_or_b32 exec_lo, exec_lo, s22
	s_delay_alu instid0(SALU_CYCLE_1)
	s_or_not1_b32 s22, s23, exec_lo
.LBB63_3:                               ;   in Loop: Header=BB63_5 Depth=1
	s_or_b32 exec_lo, exec_lo, s21
	s_delay_alu instid0(SALU_CYCLE_1) | instskip(SKIP_1) | instid1(SALU_CYCLE_1)
	s_and_not1_b32 s13, s13, exec_lo
	s_and_b32 s21, s22, exec_lo
	s_or_b32 s13, s13, s21
.LBB63_4:                               ;   in Loop: Header=BB63_5 Depth=1
	s_or_b32 exec_lo, exec_lo, s20
	s_delay_alu instid0(SALU_CYCLE_1) | instskip(NEXT) | instid1(SALU_CYCLE_1)
	s_and_b32 s20, exec_lo, s13
	s_or_b32 s9, s20, s9
	s_delay_alu instid0(SALU_CYCLE_1)
	s_and_not1_b32 exec_lo, exec_lo, s9
	s_cbranch_execz .LBB63_9
.LBB63_5:                               ; =>This Inner Loop Header: Depth=1
	v_lshlrev_b64 v[3:4], 3, v[1:2]
	s_or_b32 s13, s13, exec_lo
	s_mov_b32 s20, exec_lo
	s_delay_alu instid0(VALU_DEP_1) | instskip(NEXT) | instid1(VALU_DEP_2)
	v_add_co_u32 v3, vcc_lo, s14, v3
	v_add_co_ci_u32_e32 v4, vcc_lo, s26, v4, vcc_lo
	global_load_b64 v[3:4], v[3:4], off
	s_waitcnt vmcnt(0)
	v_fma_mix_f32 v5, v3, v3, v6 op_sel_hi:[1,1,0]
	s_delay_alu instid0(VALU_DEP_1) | instskip(NEXT) | instid1(VALU_DEP_1)
	v_fma_mix_f32 v3, v3, v3, v5 op_sel:[1,1,0] op_sel_hi:[1,1,0]
	v_fma_mix_f32 v5, v4, v4, v3 op_sel_hi:[1,1,0]
	v_add_nc_u32_e32 v3, v1, v7
	s_delay_alu instid0(VALU_DEP_2) | instskip(NEXT) | instid1(VALU_DEP_2)
	v_fma_mix_f32 v6, v4, v4, v5 op_sel:[1,1,0] op_sel_hi:[1,1,0]
	v_cmpx_gt_u32_e64 s8, v3
	s_cbranch_execz .LBB63_4
; %bb.6:                                ;   in Loop: Header=BB63_5 Depth=1
	v_mov_b32_e32 v4, v2
	s_mov_b32 s22, -1
	s_mov_b32 s21, exec_lo
	s_delay_alu instid0(VALU_DEP_1) | instskip(NEXT) | instid1(VALU_DEP_1)
	v_lshlrev_b64 v[4:5], 3, v[3:4]
	v_add_co_u32 v4, vcc_lo, s14, v4
	s_delay_alu instid0(VALU_DEP_2) | instskip(SKIP_3) | instid1(VALU_DEP_1)
	v_add_co_ci_u32_e32 v5, vcc_lo, s26, v5, vcc_lo
	global_load_b64 v[4:5], v[4:5], off
	s_waitcnt vmcnt(0)
	v_fma_mix_f32 v6, v4, v4, v6 op_sel_hi:[1,1,0]
	v_fma_mix_f32 v4, v4, v4, v6 op_sel:[1,1,0] op_sel_hi:[1,1,0]
	s_delay_alu instid0(VALU_DEP_1) | instskip(SKIP_1) | instid1(VALU_DEP_2)
	v_fma_mix_f32 v6, v5, v5, v4 op_sel_hi:[1,1,0]
	v_add_nc_u32_e32 v4, v9, v1
	v_fma_mix_f32 v6, v5, v5, v6 op_sel:[1,1,0] op_sel_hi:[1,1,0]
	s_delay_alu instid0(VALU_DEP_2)
	v_cmpx_gt_u32_e64 s8, v4
	s_cbranch_execz .LBB63_3
; %bb.7:                                ;   in Loop: Header=BB63_5 Depth=1
	v_mov_b32_e32 v5, v2
	v_add_nc_u32_e32 v1, v8, v1
	s_mov_b32 s23, -1
	s_mov_b32 s22, exec_lo
	s_delay_alu instid0(VALU_DEP_2) | instskip(NEXT) | instid1(VALU_DEP_1)
	v_lshlrev_b64 v[4:5], 3, v[4:5]
	v_add_co_u32 v4, vcc_lo, s14, v4
	s_delay_alu instid0(VALU_DEP_2) | instskip(SKIP_3) | instid1(VALU_DEP_1)
	v_add_co_ci_u32_e32 v5, vcc_lo, s26, v5, vcc_lo
	global_load_b64 v[4:5], v[4:5], off
	s_waitcnt vmcnt(0)
	v_fma_mix_f32 v6, v4, v4, v6 op_sel_hi:[1,1,0]
	v_fma_mix_f32 v4, v4, v4, v6 op_sel:[1,1,0] op_sel_hi:[1,1,0]
	s_delay_alu instid0(VALU_DEP_1) | instskip(NEXT) | instid1(VALU_DEP_1)
	v_fma_mix_f32 v4, v5, v5, v4 op_sel_hi:[1,1,0]
	v_fma_mix_f32 v6, v5, v5, v4 op_sel:[1,1,0] op_sel_hi:[1,1,0]
	v_cmpx_gt_u32_e64 s8, v1
	s_xor_b32 s22, exec_lo, s22
	s_cbranch_execz .LBB63_2
; %bb.8:                                ;   in Loop: Header=BB63_5 Depth=1
	v_lshlrev_b64 v[4:5], 3, v[1:2]
	s_delay_alu instid0(VALU_DEP_1) | instskip(NEXT) | instid1(VALU_DEP_2)
	v_add_co_u32 v4, vcc_lo, s14, v4
	v_add_co_ci_u32_e32 v5, vcc_lo, s26, v5, vcc_lo
	global_load_b64 v[4:5], v[4:5], off
	s_waitcnt vmcnt(0)
	v_fma_mix_f32 v1, v4, v4, v6 op_sel_hi:[1,1,0]
	s_delay_alu instid0(VALU_DEP_1) | instskip(SKIP_1) | instid1(VALU_DEP_2)
	v_fma_mix_f32 v4, v4, v4, v1 op_sel:[1,1,0] op_sel_hi:[1,1,0]
	v_add3_u32 v1, v10, v7, v3
	v_fma_mix_f32 v3, v5, v5, v4 op_sel_hi:[1,1,0]
	s_delay_alu instid0(VALU_DEP_2) | instskip(NEXT) | instid1(VALU_DEP_2)
	v_cmp_le_u32_e32 vcc_lo, s8, v1
	v_fma_mix_f32 v6, v5, v5, v3 op_sel:[1,1,0] op_sel_hi:[1,1,0]
	s_or_not1_b32 s23, vcc_lo, exec_lo
	s_branch .LBB63_2
.LBB63_9:
	s_or_b32 exec_lo, exec_lo, s9
.LBB63_10:
	s_delay_alu instid0(SALU_CYCLE_1) | instskip(SKIP_3) | instid1(VALU_DEP_2)
	s_or_b32 exec_lo, exec_lo, s3
	v_mbcnt_lo_u32_b32 v1, -1, 0
	s_load_b32 s3, s[18:19], 0xc
	v_and_b32_e32 v7, 0x3e0, v0
	v_cmp_ne_u32_e32 vcc_lo, 31, v1
	v_add_nc_u32_e32 v3, 1, v1
	v_add_co_ci_u32_e32 v2, vcc_lo, 0, v1, vcc_lo
	v_cmp_gt_u32_e32 vcc_lo, 30, v1
	s_delay_alu instid0(VALU_DEP_2)
	v_lshlrev_b32_e32 v2, 2, v2
	v_cndmask_b32_e64 v5, 0, 1, vcc_lo
	ds_bpermute_b32 v4, v2, v6
	s_waitcnt lgkmcnt(0)
	s_and_b32 s27, s3, 0xffff
	v_lshlrev_b32_e32 v5, 1, v5
	v_sub_nc_u32_e64 v12, s27, v7 clamp
	s_mov_b32 s3, exec_lo
	s_delay_alu instid0(VALU_DEP_1) | instskip(SKIP_2) | instid1(VALU_DEP_2)
	v_cmp_lt_u32_e32 vcc_lo, v3, v12
	v_add_f32_e32 v7, v6, v4
	v_add_lshl_u32 v4, v5, v1, 2
	v_cndmask_b32_e32 v7, v6, v7, vcc_lo
	v_cmp_gt_u32_e32 vcc_lo, 28, v1
	v_cndmask_b32_e64 v5, 0, 1, vcc_lo
	s_delay_alu instid0(VALU_DEP_1) | instskip(SKIP_2) | instid1(VALU_DEP_1)
	v_lshlrev_b32_e32 v8, 2, v5
	ds_bpermute_b32 v6, v4, v7
	v_add_nc_u32_e32 v5, 2, v1
	v_cmp_lt_u32_e32 vcc_lo, v5, v12
	s_waitcnt lgkmcnt(0)
	v_add_f32_e32 v9, v7, v6
	v_add_lshl_u32 v6, v8, v1, 2
	s_delay_alu instid0(VALU_DEP_2) | instskip(SKIP_3) | instid1(VALU_DEP_1)
	v_cndmask_b32_e32 v9, v7, v9, vcc_lo
	v_cmp_gt_u32_e32 vcc_lo, 24, v1
	ds_bpermute_b32 v8, v6, v9
	v_cndmask_b32_e64 v7, 0, 1, vcc_lo
	v_lshlrev_b32_e32 v10, 3, v7
	v_add_nc_u32_e32 v7, 4, v1
	s_delay_alu instid0(VALU_DEP_1) | instskip(SKIP_3) | instid1(VALU_DEP_2)
	v_cmp_lt_u32_e32 vcc_lo, v7, v12
	s_waitcnt lgkmcnt(0)
	v_add_f32_e32 v11, v9, v8
	v_add_lshl_u32 v8, v10, v1, 2
	v_cndmask_b32_e32 v11, v9, v11, vcc_lo
	v_cmp_gt_u32_e32 vcc_lo, 16, v1
	ds_bpermute_b32 v10, v8, v11
	v_cndmask_b32_e64 v9, 0, 1, vcc_lo
	s_delay_alu instid0(VALU_DEP_1) | instskip(SKIP_1) | instid1(VALU_DEP_1)
	v_lshlrev_b32_e32 v13, 4, v9
	v_add_nc_u32_e32 v9, 8, v1
	v_cmp_lt_u32_e32 vcc_lo, v9, v12
	s_waitcnt lgkmcnt(0)
	v_add_f32_e32 v14, v11, v10
	v_add_lshl_u32 v10, v13, v1, 2
	s_delay_alu instid0(VALU_DEP_2)
	v_cndmask_b32_e32 v13, v11, v14, vcc_lo
	v_add_nc_u32_e32 v11, 16, v1
	ds_bpermute_b32 v14, v10, v13
	v_cmp_lt_u32_e32 vcc_lo, v11, v12
	s_waitcnt lgkmcnt(0)
	v_add_f32_e32 v14, v13, v14
	s_delay_alu instid0(VALU_DEP_1)
	v_cndmask_b32_e32 v12, v13, v14, vcc_lo
	v_cmpx_eq_u32_e32 0, v1
	s_cbranch_execz .LBB63_12
; %bb.11:
	v_lshrrev_b32_e32 v13, 3, v0
	s_delay_alu instid0(VALU_DEP_1)
	v_and_b32_e32 v13, 0x7c, v13
	ds_store_b32 v13, v12 offset:4096
.LBB63_12:
	s_or_b32 exec_lo, exec_lo, s3
	s_delay_alu instid0(SALU_CYCLE_1)
	s_mov_b32 s3, exec_lo
	s_waitcnt lgkmcnt(0)
	s_barrier
	buffer_gl0_inv
	v_cmpx_gt_u32_e32 32, v0
	s_cbranch_execz .LBB63_14
; %bb.13:
	v_lshlrev_b32_e32 v1, 2, v1
	s_add_i32 s9, s27, 31
	s_delay_alu instid0(SALU_CYCLE_1) | instskip(NEXT) | instid1(SALU_CYCLE_1)
	s_lshr_b32 s9, s9, 5
	v_cmp_gt_u32_e32 vcc_lo, s9, v3
	ds_load_b32 v1, v1 offset:4096
	s_waitcnt lgkmcnt(0)
	ds_bpermute_b32 v2, v2, v1
	s_waitcnt lgkmcnt(0)
	v_add_f32_e32 v2, v1, v2
	s_delay_alu instid0(VALU_DEP_1) | instskip(SKIP_4) | instid1(VALU_DEP_1)
	v_cndmask_b32_e32 v1, v1, v2, vcc_lo
	v_cmp_gt_u32_e32 vcc_lo, s9, v5
	ds_bpermute_b32 v2, v4, v1
	s_waitcnt lgkmcnt(0)
	v_add_f32_e32 v2, v1, v2
	v_cndmask_b32_e32 v1, v1, v2, vcc_lo
	v_cmp_gt_u32_e32 vcc_lo, s9, v7
	ds_bpermute_b32 v2, v6, v1
	s_waitcnt lgkmcnt(0)
	v_add_f32_e32 v2, v1, v2
	s_delay_alu instid0(VALU_DEP_1) | instskip(SKIP_4) | instid1(VALU_DEP_1)
	v_cndmask_b32_e32 v1, v1, v2, vcc_lo
	v_cmp_gt_u32_e32 vcc_lo, s9, v9
	ds_bpermute_b32 v2, v8, v1
	s_waitcnt lgkmcnt(0)
	v_add_f32_e32 v2, v1, v2
	v_cndmask_b32_e32 v1, v1, v2, vcc_lo
	v_cmp_gt_u32_e32 vcc_lo, s9, v11
	ds_bpermute_b32 v2, v10, v1
	s_waitcnt lgkmcnt(0)
	v_add_f32_e32 v2, v1, v2
	s_delay_alu instid0(VALU_DEP_1)
	v_cndmask_b32_e32 v12, v1, v2, vcc_lo
.LBB63_14:
	s_or_b32 exec_lo, exec_lo, s3
	s_delay_alu instid0(SALU_CYCLE_1)
	s_mov_b32 s3, exec_lo
	v_cmpx_eq_u32_e32 0, v0
	s_cbranch_execz .LBB63_16
; %bb.15:
	v_cvt_f32_i32_e32 v1, s17
	s_delay_alu instid0(VALU_DEP_1) | instskip(SKIP_1) | instid1(VALU_DEP_2)
	v_div_scale_f32 v2, null, v1, v1, v12
	v_div_scale_f32 v5, vcc_lo, v12, v1, v12
	v_rcp_f32_e32 v3, v2
	s_waitcnt_depctr 0xfff
	v_fma_f32 v4, -v2, v3, 1.0
	s_delay_alu instid0(VALU_DEP_1) | instskip(NEXT) | instid1(VALU_DEP_1)
	v_fmac_f32_e32 v3, v4, v3
	v_mul_f32_e32 v4, v5, v3
	s_delay_alu instid0(VALU_DEP_1) | instskip(NEXT) | instid1(VALU_DEP_1)
	v_fma_f32 v6, -v2, v4, v5
	v_fmac_f32_e32 v4, v6, v3
	s_delay_alu instid0(VALU_DEP_1) | instskip(NEXT) | instid1(VALU_DEP_1)
	v_fma_f32 v2, -v2, v4, v5
	v_div_fmas_f32 v2, v2, v3, v4
	s_delay_alu instid0(VALU_DEP_1) | instskip(NEXT) | instid1(VALU_DEP_1)
	v_div_fixup_f32 v1, v2, v1, v12
	v_add_f32_e32 v1, s16, v1
	s_delay_alu instid0(VALU_DEP_1) | instskip(SKIP_1) | instid1(VALU_DEP_2)
	v_mul_f32_e32 v2, 0x4b800000, v1
	v_cmp_gt_f32_e32 vcc_lo, 0x800000, v1
	v_cndmask_b32_e32 v1, v1, v2, vcc_lo
	s_delay_alu instid0(VALU_DEP_1) | instskip(SKIP_2) | instid1(VALU_DEP_1)
	v_rsq_f32_e32 v1, v1
	s_waitcnt_depctr 0xfff
	v_mul_f32_e32 v2, 0x45800000, v1
	v_dual_cndmask_b32 v1, v1, v2 :: v_dual_mov_b32 v2, 0
	ds_store_b32 v2, v1 offset:4224
.LBB63_16:
	s_or_b32 exec_lo, exec_lo, s3
	s_ashr_i32 s13, s17, 31
	s_waitcnt lgkmcnt(0)
	s_lshr_b32 s3, s13, 26
	s_barrier
	s_add_i32 s3, s17, s3
	buffer_gl0_inv
	s_ashr_i32 s16, s3, 6
	s_ashr_i32 s3, s3, 31
	s_abs_i32 s9, s16
	s_delay_alu instid0(SALU_CYCLE_1) | instskip(SKIP_1) | instid1(VALU_DEP_1)
	v_cvt_f32_u32_e32 v1, s9
	s_sub_i32 s18, 0, s9
	v_rcp_iflag_f32_e32 v1, v1
	s_waitcnt_depctr 0xfff
	v_mul_f32_e32 v1, 0x4f7ffffe, v1
	s_delay_alu instid0(VALU_DEP_1) | instskip(NEXT) | instid1(VALU_DEP_1)
	v_cvt_u32_f32_e32 v1, v1
	v_readfirstlane_b32 s17, v1
	s_delay_alu instid0(VALU_DEP_1) | instskip(NEXT) | instid1(SALU_CYCLE_1)
	s_mul_i32 s18, s18, s17
	s_mul_hi_u32 s18, s17, s18
	s_delay_alu instid0(SALU_CYCLE_1) | instskip(NEXT) | instid1(SALU_CYCLE_1)
	s_add_i32 s17, s17, s18
	s_mul_hi_u32 s17, s27, s17
	s_delay_alu instid0(SALU_CYCLE_1) | instskip(SKIP_2) | instid1(SALU_CYCLE_1)
	s_mul_i32 s18, s17, s9
	s_add_i32 s19, s17, 1
	s_sub_i32 s18, s27, s18
	s_sub_i32 s20, s18, s9
	s_cmp_ge_u32 s18, s9
	s_cselect_b32 s17, s19, s17
	s_cselect_b32 s18, s20, s18
	s_add_i32 s19, s17, 1
	s_cmp_ge_u32 s18, s9
	s_cselect_b32 s9, s19, s17
	s_delay_alu instid0(SALU_CYCLE_1) | instskip(NEXT) | instid1(SALU_CYCLE_1)
	s_xor_b32 s9, s9, s3
	s_sub_i32 s18, s9, s3
	s_delay_alu instid0(SALU_CYCLE_1) | instskip(SKIP_3) | instid1(VALU_DEP_1)
	s_abs_i32 s3, s18
	s_ashr_i32 s19, s18, 31
	v_cvt_f32_u32_e32 v1, s3
	s_sub_i32 s9, 0, s3
	v_rcp_iflag_f32_e32 v1, v1
	s_waitcnt_depctr 0xfff
	v_mul_f32_e32 v1, 0x4f7ffffe, v1
	s_delay_alu instid0(VALU_DEP_1) | instskip(NEXT) | instid1(VALU_DEP_1)
	v_cvt_u32_f32_e32 v1, v1
	v_mul_lo_u32 v2, s9, v1
	s_ashr_i32 s9, s8, 31
	s_delay_alu instid0(VALU_DEP_1) | instskip(NEXT) | instid1(VALU_DEP_1)
	v_mul_hi_u32 v2, v1, v2
	v_add_nc_u32_e32 v1, v1, v2
	s_delay_alu instid0(VALU_DEP_1) | instskip(NEXT) | instid1(VALU_DEP_1)
	v_mul_hi_u32 v1, v0, v1
	v_mul_lo_u32 v2, v1, s3
	v_add_nc_u32_e32 v3, 1, v1
	s_delay_alu instid0(VALU_DEP_2) | instskip(NEXT) | instid1(VALU_DEP_1)
	v_sub_nc_u32_e32 v2, v0, v2
	v_subrev_nc_u32_e32 v4, s3, v2
	v_cmp_le_u32_e32 vcc_lo, s3, v2
	s_delay_alu instid0(VALU_DEP_2) | instskip(NEXT) | instid1(VALU_DEP_1)
	v_dual_cndmask_b32 v1, v1, v3 :: v_dual_cndmask_b32 v2, v2, v4
	v_dual_mov_b32 v4, 0 :: v_dual_add_nc_u32 v3, 1, v1
	s_delay_alu instid0(VALU_DEP_2) | instskip(SKIP_2) | instid1(VALU_DEP_1)
	v_cmp_le_u32_e32 vcc_lo, s3, v2
	ds_load_b32 v28, v4 offset:4224
	v_cndmask_b32_e32 v1, v1, v3, vcc_lo
	v_xor_b32_e32 v1, s19, v1
	s_delay_alu instid0(VALU_DEP_1) | instskip(NEXT) | instid1(VALU_DEP_1)
	v_subrev_nc_u32_e32 v1, s19, v1
	v_ashrrev_i32_e32 v2, 31, v1
	v_mul_lo_u32 v3, v1, s18
	s_delay_alu instid0(VALU_DEP_2) | instskip(NEXT) | instid1(VALU_DEP_2)
	v_lshlrev_b64 v[7:8], 4, v[1:2]
	v_sub_nc_u32_e32 v3, v0, v3
	s_delay_alu instid0(VALU_DEP_2) | instskip(NEXT) | instid1(VALU_DEP_3)
	v_add_co_u32 v5, vcc_lo, v7, 16
	v_add_co_ci_u32_e32 v6, vcc_lo, 0, v8, vcc_lo
	s_delay_alu instid0(VALU_DEP_1) | instskip(SKIP_4) | instid1(VALU_DEP_3)
	v_cmp_gt_i64_e32 vcc_lo, s[8:9], v[5:6]
	v_cndmask_b32_e32 v6, s9, v6, vcc_lo
	v_cndmask_b32_e32 v5, s8, v5, vcc_lo
	v_add_co_u32 v7, vcc_lo, v7, v3
	v_add_co_ci_u32_e32 v8, vcc_lo, 0, v8, vcc_lo
	v_ashrrev_i32_e32 v10, 31, v5
	v_mov_b32_e32 v9, v5
	s_mov_b32 s9, exec_lo
	s_delay_alu instid0(VALU_DEP_1)
	v_cmpx_lt_i64_e64 v[7:8], v[9:10]
	s_cbranch_execz .LBB63_26
; %bb.17:
	v_lshlrev_b64 v[11:12], 7, v[1:2]
	v_lshlrev_b64 v[13:14], 3, v[3:4]
	v_mov_b32_e32 v4, 0
	s_lshl_b64 s[20:21], s[18:19], 5
	s_mul_hi_i32 s17, s18, 3
	s_mul_i32 s28, s18, 3
	s_lshl_b64 s[22:23], s[18:19], 1
	v_add_co_u32 v19, vcc_lo, v11, v13
	v_add_co_ci_u32_e32 v20, vcc_lo, v12, v14, vcc_lo
	v_dual_mov_b32 v12, v8 :: v_dual_mov_b32 v11, v7
	s_lshl_b64 s[24:25], s[18:19], 3
	s_mov_b32 s29, 0
                                        ; implicit-def: $sgpr30
	s_branch .LBB63_21
.LBB63_18:                              ;   in Loop: Header=BB63_21 Depth=1
	s_or_b32 exec_lo, exec_lo, s34
	s_delay_alu instid0(SALU_CYCLE_1)
	s_or_not1_b32 s3, s3, exec_lo
.LBB63_19:                              ;   in Loop: Header=BB63_21 Depth=1
	s_or_b32 exec_lo, exec_lo, s33
	s_delay_alu instid0(SALU_CYCLE_1) | instskip(SKIP_1) | instid1(SALU_CYCLE_1)
	s_and_not1_b32 s30, s30, exec_lo
	s_and_b32 s3, s3, exec_lo
	s_or_b32 s30, s30, s3
.LBB63_20:                              ;   in Loop: Header=BB63_21 Depth=1
	s_or_b32 exec_lo, exec_lo, s31
	s_delay_alu instid0(SALU_CYCLE_1) | instskip(NEXT) | instid1(SALU_CYCLE_1)
	s_and_b32 s3, exec_lo, s30
	s_or_b32 s29, s3, s29
	s_delay_alu instid0(SALU_CYCLE_1)
	s_and_not1_b32 exec_lo, exec_lo, s29
	s_cbranch_execz .LBB63_25
.LBB63_21:                              ; =>This Inner Loop Header: Depth=1
	v_add_co_u32 v17, vcc_lo, s10, v19
	v_add_co_ci_u32_e32 v18, vcc_lo, s11, v20, vcc_lo
	v_add_co_u32 v15, vcc_lo, s14, v19
	v_add_co_ci_u32_e32 v16, vcc_lo, s26, v20, vcc_lo
	s_or_b32 s30, s30, exec_lo
	global_load_b64 v[13:14], v[17:18], off
	global_load_b64 v[21:22], v[15:16], off
	s_mov_b32 s31, exec_lo
	s_waitcnt vmcnt(1)
	v_lshrrev_b32_e32 v23, 16, v13
	s_waitcnt vmcnt(0) lgkmcnt(0)
	v_fma_mixlo_f16 v24, v28, v21, 0 op_sel_hi:[0,1,0]
	v_fma_mixlo_f16 v21, v28, v21, 0 op_sel:[0,1,0] op_sel_hi:[0,1,0]
	v_lshrrev_b32_e32 v25, 16, v14
	v_fma_mixlo_f16 v26, v28, v22, 0 op_sel_hi:[0,1,0]
	v_fma_mixlo_f16 v22, v28, v22, 0 op_sel:[0,1,0] op_sel_hi:[0,1,0]
	v_mul_f16_e32 v13, v13, v24
	v_mul_f16_e32 v21, v23, v21
	s_delay_alu instid0(VALU_DEP_4) | instskip(NEXT) | instid1(VALU_DEP_4)
	v_mul_f16_e32 v23, v14, v26
	v_mul_f16_e32 v22, v25, v22
	s_delay_alu instid0(VALU_DEP_4) | instskip(NEXT) | instid1(VALU_DEP_4)
	v_cvt_f32_f16_e64 v24, |v13|
	v_cvt_f32_f16_e64 v21, |v21|
	v_add_co_u32 v13, vcc_lo, v11, s18
	v_cvt_f32_f16_e64 v23, |v23|
	v_add_co_ci_u32_e32 v14, vcc_lo, s19, v12, vcc_lo
	s_delay_alu instid0(VALU_DEP_4) | instskip(SKIP_1) | instid1(VALU_DEP_1)
	v_max3_f32 v4, v4, v24, v21
	v_cvt_f32_f16_e64 v21, |v22|
	v_max3_f32 v4, v4, v23, v21
	s_delay_alu instid0(VALU_DEP_4)
	v_cmpx_lt_i64_e64 v[13:14], v[9:10]
	s_cbranch_execz .LBB63_20
; %bb.22:                               ;   in Loop: Header=BB63_21 Depth=1
	v_add_co_u32 v17, vcc_lo, v17, s24
	v_add_co_ci_u32_e32 v18, vcc_lo, s25, v18, vcc_lo
	v_add_co_u32 v15, vcc_lo, v15, s24
	v_add_co_ci_u32_e32 v16, vcc_lo, s25, v16, vcc_lo
	s_mov_b32 s3, -1
	global_load_b64 v[21:22], v[17:18], off
	global_load_b64 v[23:24], v[15:16], off
	s_mov_b32 s33, exec_lo
	s_waitcnt vmcnt(1)
	v_lshrrev_b32_e32 v25, 16, v21
	s_waitcnt vmcnt(0)
	v_fma_mixlo_f16 v26, v28, v23, 0 op_sel_hi:[0,1,0]
	v_fma_mixlo_f16 v23, v28, v23, 0 op_sel:[0,1,0] op_sel_hi:[0,1,0]
	v_lshrrev_b32_e32 v27, 16, v22
	v_fma_mixlo_f16 v29, v28, v24, 0 op_sel_hi:[0,1,0]
	v_fma_mixlo_f16 v24, v28, v24, 0 op_sel:[0,1,0] op_sel_hi:[0,1,0]
	v_mul_f16_e32 v21, v21, v26
	v_mul_f16_e32 v23, v25, v23
	s_delay_alu instid0(VALU_DEP_4) | instskip(NEXT) | instid1(VALU_DEP_4)
	v_mul_f16_e32 v25, v22, v29
	v_mul_f16_e32 v24, v27, v24
	s_delay_alu instid0(VALU_DEP_4) | instskip(NEXT) | instid1(VALU_DEP_4)
	v_cvt_f32_f16_e64 v26, |v21|
	v_cvt_f32_f16_e64 v23, |v23|
	v_add_co_u32 v21, vcc_lo, s22, v11
	v_cvt_f32_f16_e64 v25, |v25|
	v_add_co_ci_u32_e32 v22, vcc_lo, s23, v12, vcc_lo
	s_delay_alu instid0(VALU_DEP_4) | instskip(SKIP_1) | instid1(VALU_DEP_1)
	v_max3_f32 v4, v4, v26, v23
	v_cvt_f32_f16_e64 v23, |v24|
	v_max3_f32 v4, v4, v25, v23
	s_delay_alu instid0(VALU_DEP_4)
	v_cmpx_lt_i64_e64 v[21:22], v[9:10]
	s_cbranch_execz .LBB63_19
; %bb.23:                               ;   in Loop: Header=BB63_21 Depth=1
	v_add_co_u32 v17, vcc_lo, v17, s24
	v_add_co_ci_u32_e32 v18, vcc_lo, s25, v18, vcc_lo
	v_add_co_u32 v15, vcc_lo, v15, s24
	v_add_co_ci_u32_e32 v16, vcc_lo, s25, v16, vcc_lo
	v_add_co_u32 v11, vcc_lo, s28, v11
	global_load_b64 v[21:22], v[17:18], off
	global_load_b64 v[23:24], v[15:16], off
	v_add_co_ci_u32_e32 v12, vcc_lo, s17, v12, vcc_lo
	s_delay_alu instid0(VALU_DEP_1)
	v_cmp_lt_i64_e32 vcc_lo, v[11:12], v[9:10]
                                        ; implicit-def: $vgpr11_vgpr12
	s_waitcnt vmcnt(1)
	v_lshrrev_b32_e32 v25, 16, v21
	s_waitcnt vmcnt(0)
	v_fma_mixlo_f16 v26, v28, v23, 0 op_sel_hi:[0,1,0]
	v_fma_mixlo_f16 v23, v28, v23, 0 op_sel:[0,1,0] op_sel_hi:[0,1,0]
	v_lshrrev_b32_e32 v27, 16, v22
	v_fma_mixlo_f16 v29, v28, v24, 0 op_sel_hi:[0,1,0]
	v_fma_mixlo_f16 v24, v28, v24, 0 op_sel:[0,1,0] op_sel_hi:[0,1,0]
	v_mul_f16_e32 v21, v21, v26
	v_mul_f16_e32 v23, v25, v23
	s_delay_alu instid0(VALU_DEP_4) | instskip(NEXT) | instid1(VALU_DEP_4)
	v_mul_f16_e32 v22, v22, v29
	v_mul_f16_e32 v24, v27, v24
	s_delay_alu instid0(VALU_DEP_4) | instskip(NEXT) | instid1(VALU_DEP_4)
	v_cvt_f32_f16_e64 v21, |v21|
	v_cvt_f32_f16_e64 v23, |v23|
	s_delay_alu instid0(VALU_DEP_4) | instskip(NEXT) | instid1(VALU_DEP_2)
	v_cvt_f32_f16_e64 v22, |v22|
	v_max3_f32 v4, v4, v21, v23
	v_cvt_f32_f16_e64 v21, |v24|
	s_delay_alu instid0(VALU_DEP_1) | instskip(SKIP_1) | instid1(SALU_CYCLE_1)
	v_max3_f32 v4, v4, v22, v21
	s_and_saveexec_b32 s34, vcc_lo
	s_xor_b32 s34, exec_lo, s34
	s_cbranch_execz .LBB63_18
; %bb.24:                               ;   in Loop: Header=BB63_21 Depth=1
	v_add_co_u32 v11, vcc_lo, v17, s24
	v_add_co_ci_u32_e32 v12, vcc_lo, s25, v18, vcc_lo
	v_add_co_u32 v15, vcc_lo, v15, s24
	v_add_co_ci_u32_e32 v16, vcc_lo, s25, v16, vcc_lo
	s_add_u32 s3, s18, s18
	global_load_b64 v[11:12], v[11:12], off
	global_load_b64 v[15:16], v[15:16], off
	s_addc_u32 s35, s19, s19
	s_add_u32 s3, s3, s18
	s_addc_u32 s35, s35, s19
	s_waitcnt vmcnt(1)
	v_lshrrev_b32_e32 v17, 16, v11
	s_waitcnt vmcnt(0)
	v_fma_mixlo_f16 v18, v28, v15, 0 op_sel_hi:[0,1,0]
	v_fma_mixlo_f16 v15, v28, v15, 0 op_sel:[0,1,0] op_sel_hi:[0,1,0]
	v_lshrrev_b32_e32 v21, 16, v12
	v_fma_mixlo_f16 v22, v28, v16, 0 op_sel_hi:[0,1,0]
	v_fma_mixlo_f16 v16, v28, v16, 0 op_sel:[0,1,0] op_sel_hi:[0,1,0]
	v_mul_f16_e32 v11, v11, v18
	v_mul_f16_e32 v15, v17, v15
	s_delay_alu instid0(VALU_DEP_4) | instskip(NEXT) | instid1(VALU_DEP_4)
	v_mul_f16_e32 v17, v12, v22
	v_mul_f16_e32 v16, v21, v16
	s_delay_alu instid0(VALU_DEP_4) | instskip(NEXT) | instid1(VALU_DEP_4)
	v_cvt_f32_f16_e64 v18, |v11|
	v_cvt_f32_f16_e64 v15, |v15|
	v_add_co_u32 v11, vcc_lo, s3, v13
	v_add_co_ci_u32_e32 v12, vcc_lo, s35, v14, vcc_lo
	v_cvt_f32_f16_e64 v13, |v17|
	v_cvt_f32_f16_e64 v14, |v16|
	v_max3_f32 v4, v4, v18, v15
	s_delay_alu instid0(VALU_DEP_4) | instskip(SKIP_1) | instid1(VALU_DEP_1)
	v_cmp_ge_i64_e32 vcc_lo, v[11:12], v[9:10]
	v_add_co_u32 v19, s3, v19, s20
	v_add_co_ci_u32_e64 v20, s3, s21, v20, s3
	s_delay_alu instid0(VALU_DEP_4)
	v_max3_f32 v4, v4, v13, v14
	s_or_not1_b32 s3, vcc_lo, exec_lo
	s_branch .LBB63_18
.LBB63_25:
	s_or_b32 exec_lo, exec_lo, s29
.LBB63_26:
	s_delay_alu instid0(SALU_CYCLE_1)
	s_or_b32 exec_lo, exec_lo, s9
	s_lshr_b32 s9, s27, 5
	v_lshlrev_b32_e32 v29, 2, v0
	v_cvt_f32_u32_e32 v9, s9
	s_sub_i32 s17, 0, s9
	s_add_i32 s20, s16, s9
	s_delay_alu instid0(SALU_CYCLE_1) | instskip(NEXT) | instid1(VALU_DEP_1)
	s_add_i32 s20, s20, -1
	v_rcp_iflag_f32_e32 v9, v9
	s_abs_i32 s21, s20
	s_ashr_i32 s20, s20, 31
	ds_store_b32 v29, v4
	s_waitcnt lgkmcnt(0)
	s_barrier
	buffer_gl0_inv
	v_mul_f32_e32 v9, 0x4f7ffffe, v9
	s_delay_alu instid0(VALU_DEP_1) | instskip(NEXT) | instid1(VALU_DEP_1)
	v_cvt_u32_f32_e32 v9, v9
	v_readfirstlane_b32 s3, v9
	s_delay_alu instid0(VALU_DEP_1) | instskip(NEXT) | instid1(SALU_CYCLE_1)
	s_mul_i32 s17, s17, s3
	s_mul_hi_u32 s17, s3, s17
	s_delay_alu instid0(SALU_CYCLE_1) | instskip(SKIP_2) | instid1(SALU_CYCLE_1)
	s_add_i32 s3, s3, s17
	s_ashr_i32 s17, s16, 31
	s_mul_hi_u32 s3, s21, s3
	s_mul_i32 s22, s3, s9
	s_delay_alu instid0(SALU_CYCLE_1)
	s_sub_i32 s21, s21, s22
	s_add_i32 s22, s3, 1
	s_sub_i32 s23, s21, s9
	s_cmp_ge_u32 s21, s9
	s_cselect_b32 s3, s22, s3
	s_cselect_b32 s21, s23, s21
	s_add_i32 s22, s3, 1
	s_cmp_ge_u32 s21, s9
	s_cselect_b32 s3, s22, s3
	s_delay_alu instid0(SALU_CYCLE_1) | instskip(NEXT) | instid1(SALU_CYCLE_1)
	s_xor_b32 s3, s3, s20
	s_sub_i32 s20, s3, s20
	s_delay_alu instid0(SALU_CYCLE_1) | instskip(NEXT) | instid1(SALU_CYCLE_1)
	s_ashr_i32 s21, s20, 31
	v_cmp_lt_i64_e64 s3, s[20:21], 1
	s_delay_alu instid0(VALU_DEP_1)
	s_and_b32 vcc_lo, exec_lo, s3
	s_cbranch_vccnz .LBB63_46
; %bb.27:
	v_lshrrev_b32_e32 v9, 5, v0
	v_and_b32_e32 v4, 31, v0
	s_mov_b64 s[22:23], 0
	s_mov_b64 s[24:25], src_shared_base
	s_delay_alu instid0(VALU_DEP_2) | instskip(NEXT) | instid1(VALU_DEP_2)
	v_mul_lo_u32 v19, s18, v9
	v_add_co_u32 v11, s3, v4, 16
	s_delay_alu instid0(VALU_DEP_1) | instskip(SKIP_1) | instid1(VALU_DEP_1)
	v_add_co_ci_u32_e64 v12, null, 0, 0, s3
	v_add_co_u32 v13, s3, v4, 8
	v_add_co_ci_u32_e64 v14, null, 0, 0, s3
	v_add_co_u32 v15, s3, v4, 4
	v_dual_mov_b32 v10, 0 :: v_dual_lshlrev_b32 v21, 2, v19
	v_lshlrev_b32_e32 v22, 2, v4
	v_add_co_ci_u32_e64 v16, null, 0, 0, s3
	v_add_co_u32 v17, s3, v4, 2
	s_delay_alu instid0(VALU_DEP_1) | instskip(SKIP_1) | instid1(VALU_DEP_1)
	v_add_co_ci_u32_e64 v18, null, 0, 0, s3
	v_add_co_u32 v19, s3, v4, 1
	v_add_co_ci_u32_e64 v20, null, 0, 0, s3
	v_add3_u32 v30, v21, v22, 0x80
	s_mul_i32 s3, s18, s9
	s_delay_alu instid0(SALU_CYCLE_1)
	s_lshl_b32 s28, s3, 2
	s_branch .LBB63_30
.LBB63_28:                              ;   in Loop: Header=BB63_30 Depth=1
	s_or_b32 exec_lo, exec_lo, s3
	v_mov_b32_e32 v22, s25
	flat_load_b32 v21, v[21:22] glc dlc
	s_waitcnt vmcnt(0)
.LBB63_29:                              ;   in Loop: Header=BB63_30 Depth=1
	s_or_b32 exec_lo, exec_lo, s24
	s_add_u32 s22, s22, 1
	v_add_nc_u32_e32 v30, s28, v30
	s_addc_u32 s23, s23, 0
	s_delay_alu instid0(SALU_CYCLE_1)
	s_cmp_eq_u64 s[22:23], s[20:21]
	s_cbranch_scc1 .LBB63_46
.LBB63_30:                              ; =>This Loop Header: Depth=1
                                        ;     Child Loop BB63_33 Depth 2
	s_waitcnt lgkmcnt(0)
	v_mad_u64_u32 v[21:22], null, s22, s9, v[9:10]
	s_mov_b32 s24, exec_lo
	s_delay_alu instid0(VALU_DEP_1) | instskip(NEXT) | instid1(VALU_DEP_1)
	v_mad_u64_u32 v[23:24], null, s23, s9, v[22:23]
	v_mov_b32_e32 v22, v23
	s_delay_alu instid0(VALU_DEP_1)
	v_cmpx_gt_i64_e64 s[16:17], v[21:22]
	s_cbranch_execz .LBB63_29
; %bb.31:                               ;   in Loop: Header=BB63_30 Depth=1
	v_mul_lo_u32 v24, v22, s18
	v_mul_lo_u32 v25, v21, s19
	v_mad_u64_u32 v[22:23], null, v21, s18, 0
	s_delay_alu instid0(VALU_DEP_1) | instskip(NEXT) | instid1(VALU_DEP_2)
	v_add3_u32 v23, v23, v25, v24
	v_add_co_u32 v24, vcc_lo, v22, s18
	v_add_co_u32 v31, s3, v22, v4
	s_delay_alu instid0(VALU_DEP_3) | instskip(SKIP_2) | instid1(VALU_DEP_2)
	v_add_co_ci_u32_e32 v25, vcc_lo, s19, v23, vcc_lo
	v_add_co_ci_u32_e64 v21, s3, 0, v23, s3
	s_mov_b32 s3, exec_lo
	v_cmp_gt_i64_e32 vcc_lo, s[12:13], v[24:25]
	v_cndmask_b32_e32 v25, s13, v25, vcc_lo
	v_cndmask_b32_e32 v24, s12, v24, vcc_lo
	v_add_co_u32 v26, vcc_lo, v31, 32
	v_add_co_ci_u32_e32 v27, vcc_lo, 0, v21, vcc_lo
	v_lshlrev_b32_e32 v21, 2, v31
	s_delay_alu instid0(VALU_DEP_2)
	v_cmpx_lt_i64_e64 v[26:27], v[24:25]
	s_cbranch_execz .LBB63_34
; %bb.32:                               ;   in Loop: Header=BB63_30 Depth=1
	ds_load_b32 v33, v21
	v_mov_b32_e32 v32, v30
	s_mov_b32 s29, 0
.LBB63_33:                              ;   Parent Loop BB63_30 Depth=1
                                        ; =>  This Inner Loop Header: Depth=2
	ds_load_b32 v34, v32
	v_add_co_u32 v26, vcc_lo, v26, 32
	v_add_co_ci_u32_e32 v27, vcc_lo, 0, v27, vcc_lo
	s_waitcnt lgkmcnt(1)
	v_dual_max_f32 v33, v33, v33 :: v_dual_add_nc_u32 v32, 0x80, v32
	s_delay_alu instid0(VALU_DEP_2) | instskip(SKIP_3) | instid1(VALU_DEP_1)
	v_cmp_ge_i64_e32 vcc_lo, v[26:27], v[24:25]
	s_or_b32 s29, vcc_lo, s29
	s_waitcnt lgkmcnt(0)
	v_max_f32_e32 v34, v34, v34
	v_max_f32_e32 v33, v33, v34
	ds_store_b32 v21, v33
	s_and_not1_b32 exec_lo, exec_lo, s29
	s_cbranch_execnz .LBB63_33
.LBB63_34:                              ;   in Loop: Header=BB63_30 Depth=1
	s_or_b32 exec_lo, exec_lo, s3
	v_sub_co_u32 v22, vcc_lo, v24, v22
	v_sub_co_ci_u32_e32 v23, vcc_lo, v25, v23, vcc_lo
	s_mov_b32 s3, exec_lo
	s_delay_alu instid0(VALU_DEP_1) | instskip(SKIP_1) | instid1(VALU_DEP_1)
	v_cmp_gt_i64_e32 vcc_lo, 32, v[22:23]
	v_dual_cndmask_b32 v24, 0, v23 :: v_dual_cndmask_b32 v23, 32, v22
	v_cmpx_lt_i64_e64 v[11:12], v[23:24]
	s_cbranch_execz .LBB63_36
; %bb.35:                               ;   in Loop: Header=BB63_30 Depth=1
	v_dual_mov_b32 v22, s25 :: v_dual_add_nc_u32 v25, 64, v21
	v_mov_b32_e32 v26, s25
	flat_load_b32 v27, v[21:22] glc dlc
	s_waitcnt vmcnt(0)
	flat_load_b32 v25, v[25:26] glc dlc
	s_waitcnt vmcnt(0) lgkmcnt(0)
	v_dual_max_f32 v26, v27, v27 :: v_dual_max_f32 v25, v25, v25
	s_delay_alu instid0(VALU_DEP_1)
	v_max_f32_e32 v25, v26, v25
	flat_store_b32 v[21:22], v25 dlc
	s_waitcnt_vscnt null, 0x0
.LBB63_36:                              ;   in Loop: Header=BB63_30 Depth=1
	s_or_b32 exec_lo, exec_lo, s3
	s_delay_alu instid0(SALU_CYCLE_1)
	s_mov_b32 s3, exec_lo
	v_cmpx_lt_i64_e64 v[13:14], v[23:24]
	s_cbranch_execz .LBB63_38
; %bb.37:                               ;   in Loop: Header=BB63_30 Depth=1
	v_dual_mov_b32 v22, s25 :: v_dual_add_nc_u32 v25, 32, v21
	v_mov_b32_e32 v26, s25
	flat_load_b32 v27, v[21:22] glc dlc
	s_waitcnt vmcnt(0)
	flat_load_b32 v25, v[25:26] glc dlc
	s_waitcnt vmcnt(0) lgkmcnt(0)
	v_dual_max_f32 v26, v27, v27 :: v_dual_max_f32 v25, v25, v25
	s_delay_alu instid0(VALU_DEP_1)
	v_max_f32_e32 v25, v26, v25
	flat_store_b32 v[21:22], v25 dlc
	s_waitcnt_vscnt null, 0x0
.LBB63_38:                              ;   in Loop: Header=BB63_30 Depth=1
	s_or_b32 exec_lo, exec_lo, s3
	s_delay_alu instid0(SALU_CYCLE_1)
	s_mov_b32 s3, exec_lo
	v_cmpx_ge_i64_e64 v[15:16], v[23:24]
	s_xor_b32 s3, exec_lo, s3
; %bb.39:                               ;   in Loop: Header=BB63_30 Depth=1
                                        ; implicit-def: $vgpr21
; %bb.40:                               ;   in Loop: Header=BB63_30 Depth=1
	s_delay_alu instid0(SALU_CYCLE_1)
	s_and_not1_saveexec_b32 s3, s3
	s_cbranch_execz .LBB63_42
; %bb.41:                               ;   in Loop: Header=BB63_30 Depth=1
	v_dual_mov_b32 v22, s25 :: v_dual_add_nc_u32 v25, 16, v21
	v_mov_b32_e32 v26, s25
	flat_load_b32 v27, v[21:22] glc dlc
	s_waitcnt vmcnt(0)
	flat_load_b32 v25, v[25:26] glc dlc
	s_waitcnt vmcnt(0) lgkmcnt(0)
	v_dual_max_f32 v26, v27, v27 :: v_dual_max_f32 v25, v25, v25
	s_delay_alu instid0(VALU_DEP_1)
	v_max_f32_e32 v25, v26, v25
	flat_store_b32 v[21:22], v25 dlc
	s_waitcnt_vscnt null, 0x0
.LBB63_42:                              ;   in Loop: Header=BB63_30 Depth=1
	s_or_b32 exec_lo, exec_lo, s3
	v_lshlrev_b32_e32 v21, 2, v31
	s_mov_b32 s3, exec_lo
	v_cmpx_lt_i64_e64 v[17:18], v[23:24]
	s_cbranch_execz .LBB63_44
; %bb.43:                               ;   in Loop: Header=BB63_30 Depth=1
	s_delay_alu instid0(VALU_DEP_2)
	v_dual_mov_b32 v22, s25 :: v_dual_add_nc_u32 v25, 8, v21
	v_mov_b32_e32 v26, s25
	flat_load_b32 v27, v[21:22] glc dlc
	s_waitcnt vmcnt(0)
	flat_load_b32 v25, v[25:26] glc dlc
	s_waitcnt vmcnt(0) lgkmcnt(0)
	v_dual_max_f32 v26, v27, v27 :: v_dual_max_f32 v25, v25, v25
	s_delay_alu instid0(VALU_DEP_1)
	v_max_f32_e32 v25, v26, v25
	flat_store_b32 v[21:22], v25 dlc
	s_waitcnt_vscnt null, 0x0
.LBB63_44:                              ;   in Loop: Header=BB63_30 Depth=1
	s_or_b32 exec_lo, exec_lo, s3
	s_delay_alu instid0(SALU_CYCLE_1)
	s_mov_b32 s3, exec_lo
	v_cmpx_lt_i64_e64 v[19:20], v[23:24]
	s_cbranch_execz .LBB63_28
; %bb.45:                               ;   in Loop: Header=BB63_30 Depth=1
	v_dual_mov_b32 v22, s25 :: v_dual_add_nc_u32 v23, 4, v21
	v_mov_b32_e32 v24, s25
	flat_load_b32 v25, v[21:22] glc dlc
	s_waitcnt vmcnt(0)
	flat_load_b32 v23, v[23:24] glc dlc
	s_waitcnt vmcnt(0) lgkmcnt(0)
	v_dual_max_f32 v24, v25, v25 :: v_dual_max_f32 v23, v23, v23
	s_delay_alu instid0(VALU_DEP_1)
	v_max_f32_e32 v23, v24, v23
	flat_store_b32 v[21:22], v23 dlc
	s_waitcnt_vscnt null, 0x0
	s_branch .LBB63_28
.LBB63_46:
	v_cmp_lt_i64_e32 vcc_lo, v[7:8], v[5:6]
	v_cmp_eq_u32_e64 s3, 0, v3
	s_mul_i32 s9, s17, s15
	s_mul_hi_u32 s18, s16, s15
	s_mul_i32 s16, s16, s15
	s_waitcnt lgkmcnt(0)
	s_and_b32 s17, s3, vcc_lo
	s_barrier
	buffer_gl0_inv
	s_and_saveexec_b32 s3, s17
	s_cbranch_execz .LBB63_50
; %bb.47:
	s_load_b64 s[0:1], s[0:1], 0x20
	ds_load_b32 v3, v29
	s_waitcnt lgkmcnt(0)
	s_cmp_eq_u64 s[0:1], 0
	s_cbranch_scc1 .LBB63_49
; %bb.48:
	s_load_b32 s0, s[0:1], 0x0
	v_max_f32_e32 v3, v3, v3
	s_waitcnt lgkmcnt(0)
	v_max_f32_e64 v4, s0, s0
	s_delay_alu instid0(VALU_DEP_1)
	v_min_f32_e32 v3, v3, v4
.LBB63_49:
	s_delay_alu instid0(VALU_DEP_1) | instskip(SKIP_2) | instid1(VALU_DEP_2)
	v_div_scale_f32 v4, null, 0x43e00000, 0x43e00000, v3
	v_div_scale_f32 v7, vcc_lo, v3, 0x43e00000, v3
	s_add_i32 s17, s18, s9
	v_rcp_f32_e32 v5, v4
	v_lshlrev_b64 v[1:2], 2, v[1:2]
	s_lshl_b64 s[0:1], s[16:17], 2
	s_delay_alu instid0(SALU_CYCLE_1) | instskip(SKIP_3) | instid1(VALU_DEP_1)
	s_add_u32 s0, s6, s0
	s_addc_u32 s1, s7, s1
	s_waitcnt_depctr 0xfff
	v_fma_f32 v6, -v4, v5, 1.0
	v_fmac_f32_e32 v5, v6, v5
	s_delay_alu instid0(VALU_DEP_1) | instskip(NEXT) | instid1(VALU_DEP_1)
	v_mul_f32_e32 v6, v7, v5
	v_fma_f32 v8, -v4, v6, v7
	s_delay_alu instid0(VALU_DEP_1) | instskip(NEXT) | instid1(VALU_DEP_1)
	v_fmac_f32_e32 v6, v8, v5
	v_fma_f32 v4, -v4, v6, v7
	s_delay_alu instid0(VALU_DEP_1) | instskip(SKIP_2) | instid1(VALU_DEP_3)
	v_div_fmas_f32 v4, v4, v5, v6
	v_add_co_u32 v1, vcc_lo, s0, v1
	v_add_co_ci_u32_e32 v2, vcc_lo, s1, v2, vcc_lo
	v_div_fixup_f32 v3, v4, 0x43e00000, v3
	s_delay_alu instid0(VALU_DEP_1)
	v_max_f32_e32 v3, 0x36924925, v3
	global_store_b32 v[1:2], v3, off
.LBB63_50:
	s_or_b32 exec_lo, exec_lo, s3
	s_waitcnt_vscnt null, 0x0
	s_barrier
	buffer_gl0_inv
	s_and_saveexec_b32 s0, s2
	s_cbranch_execz .LBB63_155
; %bb.51:
	s_mul_i32 s0, s13, s15
	s_mul_hi_u32 s1, s12, s15
	s_mul_i32 s2, s12, s15
	s_add_i32 s1, s1, s0
	s_add_u32 s2, s4, s2
	s_addc_u32 s3, s5, s1
	s_add_i32 s17, s18, s9
	v_mov_b32_e32 v1, 0
	s_lshl_b64 s[0:1], s[16:17], 2
	s_mul_i32 s4, s27, 3
	s_add_u32 s0, s6, s0
	s_addc_u32 s1, s7, s1
	s_lshl_b32 s5, s27, 1
	s_mov_b32 s6, 0
	s_mov_b32 s7, 0x43e00000
	s_add_i32 s9, s27, s27
	s_branch .LBB63_57
.LBB63_52:                              ;   in Loop: Header=BB63_57 Depth=1
	s_or_b32 exec_lo, exec_lo, s17
.LBB63_53:                              ;   in Loop: Header=BB63_57 Depth=1
	s_delay_alu instid0(SALU_CYCLE_1)
	s_or_b32 exec_lo, exec_lo, s16
	v_lshrrev_b32_e32 v6, 24, v12
	v_lshrrev_b32_e32 v3, 24, v3
	v_and_b32_e32 v10, 0x80000000, v4
	v_lshrrev_b32_e32 v9, 24, v9
	v_lshlrev_b32_e32 v5, 24, v5
	v_and_b32_e32 v6, 0x80, v6
	v_and_b32_e32 v3, 0x80, v3
	;; [unrolled: 1-line block ×3, first 2 shown]
	s_delay_alu instid0(VALU_DEP_3) | instskip(NEXT) | instid1(VALU_DEP_3)
	v_and_or_b32 v6, 0xff, v11, v6
	v_and_or_b32 v7, 0xff, v7, v3
	v_lshlrev_b64 v[3:4], 2, v[0:1]
	v_add3_u32 v0, s9, s27, v2
	v_and_or_b32 v8, 0x80, v9, v8
	v_lshlrev_b32_e32 v6, 16, v6
	v_lshlrev_b32_e32 v7, 8, v7
	v_add_co_u32 v2, vcc_lo, s2, v3
	s_delay_alu instid0(VALU_DEP_3) | instskip(SKIP_2) | instid1(VALU_DEP_3)
	v_or3_b32 v5, v10, v5, v6
	v_add_co_ci_u32_e32 v3, vcc_lo, s3, v4, vcc_lo
	v_cmp_le_u32_e32 vcc_lo, s8, v0
	v_or3_b32 v4, v5, v7, v8
	s_or_not1_b32 s16, vcc_lo, exec_lo
	global_store_b32 v[2:3], v4, off
.LBB63_54:                              ;   in Loop: Header=BB63_57 Depth=1
	s_or_b32 exec_lo, exec_lo, s15
	s_delay_alu instid0(SALU_CYCLE_1)
	s_or_not1_b32 s15, s16, exec_lo
.LBB63_55:                              ;   in Loop: Header=BB63_57 Depth=1
	s_or_b32 exec_lo, exec_lo, s13
	s_delay_alu instid0(SALU_CYCLE_1)
	s_or_not1_b32 s13, s15, exec_lo
.LBB63_56:                              ;   in Loop: Header=BB63_57 Depth=1
	s_or_b32 exec_lo, exec_lo, s12
	s_delay_alu instid0(SALU_CYCLE_1) | instskip(NEXT) | instid1(SALU_CYCLE_1)
	s_and_b32 s12, exec_lo, s13
	s_or_b32 s6, s12, s6
	s_delay_alu instid0(SALU_CYCLE_1)
	s_and_not1_b32 exec_lo, exec_lo, s6
	s_cbranch_execz .LBB63_155
.LBB63_57:                              ; =>This Inner Loop Header: Depth=1
	v_lshlrev_b64 v[2:3], 3, v[0:1]
	v_lshrrev_b32_e32 v8, 2, v0
	s_mov_b32 s12, exec_lo
	s_delay_alu instid0(VALU_DEP_2) | instskip(NEXT) | instid1(VALU_DEP_3)
	v_add_co_u32 v4, vcc_lo, s14, v2
	v_add_co_ci_u32_e32 v5, vcc_lo, s26, v3, vcc_lo
	v_add_co_u32 v6, vcc_lo, s10, v2
	v_add_co_ci_u32_e32 v7, vcc_lo, s11, v3, vcc_lo
	global_load_b64 v[2:3], v[4:5], off
	global_load_b64 v[4:5], v[6:7], off
	v_and_b32_e32 v6, 0xffffffc, v8
	global_load_b32 v9, v6, s[0:1]
	s_waitcnt vmcnt(2)
	v_fma_mixlo_f16 v6, v28, v2, 0 op_sel_hi:[0,1,0]
	s_waitcnt vmcnt(1)
	s_delay_alu instid0(VALU_DEP_1) | instskip(NEXT) | instid1(VALU_DEP_1)
	v_mul_f16_e32 v6, v4, v6
	v_cvt_f32_f16_e32 v6, v6
	s_waitcnt vmcnt(0)
	s_delay_alu instid0(VALU_DEP_1) | instskip(SKIP_1) | instid1(VALU_DEP_2)
	v_div_scale_f32 v7, null, v9, v9, v6
	v_div_scale_f32 v11, vcc_lo, v6, v9, v6
	v_rcp_f32_e32 v8, v7
	s_waitcnt_depctr 0xfff
	v_fma_f32 v10, -v7, v8, 1.0
	s_delay_alu instid0(VALU_DEP_1) | instskip(NEXT) | instid1(VALU_DEP_1)
	v_fmac_f32_e32 v8, v10, v8
	v_mul_f32_e32 v10, v11, v8
	s_delay_alu instid0(VALU_DEP_1) | instskip(NEXT) | instid1(VALU_DEP_1)
	v_fma_f32 v12, -v7, v10, v11
	v_fmac_f32_e32 v10, v12, v8
	s_delay_alu instid0(VALU_DEP_1) | instskip(NEXT) | instid1(VALU_DEP_1)
	v_fma_f32 v7, -v7, v10, v11
	v_div_fmas_f32 v7, v7, v8, v10
	s_delay_alu instid0(VALU_DEP_1) | instskip(SKIP_1) | instid1(VALU_DEP_2)
	v_div_fixup_f32 v6, v7, v9, v6
	v_mov_b32_e32 v7, 0x7f
	v_minmax_f32 v8, v6, s7, 0xc3e00000
	v_mov_b32_e32 v6, 0x7f
	s_delay_alu instid0(VALU_DEP_2) | instskip(NEXT) | instid1(VALU_DEP_1)
	v_and_b32_e32 v10, 0x7fffffff, v8
	v_cmpx_gt_u32_e32 0x43f00000, v10
	s_cbranch_execz .LBB63_63
; %bb.58:                               ;   in Loop: Header=BB63_57 Depth=1
	s_mov_b32 s13, exec_lo
                                        ; implicit-def: $vgpr7
	v_cmpx_lt_u32_e32 0x3c7fffff, v10
	s_xor_b32 s13, exec_lo, s13
; %bb.59:                               ;   in Loop: Header=BB63_57 Depth=1
	v_bfe_u32 v7, v8, 20, 1
	s_delay_alu instid0(VALU_DEP_1) | instskip(NEXT) | instid1(VALU_DEP_1)
	v_add3_u32 v7, v8, v7, 0x407ffff
	v_lshrrev_b32_e32 v7, 20, v7
; %bb.60:                               ;   in Loop: Header=BB63_57 Depth=1
	s_and_not1_saveexec_b32 s13, s13
; %bb.61:                               ;   in Loop: Header=BB63_57 Depth=1
	v_add_f32_e64 v7, 0x46800000, |v8|
; %bb.62:                               ;   in Loop: Header=BB63_57 Depth=1
	s_or_b32 exec_lo, exec_lo, s13
.LBB63_63:                              ;   in Loop: Header=BB63_57 Depth=1
	s_delay_alu instid0(SALU_CYCLE_1) | instskip(SKIP_3) | instid1(VALU_DEP_1)
	s_or_b32 exec_lo, exec_lo, s12
	v_lshrrev_b32_e32 v4, 16, v4
	v_fma_mixlo_f16 v2, v28, v2, 0 op_sel:[0,1,0] op_sel_hi:[0,1,0]
	s_mov_b32 s12, exec_lo
	v_mul_f16_e32 v2, v4, v2
	s_delay_alu instid0(VALU_DEP_1) | instskip(NEXT) | instid1(VALU_DEP_1)
	v_cvt_f32_f16_e32 v2, v2
	v_div_scale_f32 v4, null, v9, v9, v2
	s_delay_alu instid0(VALU_DEP_1) | instskip(SKIP_2) | instid1(VALU_DEP_1)
	v_rcp_f32_e32 v10, v4
	s_waitcnt_depctr 0xfff
	v_fma_f32 v11, -v4, v10, 1.0
	v_fmac_f32_e32 v10, v11, v10
	v_div_scale_f32 v11, vcc_lo, v2, v9, v2
	s_delay_alu instid0(VALU_DEP_1) | instskip(NEXT) | instid1(VALU_DEP_1)
	v_mul_f32_e32 v12, v11, v10
	v_fma_f32 v13, -v4, v12, v11
	s_delay_alu instid0(VALU_DEP_1) | instskip(NEXT) | instid1(VALU_DEP_1)
	v_fmac_f32_e32 v12, v13, v10
	v_fma_f32 v4, -v4, v12, v11
	s_delay_alu instid0(VALU_DEP_1) | instskip(NEXT) | instid1(VALU_DEP_1)
	v_div_fmas_f32 v4, v4, v10, v12
	v_div_fixup_f32 v2, v4, v9, v2
	s_delay_alu instid0(VALU_DEP_1) | instskip(NEXT) | instid1(VALU_DEP_1)
	v_minmax_f32 v2, v2, s7, 0xc3e00000
	v_and_b32_e32 v4, 0x7fffffff, v2
	s_delay_alu instid0(VALU_DEP_1)
	v_cmpx_gt_u32_e32 0x43f00000, v4
	s_cbranch_execz .LBB63_69
; %bb.64:                               ;   in Loop: Header=BB63_57 Depth=1
	s_mov_b32 s13, exec_lo
                                        ; implicit-def: $vgpr6
	v_cmpx_lt_u32_e32 0x3c7fffff, v4
	s_xor_b32 s13, exec_lo, s13
; %bb.65:                               ;   in Loop: Header=BB63_57 Depth=1
	v_bfe_u32 v4, v2, 20, 1
	s_delay_alu instid0(VALU_DEP_1) | instskip(NEXT) | instid1(VALU_DEP_1)
	v_add3_u32 v4, v2, v4, 0x407ffff
	v_lshrrev_b32_e32 v6, 20, v4
; %bb.66:                               ;   in Loop: Header=BB63_57 Depth=1
	s_and_not1_saveexec_b32 s13, s13
; %bb.67:                               ;   in Loop: Header=BB63_57 Depth=1
	v_add_f32_e64 v6, 0x46800000, |v2|
; %bb.68:                               ;   in Loop: Header=BB63_57 Depth=1
	s_or_b32 exec_lo, exec_lo, s13
.LBB63_69:                              ;   in Loop: Header=BB63_57 Depth=1
	s_delay_alu instid0(SALU_CYCLE_1) | instskip(SKIP_2) | instid1(VALU_DEP_1)
	s_or_b32 exec_lo, exec_lo, s12
	v_fma_mixlo_f16 v4, v28, v3, 0 op_sel_hi:[0,1,0]
	s_mov_b32 s12, exec_lo
	v_mul_f16_e32 v4, v5, v4
	s_delay_alu instid0(VALU_DEP_1) | instskip(NEXT) | instid1(VALU_DEP_1)
	v_cvt_f32_f16_e32 v4, v4
	v_div_scale_f32 v10, null, v9, v9, v4
	v_div_scale_f32 v13, vcc_lo, v4, v9, v4
	s_delay_alu instid0(VALU_DEP_2) | instskip(SKIP_2) | instid1(VALU_DEP_1)
	v_rcp_f32_e32 v11, v10
	s_waitcnt_depctr 0xfff
	v_fma_f32 v12, -v10, v11, 1.0
	v_fmac_f32_e32 v11, v12, v11
	s_delay_alu instid0(VALU_DEP_1) | instskip(NEXT) | instid1(VALU_DEP_1)
	v_mul_f32_e32 v12, v13, v11
	v_fma_f32 v14, -v10, v12, v13
	s_delay_alu instid0(VALU_DEP_1) | instskip(NEXT) | instid1(VALU_DEP_1)
	v_fmac_f32_e32 v12, v14, v11
	v_fma_f32 v10, -v10, v12, v13
	s_delay_alu instid0(VALU_DEP_1) | instskip(NEXT) | instid1(VALU_DEP_1)
	v_div_fmas_f32 v10, v10, v11, v12
	v_div_fixup_f32 v4, v10, v9, v4
	v_mov_b32_e32 v10, 0x7f
	s_delay_alu instid0(VALU_DEP_2) | instskip(SKIP_1) | instid1(VALU_DEP_2)
	v_minmax_f32 v11, v4, s7, 0xc3e00000
	v_mov_b32_e32 v4, 0x7f
	v_and_b32_e32 v12, 0x7fffffff, v11
	s_delay_alu instid0(VALU_DEP_1)
	v_cmpx_gt_u32_e32 0x43f00000, v12
	s_cbranch_execz .LBB63_75
; %bb.70:                               ;   in Loop: Header=BB63_57 Depth=1
	s_mov_b32 s13, exec_lo
                                        ; implicit-def: $vgpr10
	v_cmpx_lt_u32_e32 0x3c7fffff, v12
	s_xor_b32 s13, exec_lo, s13
; %bb.71:                               ;   in Loop: Header=BB63_57 Depth=1
	v_bfe_u32 v10, v11, 20, 1
	s_delay_alu instid0(VALU_DEP_1) | instskip(NEXT) | instid1(VALU_DEP_1)
	v_add3_u32 v10, v11, v10, 0x407ffff
	v_lshrrev_b32_e32 v10, 20, v10
; %bb.72:                               ;   in Loop: Header=BB63_57 Depth=1
	s_and_not1_saveexec_b32 s13, s13
; %bb.73:                               ;   in Loop: Header=BB63_57 Depth=1
	v_add_f32_e64 v10, 0x46800000, |v11|
; %bb.74:                               ;   in Loop: Header=BB63_57 Depth=1
	s_or_b32 exec_lo, exec_lo, s13
.LBB63_75:                              ;   in Loop: Header=BB63_57 Depth=1
	s_delay_alu instid0(SALU_CYCLE_1) | instskip(SKIP_3) | instid1(VALU_DEP_1)
	s_or_b32 exec_lo, exec_lo, s12
	v_lshrrev_b32_e32 v5, 16, v5
	v_fma_mixlo_f16 v3, v28, v3, 0 op_sel:[0,1,0] op_sel_hi:[0,1,0]
	s_mov_b32 s12, exec_lo
	v_mul_f16_e32 v3, v5, v3
	s_delay_alu instid0(VALU_DEP_1) | instskip(NEXT) | instid1(VALU_DEP_1)
	v_cvt_f32_f16_e32 v3, v3
	v_div_scale_f32 v5, null, v9, v9, v3
	s_delay_alu instid0(VALU_DEP_1) | instskip(SKIP_2) | instid1(VALU_DEP_1)
	v_rcp_f32_e32 v12, v5
	s_waitcnt_depctr 0xfff
	v_fma_f32 v13, -v5, v12, 1.0
	v_fmac_f32_e32 v12, v13, v12
	v_div_scale_f32 v13, vcc_lo, v3, v9, v3
	s_delay_alu instid0(VALU_DEP_1) | instskip(NEXT) | instid1(VALU_DEP_1)
	v_mul_f32_e32 v14, v13, v12
	v_fma_f32 v15, -v5, v14, v13
	s_delay_alu instid0(VALU_DEP_1) | instskip(NEXT) | instid1(VALU_DEP_1)
	v_fmac_f32_e32 v14, v15, v12
	v_fma_f32 v5, -v5, v14, v13
	s_delay_alu instid0(VALU_DEP_1) | instskip(NEXT) | instid1(VALU_DEP_1)
	v_div_fmas_f32 v5, v5, v12, v14
	v_div_fixup_f32 v3, v5, v9, v3
	s_delay_alu instid0(VALU_DEP_1) | instskip(NEXT) | instid1(VALU_DEP_1)
	v_minmax_f32 v3, v3, s7, 0xc3e00000
	v_and_b32_e32 v5, 0x7fffffff, v3
	s_delay_alu instid0(VALU_DEP_1)
	v_cmpx_gt_u32_e32 0x43f00000, v5
	s_cbranch_execz .LBB63_81
; %bb.76:                               ;   in Loop: Header=BB63_57 Depth=1
	s_mov_b32 s13, exec_lo
                                        ; implicit-def: $vgpr4
	v_cmpx_lt_u32_e32 0x3c7fffff, v5
	s_xor_b32 s13, exec_lo, s13
; %bb.77:                               ;   in Loop: Header=BB63_57 Depth=1
	v_bfe_u32 v4, v3, 20, 1
	s_delay_alu instid0(VALU_DEP_1) | instskip(NEXT) | instid1(VALU_DEP_1)
	v_add3_u32 v4, v3, v4, 0x407ffff
	v_lshrrev_b32_e32 v4, 20, v4
; %bb.78:                               ;   in Loop: Header=BB63_57 Depth=1
	s_and_not1_saveexec_b32 s13, s13
; %bb.79:                               ;   in Loop: Header=BB63_57 Depth=1
	v_add_f32_e64 v4, 0x46800000, |v3|
; %bb.80:                               ;   in Loop: Header=BB63_57 Depth=1
	s_or_b32 exec_lo, exec_lo, s13
.LBB63_81:                              ;   in Loop: Header=BB63_57 Depth=1
	s_delay_alu instid0(SALU_CYCLE_1)
	s_or_b32 exec_lo, exec_lo, s12
	v_lshrrev_b32_e32 v5, 24, v11
	v_lshrrev_b32_e32 v2, 24, v2
	;; [unrolled: 1-line block ×3, first 2 shown]
	v_lshlrev_b32_e32 v9, 24, v4
	v_and_b32_e32 v7, 0xff, v7
	v_and_b32_e32 v5, 0x80, v5
	;; [unrolled: 1-line block ×3, first 2 shown]
	s_mov_b32 s13, -1
	s_mov_b32 s12, exec_lo
	s_delay_alu instid0(VALU_DEP_2)
	v_and_or_b32 v5, 0xff, v10, v5
	v_and_b32_e32 v10, 0x80000000, v3
	v_and_or_b32 v2, 0xff, v6, v2
	v_lshlrev_b64 v[3:4], 2, v[0:1]
	v_and_or_b32 v6, 0x80, v8, v7
	v_lshlrev_b32_e32 v5, 16, v5
	s_delay_alu instid0(VALU_DEP_4) | instskip(SKIP_2) | instid1(VALU_DEP_4)
	v_lshlrev_b32_e32 v7, 8, v2
	v_add_nc_u32_e32 v2, s27, v0
	v_add_co_u32 v3, vcc_lo, s2, v3
	v_or3_b32 v5, v10, v9, v5
	v_add_co_ci_u32_e32 v4, vcc_lo, s3, v4, vcc_lo
	s_delay_alu instid0(VALU_DEP_2)
	v_or3_b32 v5, v5, v7, v6
	global_store_b32 v[3:4], v5, off
	v_cmpx_gt_u32_e64 s8, v2
	s_cbranch_execz .LBB63_56
; %bb.82:                               ;   in Loop: Header=BB63_57 Depth=1
	v_lshrrev_b32_e32 v10, 2, v2
	v_mov_b32_e32 v3, v1
	s_mov_b32 s13, exec_lo
	s_delay_alu instid0(VALU_DEP_1) | instskip(NEXT) | instid1(VALU_DEP_1)
	v_lshlrev_b64 v[4:5], 3, v[2:3]
	v_add_co_u32 v6, vcc_lo, s14, v4
	s_delay_alu instid0(VALU_DEP_2)
	v_add_co_ci_u32_e32 v7, vcc_lo, s26, v5, vcc_lo
	v_add_co_u32 v8, vcc_lo, s10, v4
	v_add_co_ci_u32_e32 v9, vcc_lo, s11, v5, vcc_lo
	global_load_b64 v[4:5], v[6:7], off
	global_load_b64 v[6:7], v[8:9], off
	v_and_b32_e32 v8, 0xffffffc, v10
	global_load_b32 v11, v8, s[0:1]
	s_waitcnt vmcnt(2)
	v_fma_mixlo_f16 v8, v28, v4, 0 op_sel_hi:[0,1,0]
	s_waitcnt vmcnt(1)
	s_delay_alu instid0(VALU_DEP_1) | instskip(NEXT) | instid1(VALU_DEP_1)
	v_mul_f16_e32 v8, v6, v8
	v_cvt_f32_f16_e32 v8, v8
	s_waitcnt vmcnt(0)
	s_delay_alu instid0(VALU_DEP_1) | instskip(SKIP_1) | instid1(VALU_DEP_2)
	v_div_scale_f32 v9, null, v11, v11, v8
	v_div_scale_f32 v13, vcc_lo, v8, v11, v8
	v_rcp_f32_e32 v10, v9
	s_waitcnt_depctr 0xfff
	v_fma_f32 v12, -v9, v10, 1.0
	s_delay_alu instid0(VALU_DEP_1) | instskip(NEXT) | instid1(VALU_DEP_1)
	v_fmac_f32_e32 v10, v12, v10
	v_mul_f32_e32 v12, v13, v10
	s_delay_alu instid0(VALU_DEP_1) | instskip(NEXT) | instid1(VALU_DEP_1)
	v_fma_f32 v14, -v9, v12, v13
	v_fmac_f32_e32 v12, v14, v10
	s_delay_alu instid0(VALU_DEP_1) | instskip(NEXT) | instid1(VALU_DEP_1)
	v_fma_f32 v9, -v9, v12, v13
	v_div_fmas_f32 v9, v9, v10, v12
	s_delay_alu instid0(VALU_DEP_1) | instskip(SKIP_1) | instid1(VALU_DEP_2)
	v_div_fixup_f32 v8, v9, v11, v8
	v_mov_b32_e32 v9, 0x7f
	v_minmax_f32 v10, v8, s7, 0xc3e00000
	v_mov_b32_e32 v8, 0x7f
	s_delay_alu instid0(VALU_DEP_2) | instskip(NEXT) | instid1(VALU_DEP_1)
	v_and_b32_e32 v12, 0x7fffffff, v10
	v_cmpx_gt_u32_e32 0x43f00000, v12
	s_cbranch_execz .LBB63_88
; %bb.83:                               ;   in Loop: Header=BB63_57 Depth=1
	s_mov_b32 s15, exec_lo
                                        ; implicit-def: $vgpr9
	v_cmpx_lt_u32_e32 0x3c7fffff, v12
	s_xor_b32 s15, exec_lo, s15
; %bb.84:                               ;   in Loop: Header=BB63_57 Depth=1
	v_bfe_u32 v9, v10, 20, 1
	s_delay_alu instid0(VALU_DEP_1) | instskip(NEXT) | instid1(VALU_DEP_1)
	v_add3_u32 v9, v10, v9, 0x407ffff
	v_lshrrev_b32_e32 v9, 20, v9
; %bb.85:                               ;   in Loop: Header=BB63_57 Depth=1
	s_and_not1_saveexec_b32 s15, s15
; %bb.86:                               ;   in Loop: Header=BB63_57 Depth=1
	v_add_f32_e64 v9, 0x46800000, |v10|
; %bb.87:                               ;   in Loop: Header=BB63_57 Depth=1
	s_or_b32 exec_lo, exec_lo, s15
.LBB63_88:                              ;   in Loop: Header=BB63_57 Depth=1
	s_delay_alu instid0(SALU_CYCLE_1) | instskip(SKIP_3) | instid1(VALU_DEP_1)
	s_or_b32 exec_lo, exec_lo, s13
	v_lshrrev_b32_e32 v6, 16, v6
	v_fma_mixlo_f16 v4, v28, v4, 0 op_sel:[0,1,0] op_sel_hi:[0,1,0]
	s_mov_b32 s13, exec_lo
	v_mul_f16_e32 v4, v6, v4
	s_delay_alu instid0(VALU_DEP_1) | instskip(NEXT) | instid1(VALU_DEP_1)
	v_cvt_f32_f16_e32 v4, v4
	v_div_scale_f32 v6, null, v11, v11, v4
	s_delay_alu instid0(VALU_DEP_1) | instskip(SKIP_2) | instid1(VALU_DEP_1)
	v_rcp_f32_e32 v12, v6
	s_waitcnt_depctr 0xfff
	v_fma_f32 v13, -v6, v12, 1.0
	v_fmac_f32_e32 v12, v13, v12
	v_div_scale_f32 v13, vcc_lo, v4, v11, v4
	s_delay_alu instid0(VALU_DEP_1) | instskip(NEXT) | instid1(VALU_DEP_1)
	v_mul_f32_e32 v14, v13, v12
	v_fma_f32 v15, -v6, v14, v13
	s_delay_alu instid0(VALU_DEP_1) | instskip(NEXT) | instid1(VALU_DEP_1)
	v_fmac_f32_e32 v14, v15, v12
	v_fma_f32 v6, -v6, v14, v13
	s_delay_alu instid0(VALU_DEP_1) | instskip(NEXT) | instid1(VALU_DEP_1)
	v_div_fmas_f32 v6, v6, v12, v14
	v_div_fixup_f32 v4, v6, v11, v4
	s_delay_alu instid0(VALU_DEP_1) | instskip(NEXT) | instid1(VALU_DEP_1)
	v_minmax_f32 v4, v4, s7, 0xc3e00000
	v_and_b32_e32 v6, 0x7fffffff, v4
	s_delay_alu instid0(VALU_DEP_1)
	v_cmpx_gt_u32_e32 0x43f00000, v6
	s_cbranch_execz .LBB63_94
; %bb.89:                               ;   in Loop: Header=BB63_57 Depth=1
	s_mov_b32 s15, exec_lo
                                        ; implicit-def: $vgpr8
	v_cmpx_lt_u32_e32 0x3c7fffff, v6
	s_xor_b32 s15, exec_lo, s15
; %bb.90:                               ;   in Loop: Header=BB63_57 Depth=1
	v_bfe_u32 v6, v4, 20, 1
	s_delay_alu instid0(VALU_DEP_1) | instskip(NEXT) | instid1(VALU_DEP_1)
	v_add3_u32 v6, v4, v6, 0x407ffff
	v_lshrrev_b32_e32 v8, 20, v6
; %bb.91:                               ;   in Loop: Header=BB63_57 Depth=1
	s_and_not1_saveexec_b32 s15, s15
; %bb.92:                               ;   in Loop: Header=BB63_57 Depth=1
	v_add_f32_e64 v8, 0x46800000, |v4|
; %bb.93:                               ;   in Loop: Header=BB63_57 Depth=1
	s_or_b32 exec_lo, exec_lo, s15
.LBB63_94:                              ;   in Loop: Header=BB63_57 Depth=1
	s_delay_alu instid0(SALU_CYCLE_1) | instskip(SKIP_2) | instid1(VALU_DEP_1)
	s_or_b32 exec_lo, exec_lo, s13
	v_fma_mixlo_f16 v6, v28, v5, 0 op_sel_hi:[0,1,0]
	s_mov_b32 s13, exec_lo
	v_mul_f16_e32 v6, v7, v6
	s_delay_alu instid0(VALU_DEP_1) | instskip(NEXT) | instid1(VALU_DEP_1)
	v_cvt_f32_f16_e32 v6, v6
	v_div_scale_f32 v12, null, v11, v11, v6
	v_div_scale_f32 v15, vcc_lo, v6, v11, v6
	s_delay_alu instid0(VALU_DEP_2) | instskip(SKIP_2) | instid1(VALU_DEP_1)
	v_rcp_f32_e32 v13, v12
	s_waitcnt_depctr 0xfff
	v_fma_f32 v14, -v12, v13, 1.0
	v_fmac_f32_e32 v13, v14, v13
	s_delay_alu instid0(VALU_DEP_1) | instskip(NEXT) | instid1(VALU_DEP_1)
	v_mul_f32_e32 v14, v15, v13
	v_fma_f32 v16, -v12, v14, v15
	s_delay_alu instid0(VALU_DEP_1) | instskip(NEXT) | instid1(VALU_DEP_1)
	v_fmac_f32_e32 v14, v16, v13
	v_fma_f32 v12, -v12, v14, v15
	s_delay_alu instid0(VALU_DEP_1) | instskip(NEXT) | instid1(VALU_DEP_1)
	v_div_fmas_f32 v12, v12, v13, v14
	v_div_fixup_f32 v6, v12, v11, v6
	v_mov_b32_e32 v12, 0x7f
	s_delay_alu instid0(VALU_DEP_2) | instskip(SKIP_1) | instid1(VALU_DEP_2)
	v_minmax_f32 v13, v6, s7, 0xc3e00000
	v_mov_b32_e32 v6, 0x7f
	v_and_b32_e32 v14, 0x7fffffff, v13
	s_delay_alu instid0(VALU_DEP_1)
	v_cmpx_gt_u32_e32 0x43f00000, v14
	s_cbranch_execz .LBB63_100
; %bb.95:                               ;   in Loop: Header=BB63_57 Depth=1
	s_mov_b32 s15, exec_lo
                                        ; implicit-def: $vgpr12
	v_cmpx_lt_u32_e32 0x3c7fffff, v14
	s_xor_b32 s15, exec_lo, s15
; %bb.96:                               ;   in Loop: Header=BB63_57 Depth=1
	v_bfe_u32 v12, v13, 20, 1
	s_delay_alu instid0(VALU_DEP_1) | instskip(NEXT) | instid1(VALU_DEP_1)
	v_add3_u32 v12, v13, v12, 0x407ffff
	v_lshrrev_b32_e32 v12, 20, v12
; %bb.97:                               ;   in Loop: Header=BB63_57 Depth=1
	s_and_not1_saveexec_b32 s15, s15
; %bb.98:                               ;   in Loop: Header=BB63_57 Depth=1
	v_add_f32_e64 v12, 0x46800000, |v13|
; %bb.99:                               ;   in Loop: Header=BB63_57 Depth=1
	s_or_b32 exec_lo, exec_lo, s15
.LBB63_100:                             ;   in Loop: Header=BB63_57 Depth=1
	s_delay_alu instid0(SALU_CYCLE_1) | instskip(SKIP_3) | instid1(VALU_DEP_1)
	s_or_b32 exec_lo, exec_lo, s13
	v_lshrrev_b32_e32 v7, 16, v7
	v_fma_mixlo_f16 v5, v28, v5, 0 op_sel:[0,1,0] op_sel_hi:[0,1,0]
	s_mov_b32 s13, exec_lo
	v_mul_f16_e32 v5, v7, v5
	s_delay_alu instid0(VALU_DEP_1) | instskip(NEXT) | instid1(VALU_DEP_1)
	v_cvt_f32_f16_e32 v5, v5
	v_div_scale_f32 v7, null, v11, v11, v5
	s_delay_alu instid0(VALU_DEP_1) | instskip(SKIP_2) | instid1(VALU_DEP_1)
	v_rcp_f32_e32 v14, v7
	s_waitcnt_depctr 0xfff
	v_fma_f32 v15, -v7, v14, 1.0
	v_fmac_f32_e32 v14, v15, v14
	v_div_scale_f32 v15, vcc_lo, v5, v11, v5
	s_delay_alu instid0(VALU_DEP_1) | instskip(NEXT) | instid1(VALU_DEP_1)
	v_mul_f32_e32 v16, v15, v14
	v_fma_f32 v17, -v7, v16, v15
	s_delay_alu instid0(VALU_DEP_1) | instskip(NEXT) | instid1(VALU_DEP_1)
	v_fmac_f32_e32 v16, v17, v14
	v_fma_f32 v7, -v7, v16, v15
	s_delay_alu instid0(VALU_DEP_1) | instskip(NEXT) | instid1(VALU_DEP_1)
	v_div_fmas_f32 v7, v7, v14, v16
	v_div_fixup_f32 v5, v7, v11, v5
	s_delay_alu instid0(VALU_DEP_1) | instskip(NEXT) | instid1(VALU_DEP_1)
	v_minmax_f32 v5, v5, s7, 0xc3e00000
	v_and_b32_e32 v7, 0x7fffffff, v5
	s_delay_alu instid0(VALU_DEP_1)
	v_cmpx_gt_u32_e32 0x43f00000, v7
	s_cbranch_execz .LBB63_106
; %bb.101:                              ;   in Loop: Header=BB63_57 Depth=1
	s_mov_b32 s15, exec_lo
                                        ; implicit-def: $vgpr6
	v_cmpx_lt_u32_e32 0x3c7fffff, v7
	s_xor_b32 s15, exec_lo, s15
; %bb.102:                              ;   in Loop: Header=BB63_57 Depth=1
	v_bfe_u32 v6, v5, 20, 1
	s_delay_alu instid0(VALU_DEP_1) | instskip(NEXT) | instid1(VALU_DEP_1)
	v_add3_u32 v6, v5, v6, 0x407ffff
	v_lshrrev_b32_e32 v6, 20, v6
; %bb.103:                              ;   in Loop: Header=BB63_57 Depth=1
	s_and_not1_saveexec_b32 s15, s15
; %bb.104:                              ;   in Loop: Header=BB63_57 Depth=1
	v_add_f32_e64 v6, 0x46800000, |v5|
; %bb.105:                              ;   in Loop: Header=BB63_57 Depth=1
	s_or_b32 exec_lo, exec_lo, s15
.LBB63_106:                             ;   in Loop: Header=BB63_57 Depth=1
	s_delay_alu instid0(SALU_CYCLE_1)
	s_or_b32 exec_lo, exec_lo, s13
	v_lshrrev_b32_e32 v7, 24, v13
	v_lshrrev_b32_e32 v4, 24, v4
	;; [unrolled: 1-line block ×3, first 2 shown]
	v_lshlrev_b32_e32 v6, 24, v6
	v_and_b32_e32 v11, 0x80000000, v5
	v_and_b32_e32 v7, 0x80, v7
	;; [unrolled: 1-line block ×4, first 2 shown]
	s_mov_b32 s15, -1
	s_mov_b32 s13, exec_lo
	v_and_or_b32 v7, 0xff, v12, v7
	v_and_or_b32 v8, 0xff, v8, v4
	v_lshlrev_b64 v[4:5], 2, v[2:3]
	v_and_or_b32 v9, 0x80, v10, v9
	v_add_nc_u32_e32 v3, s5, v0
	v_lshlrev_b32_e32 v7, 16, v7
	v_lshlrev_b32_e32 v8, 8, v8
	v_add_co_u32 v4, vcc_lo, s2, v4
	s_delay_alu instid0(VALU_DEP_3) | instskip(SKIP_1) | instid1(VALU_DEP_2)
	v_or3_b32 v6, v11, v6, v7
	v_add_co_ci_u32_e32 v5, vcc_lo, s3, v5, vcc_lo
	v_or3_b32 v6, v6, v8, v9
	global_store_b32 v[4:5], v6, off
	v_cmpx_gt_u32_e64 s8, v3
	s_cbranch_execz .LBB63_55
; %bb.107:                              ;   in Loop: Header=BB63_57 Depth=1
	v_lshrrev_b32_e32 v11, 2, v3
	v_mov_b32_e32 v4, v1
	s_mov_b32 s15, exec_lo
	s_delay_alu instid0(VALU_DEP_1) | instskip(NEXT) | instid1(VALU_DEP_1)
	v_lshlrev_b64 v[5:6], 3, v[3:4]
	v_add_co_u32 v7, vcc_lo, s14, v5
	s_delay_alu instid0(VALU_DEP_2)
	v_add_co_ci_u32_e32 v8, vcc_lo, s26, v6, vcc_lo
	v_add_co_u32 v9, vcc_lo, s10, v5
	v_add_co_ci_u32_e32 v10, vcc_lo, s11, v6, vcc_lo
	global_load_b64 v[5:6], v[7:8], off
	global_load_b64 v[7:8], v[9:10], off
	v_and_b32_e32 v9, 0xffffffc, v11
	global_load_b32 v12, v9, s[0:1]
	s_waitcnt vmcnt(2)
	v_fma_mixlo_f16 v9, v28, v5, 0 op_sel_hi:[0,1,0]
	s_waitcnt vmcnt(1)
	s_delay_alu instid0(VALU_DEP_1) | instskip(NEXT) | instid1(VALU_DEP_1)
	v_mul_f16_e32 v9, v7, v9
	v_cvt_f32_f16_e32 v9, v9
	s_waitcnt vmcnt(0)
	s_delay_alu instid0(VALU_DEP_1) | instskip(SKIP_1) | instid1(VALU_DEP_2)
	v_div_scale_f32 v10, null, v12, v12, v9
	v_div_scale_f32 v14, vcc_lo, v9, v12, v9
	v_rcp_f32_e32 v11, v10
	s_waitcnt_depctr 0xfff
	v_fma_f32 v13, -v10, v11, 1.0
	s_delay_alu instid0(VALU_DEP_1) | instskip(NEXT) | instid1(VALU_DEP_1)
	v_fmac_f32_e32 v11, v13, v11
	v_mul_f32_e32 v13, v14, v11
	s_delay_alu instid0(VALU_DEP_1) | instskip(NEXT) | instid1(VALU_DEP_1)
	v_fma_f32 v15, -v10, v13, v14
	v_fmac_f32_e32 v13, v15, v11
	s_delay_alu instid0(VALU_DEP_1) | instskip(NEXT) | instid1(VALU_DEP_1)
	v_fma_f32 v10, -v10, v13, v14
	v_div_fmas_f32 v10, v10, v11, v13
	s_delay_alu instid0(VALU_DEP_1) | instskip(SKIP_1) | instid1(VALU_DEP_2)
	v_div_fixup_f32 v9, v10, v12, v9
	v_mov_b32_e32 v10, 0x7f
	v_minmax_f32 v11, v9, s7, 0xc3e00000
	v_mov_b32_e32 v9, 0x7f
	s_delay_alu instid0(VALU_DEP_2) | instskip(NEXT) | instid1(VALU_DEP_1)
	v_and_b32_e32 v13, 0x7fffffff, v11
	v_cmpx_gt_u32_e32 0x43f00000, v13
	s_cbranch_execz .LBB63_113
; %bb.108:                              ;   in Loop: Header=BB63_57 Depth=1
	s_mov_b32 s16, exec_lo
                                        ; implicit-def: $vgpr10
	v_cmpx_lt_u32_e32 0x3c7fffff, v13
	s_xor_b32 s16, exec_lo, s16
; %bb.109:                              ;   in Loop: Header=BB63_57 Depth=1
	v_bfe_u32 v10, v11, 20, 1
	s_delay_alu instid0(VALU_DEP_1) | instskip(NEXT) | instid1(VALU_DEP_1)
	v_add3_u32 v10, v11, v10, 0x407ffff
	v_lshrrev_b32_e32 v10, 20, v10
; %bb.110:                              ;   in Loop: Header=BB63_57 Depth=1
	s_and_not1_saveexec_b32 s16, s16
; %bb.111:                              ;   in Loop: Header=BB63_57 Depth=1
	v_add_f32_e64 v10, 0x46800000, |v11|
; %bb.112:                              ;   in Loop: Header=BB63_57 Depth=1
	s_or_b32 exec_lo, exec_lo, s16
.LBB63_113:                             ;   in Loop: Header=BB63_57 Depth=1
	s_delay_alu instid0(SALU_CYCLE_1) | instskip(SKIP_3) | instid1(VALU_DEP_1)
	s_or_b32 exec_lo, exec_lo, s15
	v_lshrrev_b32_e32 v7, 16, v7
	v_fma_mixlo_f16 v5, v28, v5, 0 op_sel:[0,1,0] op_sel_hi:[0,1,0]
	s_mov_b32 s15, exec_lo
	v_mul_f16_e32 v5, v7, v5
	s_delay_alu instid0(VALU_DEP_1) | instskip(NEXT) | instid1(VALU_DEP_1)
	v_cvt_f32_f16_e32 v5, v5
	v_div_scale_f32 v7, null, v12, v12, v5
	s_delay_alu instid0(VALU_DEP_1) | instskip(SKIP_2) | instid1(VALU_DEP_1)
	v_rcp_f32_e32 v13, v7
	s_waitcnt_depctr 0xfff
	v_fma_f32 v14, -v7, v13, 1.0
	v_fmac_f32_e32 v13, v14, v13
	v_div_scale_f32 v14, vcc_lo, v5, v12, v5
	s_delay_alu instid0(VALU_DEP_1) | instskip(NEXT) | instid1(VALU_DEP_1)
	v_mul_f32_e32 v15, v14, v13
	v_fma_f32 v16, -v7, v15, v14
	s_delay_alu instid0(VALU_DEP_1) | instskip(NEXT) | instid1(VALU_DEP_1)
	v_fmac_f32_e32 v15, v16, v13
	v_fma_f32 v7, -v7, v15, v14
	s_delay_alu instid0(VALU_DEP_1) | instskip(NEXT) | instid1(VALU_DEP_1)
	v_div_fmas_f32 v7, v7, v13, v15
	v_div_fixup_f32 v5, v7, v12, v5
	s_delay_alu instid0(VALU_DEP_1) | instskip(NEXT) | instid1(VALU_DEP_1)
	v_minmax_f32 v5, v5, s7, 0xc3e00000
	v_and_b32_e32 v7, 0x7fffffff, v5
	s_delay_alu instid0(VALU_DEP_1)
	v_cmpx_gt_u32_e32 0x43f00000, v7
	s_cbranch_execz .LBB63_119
; %bb.114:                              ;   in Loop: Header=BB63_57 Depth=1
	s_mov_b32 s16, exec_lo
                                        ; implicit-def: $vgpr9
	v_cmpx_lt_u32_e32 0x3c7fffff, v7
	s_xor_b32 s16, exec_lo, s16
; %bb.115:                              ;   in Loop: Header=BB63_57 Depth=1
	v_bfe_u32 v7, v5, 20, 1
	s_delay_alu instid0(VALU_DEP_1) | instskip(NEXT) | instid1(VALU_DEP_1)
	v_add3_u32 v7, v5, v7, 0x407ffff
	v_lshrrev_b32_e32 v9, 20, v7
; %bb.116:                              ;   in Loop: Header=BB63_57 Depth=1
	s_and_not1_saveexec_b32 s16, s16
; %bb.117:                              ;   in Loop: Header=BB63_57 Depth=1
	v_add_f32_e64 v9, 0x46800000, |v5|
; %bb.118:                              ;   in Loop: Header=BB63_57 Depth=1
	s_or_b32 exec_lo, exec_lo, s16
.LBB63_119:                             ;   in Loop: Header=BB63_57 Depth=1
	s_delay_alu instid0(SALU_CYCLE_1) | instskip(SKIP_2) | instid1(VALU_DEP_1)
	s_or_b32 exec_lo, exec_lo, s15
	v_fma_mixlo_f16 v7, v28, v6, 0 op_sel_hi:[0,1,0]
	s_mov_b32 s15, exec_lo
	v_mul_f16_e32 v7, v8, v7
	s_delay_alu instid0(VALU_DEP_1) | instskip(NEXT) | instid1(VALU_DEP_1)
	v_cvt_f32_f16_e32 v7, v7
	v_div_scale_f32 v13, null, v12, v12, v7
	v_div_scale_f32 v16, vcc_lo, v7, v12, v7
	s_delay_alu instid0(VALU_DEP_2) | instskip(SKIP_2) | instid1(VALU_DEP_1)
	v_rcp_f32_e32 v14, v13
	s_waitcnt_depctr 0xfff
	v_fma_f32 v15, -v13, v14, 1.0
	v_fmac_f32_e32 v14, v15, v14
	s_delay_alu instid0(VALU_DEP_1) | instskip(NEXT) | instid1(VALU_DEP_1)
	v_mul_f32_e32 v15, v16, v14
	v_fma_f32 v17, -v13, v15, v16
	s_delay_alu instid0(VALU_DEP_1) | instskip(NEXT) | instid1(VALU_DEP_1)
	v_fmac_f32_e32 v15, v17, v14
	v_fma_f32 v13, -v13, v15, v16
	s_delay_alu instid0(VALU_DEP_1) | instskip(NEXT) | instid1(VALU_DEP_1)
	v_div_fmas_f32 v13, v13, v14, v15
	v_div_fixup_f32 v7, v13, v12, v7
	v_mov_b32_e32 v13, 0x7f
	s_delay_alu instid0(VALU_DEP_2) | instskip(SKIP_1) | instid1(VALU_DEP_2)
	v_minmax_f32 v14, v7, s7, 0xc3e00000
	v_mov_b32_e32 v7, 0x7f
	v_and_b32_e32 v15, 0x7fffffff, v14
	s_delay_alu instid0(VALU_DEP_1)
	v_cmpx_gt_u32_e32 0x43f00000, v15
	s_cbranch_execz .LBB63_125
; %bb.120:                              ;   in Loop: Header=BB63_57 Depth=1
	s_mov_b32 s16, exec_lo
                                        ; implicit-def: $vgpr13
	v_cmpx_lt_u32_e32 0x3c7fffff, v15
	s_xor_b32 s16, exec_lo, s16
; %bb.121:                              ;   in Loop: Header=BB63_57 Depth=1
	v_bfe_u32 v13, v14, 20, 1
	s_delay_alu instid0(VALU_DEP_1) | instskip(NEXT) | instid1(VALU_DEP_1)
	v_add3_u32 v13, v14, v13, 0x407ffff
	v_lshrrev_b32_e32 v13, 20, v13
; %bb.122:                              ;   in Loop: Header=BB63_57 Depth=1
	s_and_not1_saveexec_b32 s16, s16
; %bb.123:                              ;   in Loop: Header=BB63_57 Depth=1
	v_add_f32_e64 v13, 0x46800000, |v14|
; %bb.124:                              ;   in Loop: Header=BB63_57 Depth=1
	s_or_b32 exec_lo, exec_lo, s16
.LBB63_125:                             ;   in Loop: Header=BB63_57 Depth=1
	s_delay_alu instid0(SALU_CYCLE_1) | instskip(SKIP_3) | instid1(VALU_DEP_1)
	s_or_b32 exec_lo, exec_lo, s15
	v_lshrrev_b32_e32 v8, 16, v8
	v_fma_mixlo_f16 v6, v28, v6, 0 op_sel:[0,1,0] op_sel_hi:[0,1,0]
	s_mov_b32 s15, exec_lo
	v_mul_f16_e32 v6, v8, v6
	s_delay_alu instid0(VALU_DEP_1) | instskip(NEXT) | instid1(VALU_DEP_1)
	v_cvt_f32_f16_e32 v6, v6
	v_div_scale_f32 v8, null, v12, v12, v6
	s_delay_alu instid0(VALU_DEP_1) | instskip(SKIP_2) | instid1(VALU_DEP_1)
	v_rcp_f32_e32 v15, v8
	s_waitcnt_depctr 0xfff
	v_fma_f32 v16, -v8, v15, 1.0
	v_fmac_f32_e32 v15, v16, v15
	v_div_scale_f32 v16, vcc_lo, v6, v12, v6
	s_delay_alu instid0(VALU_DEP_1) | instskip(NEXT) | instid1(VALU_DEP_1)
	v_mul_f32_e32 v17, v16, v15
	v_fma_f32 v18, -v8, v17, v16
	s_delay_alu instid0(VALU_DEP_1) | instskip(NEXT) | instid1(VALU_DEP_1)
	v_fmac_f32_e32 v17, v18, v15
	v_fma_f32 v8, -v8, v17, v16
	s_delay_alu instid0(VALU_DEP_1) | instskip(NEXT) | instid1(VALU_DEP_1)
	v_div_fmas_f32 v8, v8, v15, v17
	v_div_fixup_f32 v6, v8, v12, v6
	s_delay_alu instid0(VALU_DEP_1) | instskip(NEXT) | instid1(VALU_DEP_1)
	v_minmax_f32 v6, v6, s7, 0xc3e00000
	v_and_b32_e32 v8, 0x7fffffff, v6
	s_delay_alu instid0(VALU_DEP_1)
	v_cmpx_gt_u32_e32 0x43f00000, v8
	s_cbranch_execz .LBB63_131
; %bb.126:                              ;   in Loop: Header=BB63_57 Depth=1
	s_mov_b32 s16, exec_lo
                                        ; implicit-def: $vgpr7
	v_cmpx_lt_u32_e32 0x3c7fffff, v8
	s_xor_b32 s16, exec_lo, s16
; %bb.127:                              ;   in Loop: Header=BB63_57 Depth=1
	v_bfe_u32 v7, v6, 20, 1
	s_delay_alu instid0(VALU_DEP_1) | instskip(NEXT) | instid1(VALU_DEP_1)
	v_add3_u32 v7, v6, v7, 0x407ffff
	v_lshrrev_b32_e32 v7, 20, v7
; %bb.128:                              ;   in Loop: Header=BB63_57 Depth=1
	s_and_not1_saveexec_b32 s16, s16
; %bb.129:                              ;   in Loop: Header=BB63_57 Depth=1
	v_add_f32_e64 v7, 0x46800000, |v6|
; %bb.130:                              ;   in Loop: Header=BB63_57 Depth=1
	s_or_b32 exec_lo, exec_lo, s16
.LBB63_131:                             ;   in Loop: Header=BB63_57 Depth=1
	s_delay_alu instid0(SALU_CYCLE_1)
	s_or_b32 exec_lo, exec_lo, s15
	v_lshrrev_b32_e32 v8, 24, v14
	v_lshrrev_b32_e32 v5, 24, v5
	;; [unrolled: 1-line block ×3, first 2 shown]
	v_lshlrev_b32_e32 v7, 24, v7
	v_and_b32_e32 v6, 0x80000000, v6
	v_and_b32_e32 v8, 0x80, v8
	;; [unrolled: 1-line block ×4, first 2 shown]
	v_lshlrev_b64 v[3:4], 2, v[3:4]
	v_add_nc_u32_e32 v0, s4, v0
	v_and_or_b32 v8, 0xff, v13, v8
	v_and_or_b32 v5, 0xff, v9, v5
	;; [unrolled: 1-line block ×3, first 2 shown]
	s_mov_b32 s16, -1
	v_add_co_u32 v3, vcc_lo, s2, v3
	v_lshlrev_b32_e32 v8, 16, v8
	v_lshlrev_b32_e32 v5, 8, v5
	v_add_co_ci_u32_e32 v4, vcc_lo, s3, v4, vcc_lo
	s_mov_b32 s15, exec_lo
	s_delay_alu instid0(VALU_DEP_3) | instskip(NEXT) | instid1(VALU_DEP_1)
	v_or3_b32 v6, v6, v7, v8
	v_or3_b32 v5, v6, v5, v9
	global_store_b32 v[3:4], v5, off
	v_cmpx_gt_u32_e64 s8, v0
	s_cbranch_execz .LBB63_54
; %bb.132:                              ;   in Loop: Header=BB63_57 Depth=1
	v_lshlrev_b64 v[3:4], 3, v[0:1]
	v_lshrrev_b32_e32 v9, 2, v0
	s_mov_b32 s16, exec_lo
	s_delay_alu instid0(VALU_DEP_2) | instskip(NEXT) | instid1(VALU_DEP_3)
	v_add_co_u32 v5, vcc_lo, s14, v3
	v_add_co_ci_u32_e32 v6, vcc_lo, s26, v4, vcc_lo
	v_add_co_u32 v7, vcc_lo, s10, v3
	v_add_co_ci_u32_e32 v8, vcc_lo, s11, v4, vcc_lo
	global_load_b64 v[3:4], v[5:6], off
	global_load_b64 v[5:6], v[7:8], off
	v_and_b32_e32 v7, 0xffffffc, v9
	global_load_b32 v10, v7, s[0:1]
	s_waitcnt vmcnt(2)
	v_fma_mixlo_f16 v7, v28, v3, 0 op_sel_hi:[0,1,0]
	s_waitcnt vmcnt(1)
	s_delay_alu instid0(VALU_DEP_1) | instskip(NEXT) | instid1(VALU_DEP_1)
	v_mul_f16_e32 v7, v5, v7
	v_cvt_f32_f16_e32 v7, v7
	s_waitcnt vmcnt(0)
	s_delay_alu instid0(VALU_DEP_1) | instskip(SKIP_1) | instid1(VALU_DEP_2)
	v_div_scale_f32 v8, null, v10, v10, v7
	v_div_scale_f32 v12, vcc_lo, v7, v10, v7
	v_rcp_f32_e32 v9, v8
	s_waitcnt_depctr 0xfff
	v_fma_f32 v11, -v8, v9, 1.0
	s_delay_alu instid0(VALU_DEP_1) | instskip(NEXT) | instid1(VALU_DEP_1)
	v_fmac_f32_e32 v9, v11, v9
	v_mul_f32_e32 v11, v12, v9
	s_delay_alu instid0(VALU_DEP_1) | instskip(NEXT) | instid1(VALU_DEP_1)
	v_fma_f32 v13, -v8, v11, v12
	v_fmac_f32_e32 v11, v13, v9
	s_delay_alu instid0(VALU_DEP_1) | instskip(NEXT) | instid1(VALU_DEP_1)
	v_fma_f32 v8, -v8, v11, v12
	v_div_fmas_f32 v8, v8, v9, v11
	s_delay_alu instid0(VALU_DEP_1) | instskip(SKIP_1) | instid1(VALU_DEP_2)
	v_div_fixup_f32 v7, v8, v10, v7
	v_mov_b32_e32 v8, 0x7f
	v_minmax_f32 v9, v7, s7, 0xc3e00000
	v_mov_b32_e32 v7, 0x7f
	s_delay_alu instid0(VALU_DEP_2) | instskip(NEXT) | instid1(VALU_DEP_1)
	v_and_b32_e32 v11, 0x7fffffff, v9
	v_cmpx_gt_u32_e32 0x43f00000, v11
	s_cbranch_execz .LBB63_138
; %bb.133:                              ;   in Loop: Header=BB63_57 Depth=1
	s_mov_b32 s17, exec_lo
                                        ; implicit-def: $vgpr8
	v_cmpx_lt_u32_e32 0x3c7fffff, v11
	s_xor_b32 s17, exec_lo, s17
; %bb.134:                              ;   in Loop: Header=BB63_57 Depth=1
	v_bfe_u32 v8, v9, 20, 1
	s_delay_alu instid0(VALU_DEP_1) | instskip(NEXT) | instid1(VALU_DEP_1)
	v_add3_u32 v8, v9, v8, 0x407ffff
	v_lshrrev_b32_e32 v8, 20, v8
; %bb.135:                              ;   in Loop: Header=BB63_57 Depth=1
	s_and_not1_saveexec_b32 s17, s17
; %bb.136:                              ;   in Loop: Header=BB63_57 Depth=1
	v_add_f32_e64 v8, 0x46800000, |v9|
; %bb.137:                              ;   in Loop: Header=BB63_57 Depth=1
	s_or_b32 exec_lo, exec_lo, s17
.LBB63_138:                             ;   in Loop: Header=BB63_57 Depth=1
	s_delay_alu instid0(SALU_CYCLE_1) | instskip(SKIP_3) | instid1(VALU_DEP_1)
	s_or_b32 exec_lo, exec_lo, s16
	v_lshrrev_b32_e32 v5, 16, v5
	v_fma_mixlo_f16 v3, v28, v3, 0 op_sel:[0,1,0] op_sel_hi:[0,1,0]
	s_mov_b32 s16, exec_lo
	v_mul_f16_e32 v3, v5, v3
	s_delay_alu instid0(VALU_DEP_1) | instskip(NEXT) | instid1(VALU_DEP_1)
	v_cvt_f32_f16_e32 v3, v3
	v_div_scale_f32 v5, null, v10, v10, v3
	s_delay_alu instid0(VALU_DEP_1) | instskip(SKIP_2) | instid1(VALU_DEP_1)
	v_rcp_f32_e32 v11, v5
	s_waitcnt_depctr 0xfff
	v_fma_f32 v12, -v5, v11, 1.0
	v_fmac_f32_e32 v11, v12, v11
	v_div_scale_f32 v12, vcc_lo, v3, v10, v3
	s_delay_alu instid0(VALU_DEP_1) | instskip(NEXT) | instid1(VALU_DEP_1)
	v_mul_f32_e32 v13, v12, v11
	v_fma_f32 v14, -v5, v13, v12
	s_delay_alu instid0(VALU_DEP_1) | instskip(NEXT) | instid1(VALU_DEP_1)
	v_fmac_f32_e32 v13, v14, v11
	v_fma_f32 v5, -v5, v13, v12
	s_delay_alu instid0(VALU_DEP_1) | instskip(NEXT) | instid1(VALU_DEP_1)
	v_div_fmas_f32 v5, v5, v11, v13
	v_div_fixup_f32 v3, v5, v10, v3
	s_delay_alu instid0(VALU_DEP_1) | instskip(NEXT) | instid1(VALU_DEP_1)
	v_minmax_f32 v3, v3, s7, 0xc3e00000
	v_and_b32_e32 v5, 0x7fffffff, v3
	s_delay_alu instid0(VALU_DEP_1)
	v_cmpx_gt_u32_e32 0x43f00000, v5
	s_cbranch_execz .LBB63_144
; %bb.139:                              ;   in Loop: Header=BB63_57 Depth=1
	s_mov_b32 s17, exec_lo
                                        ; implicit-def: $vgpr7
	v_cmpx_lt_u32_e32 0x3c7fffff, v5
	s_xor_b32 s17, exec_lo, s17
; %bb.140:                              ;   in Loop: Header=BB63_57 Depth=1
	v_bfe_u32 v5, v3, 20, 1
	s_delay_alu instid0(VALU_DEP_1) | instskip(NEXT) | instid1(VALU_DEP_1)
	v_add3_u32 v5, v3, v5, 0x407ffff
	v_lshrrev_b32_e32 v7, 20, v5
; %bb.141:                              ;   in Loop: Header=BB63_57 Depth=1
	s_and_not1_saveexec_b32 s17, s17
; %bb.142:                              ;   in Loop: Header=BB63_57 Depth=1
	v_add_f32_e64 v7, 0x46800000, |v3|
; %bb.143:                              ;   in Loop: Header=BB63_57 Depth=1
	s_or_b32 exec_lo, exec_lo, s17
.LBB63_144:                             ;   in Loop: Header=BB63_57 Depth=1
	s_delay_alu instid0(SALU_CYCLE_1) | instskip(SKIP_2) | instid1(VALU_DEP_1)
	s_or_b32 exec_lo, exec_lo, s16
	v_fma_mixlo_f16 v5, v28, v4, 0 op_sel_hi:[0,1,0]
	s_mov_b32 s16, exec_lo
	v_mul_f16_e32 v5, v6, v5
	s_delay_alu instid0(VALU_DEP_1) | instskip(NEXT) | instid1(VALU_DEP_1)
	v_cvt_f32_f16_e32 v5, v5
	v_div_scale_f32 v11, null, v10, v10, v5
	v_div_scale_f32 v14, vcc_lo, v5, v10, v5
	s_delay_alu instid0(VALU_DEP_2) | instskip(SKIP_2) | instid1(VALU_DEP_1)
	v_rcp_f32_e32 v12, v11
	s_waitcnt_depctr 0xfff
	v_fma_f32 v13, -v11, v12, 1.0
	v_fmac_f32_e32 v12, v13, v12
	s_delay_alu instid0(VALU_DEP_1) | instskip(NEXT) | instid1(VALU_DEP_1)
	v_mul_f32_e32 v13, v14, v12
	v_fma_f32 v15, -v11, v13, v14
	s_delay_alu instid0(VALU_DEP_1) | instskip(NEXT) | instid1(VALU_DEP_1)
	v_fmac_f32_e32 v13, v15, v12
	v_fma_f32 v11, -v11, v13, v14
	s_delay_alu instid0(VALU_DEP_1) | instskip(NEXT) | instid1(VALU_DEP_1)
	v_div_fmas_f32 v11, v11, v12, v13
	v_div_fixup_f32 v5, v11, v10, v5
	v_mov_b32_e32 v11, 0x7f
	s_delay_alu instid0(VALU_DEP_2) | instskip(SKIP_1) | instid1(VALU_DEP_2)
	v_minmax_f32 v12, v5, s7, 0xc3e00000
	v_mov_b32_e32 v5, 0x7f
	v_and_b32_e32 v13, 0x7fffffff, v12
	s_delay_alu instid0(VALU_DEP_1)
	v_cmpx_gt_u32_e32 0x43f00000, v13
	s_cbranch_execz .LBB63_150
; %bb.145:                              ;   in Loop: Header=BB63_57 Depth=1
	s_mov_b32 s17, exec_lo
                                        ; implicit-def: $vgpr11
	v_cmpx_lt_u32_e32 0x3c7fffff, v13
	s_xor_b32 s17, exec_lo, s17
; %bb.146:                              ;   in Loop: Header=BB63_57 Depth=1
	v_bfe_u32 v11, v12, 20, 1
	s_delay_alu instid0(VALU_DEP_1) | instskip(NEXT) | instid1(VALU_DEP_1)
	v_add3_u32 v11, v12, v11, 0x407ffff
	v_lshrrev_b32_e32 v11, 20, v11
; %bb.147:                              ;   in Loop: Header=BB63_57 Depth=1
	s_and_not1_saveexec_b32 s17, s17
; %bb.148:                              ;   in Loop: Header=BB63_57 Depth=1
	v_add_f32_e64 v11, 0x46800000, |v12|
; %bb.149:                              ;   in Loop: Header=BB63_57 Depth=1
	s_or_b32 exec_lo, exec_lo, s17
.LBB63_150:                             ;   in Loop: Header=BB63_57 Depth=1
	s_delay_alu instid0(SALU_CYCLE_1) | instskip(SKIP_3) | instid1(VALU_DEP_1)
	s_or_b32 exec_lo, exec_lo, s16
	v_lshrrev_b32_e32 v6, 16, v6
	v_fma_mixlo_f16 v4, v28, v4, 0 op_sel:[0,1,0] op_sel_hi:[0,1,0]
	s_mov_b32 s16, exec_lo
	v_mul_f16_e32 v4, v6, v4
	s_delay_alu instid0(VALU_DEP_1) | instskip(NEXT) | instid1(VALU_DEP_1)
	v_cvt_f32_f16_e32 v4, v4
	v_div_scale_f32 v6, null, v10, v10, v4
	s_delay_alu instid0(VALU_DEP_1) | instskip(SKIP_2) | instid1(VALU_DEP_1)
	v_rcp_f32_e32 v13, v6
	s_waitcnt_depctr 0xfff
	v_fma_f32 v14, -v6, v13, 1.0
	v_fmac_f32_e32 v13, v14, v13
	v_div_scale_f32 v14, vcc_lo, v4, v10, v4
	s_delay_alu instid0(VALU_DEP_1) | instskip(NEXT) | instid1(VALU_DEP_1)
	v_mul_f32_e32 v15, v14, v13
	v_fma_f32 v16, -v6, v15, v14
	s_delay_alu instid0(VALU_DEP_1) | instskip(NEXT) | instid1(VALU_DEP_1)
	v_fmac_f32_e32 v15, v16, v13
	v_fma_f32 v6, -v6, v15, v14
	s_delay_alu instid0(VALU_DEP_1) | instskip(NEXT) | instid1(VALU_DEP_1)
	v_div_fmas_f32 v6, v6, v13, v15
	v_div_fixup_f32 v4, v6, v10, v4
	s_delay_alu instid0(VALU_DEP_1) | instskip(NEXT) | instid1(VALU_DEP_1)
	v_minmax_f32 v4, v4, s7, 0xc3e00000
	v_and_b32_e32 v6, 0x7fffffff, v4
	s_delay_alu instid0(VALU_DEP_1)
	v_cmpx_gt_u32_e32 0x43f00000, v6
	s_cbranch_execz .LBB63_53
; %bb.151:                              ;   in Loop: Header=BB63_57 Depth=1
	s_mov_b32 s17, exec_lo
                                        ; implicit-def: $vgpr5
	v_cmpx_lt_u32_e32 0x3c7fffff, v6
	s_xor_b32 s17, exec_lo, s17
; %bb.152:                              ;   in Loop: Header=BB63_57 Depth=1
	v_bfe_u32 v5, v4, 20, 1
	s_delay_alu instid0(VALU_DEP_1) | instskip(NEXT) | instid1(VALU_DEP_1)
	v_add3_u32 v5, v4, v5, 0x407ffff
	v_lshrrev_b32_e32 v5, 20, v5
; %bb.153:                              ;   in Loop: Header=BB63_57 Depth=1
	s_and_not1_saveexec_b32 s17, s17
	s_cbranch_execz .LBB63_52
; %bb.154:                              ;   in Loop: Header=BB63_57 Depth=1
	v_add_f32_e64 v5, 0x46800000, |v4|
	s_branch .LBB63_52
.LBB63_155:
	s_nop 0
	s_sendmsg sendmsg(MSG_DEALLOC_VGPRS)
	s_endpgm
	.section	.rodata,"a",@progbits
	.p2align	6, 0x0
	.amdhsa_kernel _ZN4vllm31rms_norm_per_block_quant_kernelIN3c104HalfENS1_13Float8_e4m3fnELb0ELb0ELi64EEEvPT0_PfPKT_S9_PKffiiPS7_l
		.amdhsa_group_segment_fixed_size 4228
		.amdhsa_private_segment_fixed_size 0
		.amdhsa_kernarg_size 328
		.amdhsa_user_sgpr_count 15
		.amdhsa_user_sgpr_dispatch_ptr 0
		.amdhsa_user_sgpr_queue_ptr 0
		.amdhsa_user_sgpr_kernarg_segment_ptr 1
		.amdhsa_user_sgpr_dispatch_id 0
		.amdhsa_user_sgpr_private_segment_size 0
		.amdhsa_wavefront_size32 1
		.amdhsa_uses_dynamic_stack 0
		.amdhsa_enable_private_segment 0
		.amdhsa_system_sgpr_workgroup_id_x 1
		.amdhsa_system_sgpr_workgroup_id_y 0
		.amdhsa_system_sgpr_workgroup_id_z 0
		.amdhsa_system_sgpr_workgroup_info 0
		.amdhsa_system_vgpr_workitem_id 0
		.amdhsa_next_free_vgpr 35
		.amdhsa_next_free_sgpr 36
		.amdhsa_reserve_vcc 1
		.amdhsa_float_round_mode_32 0
		.amdhsa_float_round_mode_16_64 0
		.amdhsa_float_denorm_mode_32 3
		.amdhsa_float_denorm_mode_16_64 3
		.amdhsa_dx10_clamp 1
		.amdhsa_ieee_mode 1
		.amdhsa_fp16_overflow 0
		.amdhsa_workgroup_processor_mode 1
		.amdhsa_memory_ordered 1
		.amdhsa_forward_progress 0
		.amdhsa_shared_vgpr_count 0
		.amdhsa_exception_fp_ieee_invalid_op 0
		.amdhsa_exception_fp_denorm_src 0
		.amdhsa_exception_fp_ieee_div_zero 0
		.amdhsa_exception_fp_ieee_overflow 0
		.amdhsa_exception_fp_ieee_underflow 0
		.amdhsa_exception_fp_ieee_inexact 0
		.amdhsa_exception_int_div_zero 0
	.end_amdhsa_kernel
	.section	.text._ZN4vllm31rms_norm_per_block_quant_kernelIN3c104HalfENS1_13Float8_e4m3fnELb0ELb0ELi64EEEvPT0_PfPKT_S9_PKffiiPS7_l,"axG",@progbits,_ZN4vllm31rms_norm_per_block_quant_kernelIN3c104HalfENS1_13Float8_e4m3fnELb0ELb0ELi64EEEvPT0_PfPKT_S9_PKffiiPS7_l,comdat
.Lfunc_end63:
	.size	_ZN4vllm31rms_norm_per_block_quant_kernelIN3c104HalfENS1_13Float8_e4m3fnELb0ELb0ELi64EEEvPT0_PfPKT_S9_PKffiiPS7_l, .Lfunc_end63-_ZN4vllm31rms_norm_per_block_quant_kernelIN3c104HalfENS1_13Float8_e4m3fnELb0ELb0ELi64EEEvPT0_PfPKT_S9_PKffiiPS7_l
                                        ; -- End function
	.section	.AMDGPU.csdata,"",@progbits
; Kernel info:
; codeLenInByte = 9204
; NumSgprs: 38
; NumVgprs: 35
; ScratchSize: 0
; MemoryBound: 0
; FloatMode: 240
; IeeeMode: 1
; LDSByteSize: 4228 bytes/workgroup (compile time only)
; SGPRBlocks: 4
; VGPRBlocks: 4
; NumSGPRsForWavesPerEU: 38
; NumVGPRsForWavesPerEU: 35
; Occupancy: 16
; WaveLimiterHint : 0
; COMPUTE_PGM_RSRC2:SCRATCH_EN: 0
; COMPUTE_PGM_RSRC2:USER_SGPR: 15
; COMPUTE_PGM_RSRC2:TRAP_HANDLER: 0
; COMPUTE_PGM_RSRC2:TGID_X_EN: 1
; COMPUTE_PGM_RSRC2:TGID_Y_EN: 0
; COMPUTE_PGM_RSRC2:TGID_Z_EN: 0
; COMPUTE_PGM_RSRC2:TIDIG_COMP_CNT: 0
	.section	.text._ZN4vllm31rms_norm_per_block_quant_kernelIN3c104HalfENS1_15Float8_e4m3fnuzELb0ELb0ELi64EEEvPT0_PfPKT_S9_PKffiiPS7_l,"axG",@progbits,_ZN4vllm31rms_norm_per_block_quant_kernelIN3c104HalfENS1_15Float8_e4m3fnuzELb0ELb0ELi64EEEvPT0_PfPKT_S9_PKffiiPS7_l,comdat
	.protected	_ZN4vllm31rms_norm_per_block_quant_kernelIN3c104HalfENS1_15Float8_e4m3fnuzELb0ELb0ELi64EEEvPT0_PfPKT_S9_PKffiiPS7_l ; -- Begin function _ZN4vllm31rms_norm_per_block_quant_kernelIN3c104HalfENS1_15Float8_e4m3fnuzELb0ELb0ELi64EEEvPT0_PfPKT_S9_PKffiiPS7_l
	.globl	_ZN4vllm31rms_norm_per_block_quant_kernelIN3c104HalfENS1_15Float8_e4m3fnuzELb0ELb0ELi64EEEvPT0_PfPKT_S9_PKffiiPS7_l
	.p2align	8
	.type	_ZN4vllm31rms_norm_per_block_quant_kernelIN3c104HalfENS1_15Float8_e4m3fnuzELb0ELb0ELi64EEEvPT0_PfPKT_S9_PKffiiPS7_l,@function
_ZN4vllm31rms_norm_per_block_quant_kernelIN3c104HalfENS1_15Float8_e4m3fnuzELb0ELb0ELi64EEEvPT0_PfPKT_S9_PKffiiPS7_l: ; @_ZN4vllm31rms_norm_per_block_quant_kernelIN3c104HalfENS1_15Float8_e4m3fnuzELb0ELb0ELi64EEEvPT0_PfPKT_S9_PKffiiPS7_l
; %bb.0:
	s_clause 0x1
	s_load_b128 s[16:19], s[0:1], 0x28
	s_load_b256 s[4:11], s[0:1], 0x0
	v_mov_b32_e32 v6, 0
	s_waitcnt lgkmcnt(0)
	s_ashr_i32 s2, s18, 31
	s_mul_hi_u32 s3, s18, s15
	s_mul_i32 s12, s2, s15
	s_mul_i32 s2, s18, s15
	s_add_i32 s3, s3, s12
	s_mov_b32 s12, s17
	s_lshl_b64 s[2:3], s[2:3], 1
	s_delay_alu instid0(SALU_CYCLE_1)
	s_add_u32 s14, s8, s2
	s_addc_u32 s26, s9, s3
	s_ashr_i32 s8, s17, 2
	s_add_u32 s18, s0, 0x48
	v_cmp_gt_u32_e64 s2, s8, v0
	s_mov_b32 s9, 0
	s_addc_u32 s19, s1, 0
	s_delay_alu instid0(VALU_DEP_1)
	s_and_saveexec_b32 s3, s2
	s_cbranch_execz .LBB64_10
; %bb.1:
	s_load_b32 s13, s[18:19], 0x0
	v_dual_mov_b32 v2, 0 :: v_dual_mov_b32 v1, v0
	s_waitcnt lgkmcnt(0)
	s_cmp_lt_u32 s15, s13
	s_cselect_b32 s13, 12, 18
	s_delay_alu instid0(SALU_CYCLE_1)
	s_add_u32 s20, s18, s13
	s_addc_u32 s21, s19, 0
                                        ; implicit-def: $sgpr13
	global_load_u16 v7, v2, s[20:21]
	s_waitcnt vmcnt(0)
	v_lshlrev_b32_e32 v9, 1, v7
	v_mul_lo_u32 v8, v7, 3
	v_add_nc_u32_e32 v10, v7, v7
	v_mov_b32_e32 v6, v2
	s_branch .LBB64_5
.LBB64_2:                               ;   in Loop: Header=BB64_5 Depth=1
	s_or_b32 exec_lo, exec_lo, s22
	s_delay_alu instid0(SALU_CYCLE_1)
	s_or_not1_b32 s22, s23, exec_lo
.LBB64_3:                               ;   in Loop: Header=BB64_5 Depth=1
	s_or_b32 exec_lo, exec_lo, s21
	s_delay_alu instid0(SALU_CYCLE_1) | instskip(SKIP_1) | instid1(SALU_CYCLE_1)
	s_and_not1_b32 s13, s13, exec_lo
	s_and_b32 s21, s22, exec_lo
	s_or_b32 s13, s13, s21
.LBB64_4:                               ;   in Loop: Header=BB64_5 Depth=1
	s_or_b32 exec_lo, exec_lo, s20
	s_delay_alu instid0(SALU_CYCLE_1) | instskip(NEXT) | instid1(SALU_CYCLE_1)
	s_and_b32 s20, exec_lo, s13
	s_or_b32 s9, s20, s9
	s_delay_alu instid0(SALU_CYCLE_1)
	s_and_not1_b32 exec_lo, exec_lo, s9
	s_cbranch_execz .LBB64_9
.LBB64_5:                               ; =>This Inner Loop Header: Depth=1
	v_lshlrev_b64 v[3:4], 3, v[1:2]
	s_or_b32 s13, s13, exec_lo
	s_mov_b32 s20, exec_lo
	s_delay_alu instid0(VALU_DEP_1) | instskip(NEXT) | instid1(VALU_DEP_2)
	v_add_co_u32 v3, vcc_lo, s14, v3
	v_add_co_ci_u32_e32 v4, vcc_lo, s26, v4, vcc_lo
	global_load_b64 v[3:4], v[3:4], off
	s_waitcnt vmcnt(0)
	v_fma_mix_f32 v5, v3, v3, v6 op_sel_hi:[1,1,0]
	s_delay_alu instid0(VALU_DEP_1) | instskip(NEXT) | instid1(VALU_DEP_1)
	v_fma_mix_f32 v3, v3, v3, v5 op_sel:[1,1,0] op_sel_hi:[1,1,0]
	v_fma_mix_f32 v5, v4, v4, v3 op_sel_hi:[1,1,0]
	v_add_nc_u32_e32 v3, v1, v7
	s_delay_alu instid0(VALU_DEP_2) | instskip(NEXT) | instid1(VALU_DEP_2)
	v_fma_mix_f32 v6, v4, v4, v5 op_sel:[1,1,0] op_sel_hi:[1,1,0]
	v_cmpx_gt_u32_e64 s8, v3
	s_cbranch_execz .LBB64_4
; %bb.6:                                ;   in Loop: Header=BB64_5 Depth=1
	v_mov_b32_e32 v4, v2
	s_mov_b32 s22, -1
	s_mov_b32 s21, exec_lo
	s_delay_alu instid0(VALU_DEP_1) | instskip(NEXT) | instid1(VALU_DEP_1)
	v_lshlrev_b64 v[4:5], 3, v[3:4]
	v_add_co_u32 v4, vcc_lo, s14, v4
	s_delay_alu instid0(VALU_DEP_2) | instskip(SKIP_3) | instid1(VALU_DEP_1)
	v_add_co_ci_u32_e32 v5, vcc_lo, s26, v5, vcc_lo
	global_load_b64 v[4:5], v[4:5], off
	s_waitcnt vmcnt(0)
	v_fma_mix_f32 v6, v4, v4, v6 op_sel_hi:[1,1,0]
	v_fma_mix_f32 v4, v4, v4, v6 op_sel:[1,1,0] op_sel_hi:[1,1,0]
	s_delay_alu instid0(VALU_DEP_1) | instskip(SKIP_1) | instid1(VALU_DEP_2)
	v_fma_mix_f32 v6, v5, v5, v4 op_sel_hi:[1,1,0]
	v_add_nc_u32_e32 v4, v9, v1
	v_fma_mix_f32 v6, v5, v5, v6 op_sel:[1,1,0] op_sel_hi:[1,1,0]
	s_delay_alu instid0(VALU_DEP_2)
	v_cmpx_gt_u32_e64 s8, v4
	s_cbranch_execz .LBB64_3
; %bb.7:                                ;   in Loop: Header=BB64_5 Depth=1
	v_mov_b32_e32 v5, v2
	v_add_nc_u32_e32 v1, v8, v1
	s_mov_b32 s23, -1
	s_mov_b32 s22, exec_lo
	s_delay_alu instid0(VALU_DEP_2) | instskip(NEXT) | instid1(VALU_DEP_1)
	v_lshlrev_b64 v[4:5], 3, v[4:5]
	v_add_co_u32 v4, vcc_lo, s14, v4
	s_delay_alu instid0(VALU_DEP_2) | instskip(SKIP_3) | instid1(VALU_DEP_1)
	v_add_co_ci_u32_e32 v5, vcc_lo, s26, v5, vcc_lo
	global_load_b64 v[4:5], v[4:5], off
	s_waitcnt vmcnt(0)
	v_fma_mix_f32 v6, v4, v4, v6 op_sel_hi:[1,1,0]
	v_fma_mix_f32 v4, v4, v4, v6 op_sel:[1,1,0] op_sel_hi:[1,1,0]
	s_delay_alu instid0(VALU_DEP_1) | instskip(NEXT) | instid1(VALU_DEP_1)
	v_fma_mix_f32 v4, v5, v5, v4 op_sel_hi:[1,1,0]
	v_fma_mix_f32 v6, v5, v5, v4 op_sel:[1,1,0] op_sel_hi:[1,1,0]
	v_cmpx_gt_u32_e64 s8, v1
	s_xor_b32 s22, exec_lo, s22
	s_cbranch_execz .LBB64_2
; %bb.8:                                ;   in Loop: Header=BB64_5 Depth=1
	v_lshlrev_b64 v[4:5], 3, v[1:2]
	s_delay_alu instid0(VALU_DEP_1) | instskip(NEXT) | instid1(VALU_DEP_2)
	v_add_co_u32 v4, vcc_lo, s14, v4
	v_add_co_ci_u32_e32 v5, vcc_lo, s26, v5, vcc_lo
	global_load_b64 v[4:5], v[4:5], off
	s_waitcnt vmcnt(0)
	v_fma_mix_f32 v1, v4, v4, v6 op_sel_hi:[1,1,0]
	s_delay_alu instid0(VALU_DEP_1) | instskip(SKIP_1) | instid1(VALU_DEP_2)
	v_fma_mix_f32 v4, v4, v4, v1 op_sel:[1,1,0] op_sel_hi:[1,1,0]
	v_add3_u32 v1, v10, v7, v3
	v_fma_mix_f32 v3, v5, v5, v4 op_sel_hi:[1,1,0]
	s_delay_alu instid0(VALU_DEP_2) | instskip(NEXT) | instid1(VALU_DEP_2)
	v_cmp_le_u32_e32 vcc_lo, s8, v1
	v_fma_mix_f32 v6, v5, v5, v3 op_sel:[1,1,0] op_sel_hi:[1,1,0]
	s_or_not1_b32 s23, vcc_lo, exec_lo
	s_branch .LBB64_2
.LBB64_9:
	s_or_b32 exec_lo, exec_lo, s9
.LBB64_10:
	s_delay_alu instid0(SALU_CYCLE_1) | instskip(SKIP_3) | instid1(VALU_DEP_2)
	s_or_b32 exec_lo, exec_lo, s3
	v_mbcnt_lo_u32_b32 v1, -1, 0
	s_load_b32 s3, s[18:19], 0xc
	v_and_b32_e32 v7, 0x3e0, v0
	v_cmp_ne_u32_e32 vcc_lo, 31, v1
	v_add_nc_u32_e32 v3, 1, v1
	v_add_co_ci_u32_e32 v2, vcc_lo, 0, v1, vcc_lo
	v_cmp_gt_u32_e32 vcc_lo, 30, v1
	s_delay_alu instid0(VALU_DEP_2)
	v_lshlrev_b32_e32 v2, 2, v2
	v_cndmask_b32_e64 v5, 0, 1, vcc_lo
	ds_bpermute_b32 v4, v2, v6
	s_waitcnt lgkmcnt(0)
	s_and_b32 s27, s3, 0xffff
	v_lshlrev_b32_e32 v5, 1, v5
	v_sub_nc_u32_e64 v12, s27, v7 clamp
	s_mov_b32 s3, exec_lo
	s_delay_alu instid0(VALU_DEP_1) | instskip(SKIP_2) | instid1(VALU_DEP_2)
	v_cmp_lt_u32_e32 vcc_lo, v3, v12
	v_add_f32_e32 v7, v6, v4
	v_add_lshl_u32 v4, v5, v1, 2
	v_cndmask_b32_e32 v7, v6, v7, vcc_lo
	v_cmp_gt_u32_e32 vcc_lo, 28, v1
	v_cndmask_b32_e64 v5, 0, 1, vcc_lo
	s_delay_alu instid0(VALU_DEP_1) | instskip(SKIP_2) | instid1(VALU_DEP_1)
	v_lshlrev_b32_e32 v8, 2, v5
	ds_bpermute_b32 v6, v4, v7
	v_add_nc_u32_e32 v5, 2, v1
	v_cmp_lt_u32_e32 vcc_lo, v5, v12
	s_waitcnt lgkmcnt(0)
	v_add_f32_e32 v9, v7, v6
	v_add_lshl_u32 v6, v8, v1, 2
	s_delay_alu instid0(VALU_DEP_2) | instskip(SKIP_3) | instid1(VALU_DEP_1)
	v_cndmask_b32_e32 v9, v7, v9, vcc_lo
	v_cmp_gt_u32_e32 vcc_lo, 24, v1
	ds_bpermute_b32 v8, v6, v9
	v_cndmask_b32_e64 v7, 0, 1, vcc_lo
	v_lshlrev_b32_e32 v10, 3, v7
	v_add_nc_u32_e32 v7, 4, v1
	s_delay_alu instid0(VALU_DEP_1) | instskip(SKIP_3) | instid1(VALU_DEP_2)
	v_cmp_lt_u32_e32 vcc_lo, v7, v12
	s_waitcnt lgkmcnt(0)
	v_add_f32_e32 v11, v9, v8
	v_add_lshl_u32 v8, v10, v1, 2
	v_cndmask_b32_e32 v11, v9, v11, vcc_lo
	v_cmp_gt_u32_e32 vcc_lo, 16, v1
	ds_bpermute_b32 v10, v8, v11
	v_cndmask_b32_e64 v9, 0, 1, vcc_lo
	s_delay_alu instid0(VALU_DEP_1) | instskip(SKIP_1) | instid1(VALU_DEP_1)
	v_lshlrev_b32_e32 v13, 4, v9
	v_add_nc_u32_e32 v9, 8, v1
	v_cmp_lt_u32_e32 vcc_lo, v9, v12
	s_waitcnt lgkmcnt(0)
	v_add_f32_e32 v14, v11, v10
	v_add_lshl_u32 v10, v13, v1, 2
	s_delay_alu instid0(VALU_DEP_2)
	v_cndmask_b32_e32 v13, v11, v14, vcc_lo
	v_add_nc_u32_e32 v11, 16, v1
	ds_bpermute_b32 v14, v10, v13
	v_cmp_lt_u32_e32 vcc_lo, v11, v12
	s_waitcnt lgkmcnt(0)
	v_add_f32_e32 v14, v13, v14
	s_delay_alu instid0(VALU_DEP_1)
	v_cndmask_b32_e32 v12, v13, v14, vcc_lo
	v_cmpx_eq_u32_e32 0, v1
	s_cbranch_execz .LBB64_12
; %bb.11:
	v_lshrrev_b32_e32 v13, 3, v0
	s_delay_alu instid0(VALU_DEP_1)
	v_and_b32_e32 v13, 0x7c, v13
	ds_store_b32 v13, v12 offset:4096
.LBB64_12:
	s_or_b32 exec_lo, exec_lo, s3
	s_delay_alu instid0(SALU_CYCLE_1)
	s_mov_b32 s3, exec_lo
	s_waitcnt lgkmcnt(0)
	s_barrier
	buffer_gl0_inv
	v_cmpx_gt_u32_e32 32, v0
	s_cbranch_execz .LBB64_14
; %bb.13:
	v_lshlrev_b32_e32 v1, 2, v1
	s_add_i32 s9, s27, 31
	s_delay_alu instid0(SALU_CYCLE_1) | instskip(NEXT) | instid1(SALU_CYCLE_1)
	s_lshr_b32 s9, s9, 5
	v_cmp_gt_u32_e32 vcc_lo, s9, v3
	ds_load_b32 v1, v1 offset:4096
	s_waitcnt lgkmcnt(0)
	ds_bpermute_b32 v2, v2, v1
	s_waitcnt lgkmcnt(0)
	v_add_f32_e32 v2, v1, v2
	s_delay_alu instid0(VALU_DEP_1) | instskip(SKIP_4) | instid1(VALU_DEP_1)
	v_cndmask_b32_e32 v1, v1, v2, vcc_lo
	v_cmp_gt_u32_e32 vcc_lo, s9, v5
	ds_bpermute_b32 v2, v4, v1
	s_waitcnt lgkmcnt(0)
	v_add_f32_e32 v2, v1, v2
	v_cndmask_b32_e32 v1, v1, v2, vcc_lo
	v_cmp_gt_u32_e32 vcc_lo, s9, v7
	ds_bpermute_b32 v2, v6, v1
	s_waitcnt lgkmcnt(0)
	v_add_f32_e32 v2, v1, v2
	s_delay_alu instid0(VALU_DEP_1) | instskip(SKIP_4) | instid1(VALU_DEP_1)
	v_cndmask_b32_e32 v1, v1, v2, vcc_lo
	v_cmp_gt_u32_e32 vcc_lo, s9, v9
	ds_bpermute_b32 v2, v8, v1
	s_waitcnt lgkmcnt(0)
	v_add_f32_e32 v2, v1, v2
	v_cndmask_b32_e32 v1, v1, v2, vcc_lo
	v_cmp_gt_u32_e32 vcc_lo, s9, v11
	ds_bpermute_b32 v2, v10, v1
	s_waitcnt lgkmcnt(0)
	v_add_f32_e32 v2, v1, v2
	s_delay_alu instid0(VALU_DEP_1)
	v_cndmask_b32_e32 v12, v1, v2, vcc_lo
.LBB64_14:
	s_or_b32 exec_lo, exec_lo, s3
	s_delay_alu instid0(SALU_CYCLE_1)
	s_mov_b32 s3, exec_lo
	v_cmpx_eq_u32_e32 0, v0
	s_cbranch_execz .LBB64_16
; %bb.15:
	v_cvt_f32_i32_e32 v1, s17
	s_delay_alu instid0(VALU_DEP_1) | instskip(SKIP_1) | instid1(VALU_DEP_2)
	v_div_scale_f32 v2, null, v1, v1, v12
	v_div_scale_f32 v5, vcc_lo, v12, v1, v12
	v_rcp_f32_e32 v3, v2
	s_waitcnt_depctr 0xfff
	v_fma_f32 v4, -v2, v3, 1.0
	s_delay_alu instid0(VALU_DEP_1) | instskip(NEXT) | instid1(VALU_DEP_1)
	v_fmac_f32_e32 v3, v4, v3
	v_mul_f32_e32 v4, v5, v3
	s_delay_alu instid0(VALU_DEP_1) | instskip(NEXT) | instid1(VALU_DEP_1)
	v_fma_f32 v6, -v2, v4, v5
	v_fmac_f32_e32 v4, v6, v3
	s_delay_alu instid0(VALU_DEP_1) | instskip(NEXT) | instid1(VALU_DEP_1)
	v_fma_f32 v2, -v2, v4, v5
	v_div_fmas_f32 v2, v2, v3, v4
	s_delay_alu instid0(VALU_DEP_1) | instskip(NEXT) | instid1(VALU_DEP_1)
	v_div_fixup_f32 v1, v2, v1, v12
	v_add_f32_e32 v1, s16, v1
	s_delay_alu instid0(VALU_DEP_1) | instskip(SKIP_1) | instid1(VALU_DEP_2)
	v_mul_f32_e32 v2, 0x4b800000, v1
	v_cmp_gt_f32_e32 vcc_lo, 0x800000, v1
	v_cndmask_b32_e32 v1, v1, v2, vcc_lo
	s_delay_alu instid0(VALU_DEP_1) | instskip(SKIP_2) | instid1(VALU_DEP_1)
	v_rsq_f32_e32 v1, v1
	s_waitcnt_depctr 0xfff
	v_mul_f32_e32 v2, 0x45800000, v1
	v_dual_cndmask_b32 v1, v1, v2 :: v_dual_mov_b32 v2, 0
	ds_store_b32 v2, v1 offset:4224
.LBB64_16:
	s_or_b32 exec_lo, exec_lo, s3
	s_ashr_i32 s13, s17, 31
	s_waitcnt lgkmcnt(0)
	s_lshr_b32 s3, s13, 26
	s_barrier
	s_add_i32 s3, s17, s3
	buffer_gl0_inv
	s_ashr_i32 s16, s3, 6
	s_ashr_i32 s3, s3, 31
	s_abs_i32 s9, s16
	s_delay_alu instid0(SALU_CYCLE_1) | instskip(SKIP_1) | instid1(VALU_DEP_1)
	v_cvt_f32_u32_e32 v1, s9
	s_sub_i32 s18, 0, s9
	v_rcp_iflag_f32_e32 v1, v1
	s_waitcnt_depctr 0xfff
	v_mul_f32_e32 v1, 0x4f7ffffe, v1
	s_delay_alu instid0(VALU_DEP_1) | instskip(NEXT) | instid1(VALU_DEP_1)
	v_cvt_u32_f32_e32 v1, v1
	v_readfirstlane_b32 s17, v1
	s_delay_alu instid0(VALU_DEP_1) | instskip(NEXT) | instid1(SALU_CYCLE_1)
	s_mul_i32 s18, s18, s17
	s_mul_hi_u32 s18, s17, s18
	s_delay_alu instid0(SALU_CYCLE_1) | instskip(NEXT) | instid1(SALU_CYCLE_1)
	s_add_i32 s17, s17, s18
	s_mul_hi_u32 s17, s27, s17
	s_delay_alu instid0(SALU_CYCLE_1) | instskip(SKIP_2) | instid1(SALU_CYCLE_1)
	s_mul_i32 s18, s17, s9
	s_add_i32 s19, s17, 1
	s_sub_i32 s18, s27, s18
	s_sub_i32 s20, s18, s9
	s_cmp_ge_u32 s18, s9
	s_cselect_b32 s17, s19, s17
	s_cselect_b32 s18, s20, s18
	s_add_i32 s19, s17, 1
	s_cmp_ge_u32 s18, s9
	s_cselect_b32 s9, s19, s17
	s_delay_alu instid0(SALU_CYCLE_1) | instskip(NEXT) | instid1(SALU_CYCLE_1)
	s_xor_b32 s9, s9, s3
	s_sub_i32 s18, s9, s3
	s_delay_alu instid0(SALU_CYCLE_1) | instskip(SKIP_3) | instid1(VALU_DEP_1)
	s_abs_i32 s3, s18
	s_ashr_i32 s19, s18, 31
	v_cvt_f32_u32_e32 v1, s3
	s_sub_i32 s9, 0, s3
	v_rcp_iflag_f32_e32 v1, v1
	s_waitcnt_depctr 0xfff
	v_mul_f32_e32 v1, 0x4f7ffffe, v1
	s_delay_alu instid0(VALU_DEP_1) | instskip(NEXT) | instid1(VALU_DEP_1)
	v_cvt_u32_f32_e32 v1, v1
	v_mul_lo_u32 v2, s9, v1
	s_ashr_i32 s9, s8, 31
	s_delay_alu instid0(VALU_DEP_1) | instskip(NEXT) | instid1(VALU_DEP_1)
	v_mul_hi_u32 v2, v1, v2
	v_add_nc_u32_e32 v1, v1, v2
	s_delay_alu instid0(VALU_DEP_1) | instskip(NEXT) | instid1(VALU_DEP_1)
	v_mul_hi_u32 v1, v0, v1
	v_mul_lo_u32 v2, v1, s3
	v_add_nc_u32_e32 v3, 1, v1
	s_delay_alu instid0(VALU_DEP_2) | instskip(NEXT) | instid1(VALU_DEP_1)
	v_sub_nc_u32_e32 v2, v0, v2
	v_subrev_nc_u32_e32 v4, s3, v2
	v_cmp_le_u32_e32 vcc_lo, s3, v2
	s_delay_alu instid0(VALU_DEP_2) | instskip(NEXT) | instid1(VALU_DEP_1)
	v_dual_cndmask_b32 v1, v1, v3 :: v_dual_cndmask_b32 v2, v2, v4
	v_dual_mov_b32 v4, 0 :: v_dual_add_nc_u32 v3, 1, v1
	s_delay_alu instid0(VALU_DEP_2) | instskip(SKIP_2) | instid1(VALU_DEP_1)
	v_cmp_le_u32_e32 vcc_lo, s3, v2
	ds_load_b32 v28, v4 offset:4224
	v_cndmask_b32_e32 v1, v1, v3, vcc_lo
	v_xor_b32_e32 v1, s19, v1
	s_delay_alu instid0(VALU_DEP_1) | instskip(NEXT) | instid1(VALU_DEP_1)
	v_subrev_nc_u32_e32 v1, s19, v1
	v_ashrrev_i32_e32 v2, 31, v1
	v_mul_lo_u32 v3, v1, s18
	s_delay_alu instid0(VALU_DEP_2) | instskip(NEXT) | instid1(VALU_DEP_2)
	v_lshlrev_b64 v[7:8], 4, v[1:2]
	v_sub_nc_u32_e32 v3, v0, v3
	s_delay_alu instid0(VALU_DEP_2) | instskip(NEXT) | instid1(VALU_DEP_3)
	v_add_co_u32 v5, vcc_lo, v7, 16
	v_add_co_ci_u32_e32 v6, vcc_lo, 0, v8, vcc_lo
	s_delay_alu instid0(VALU_DEP_1) | instskip(SKIP_4) | instid1(VALU_DEP_3)
	v_cmp_gt_i64_e32 vcc_lo, s[8:9], v[5:6]
	v_cndmask_b32_e32 v6, s9, v6, vcc_lo
	v_cndmask_b32_e32 v5, s8, v5, vcc_lo
	v_add_co_u32 v7, vcc_lo, v7, v3
	v_add_co_ci_u32_e32 v8, vcc_lo, 0, v8, vcc_lo
	v_ashrrev_i32_e32 v10, 31, v5
	v_mov_b32_e32 v9, v5
	s_mov_b32 s9, exec_lo
	s_delay_alu instid0(VALU_DEP_1)
	v_cmpx_lt_i64_e64 v[7:8], v[9:10]
	s_cbranch_execz .LBB64_26
; %bb.17:
	v_lshlrev_b64 v[11:12], 7, v[1:2]
	v_lshlrev_b64 v[13:14], 3, v[3:4]
	v_mov_b32_e32 v4, 0
	s_lshl_b64 s[20:21], s[18:19], 5
	s_mul_hi_i32 s17, s18, 3
	s_mul_i32 s28, s18, 3
	s_lshl_b64 s[22:23], s[18:19], 1
	v_add_co_u32 v19, vcc_lo, v11, v13
	v_add_co_ci_u32_e32 v20, vcc_lo, v12, v14, vcc_lo
	v_dual_mov_b32 v12, v8 :: v_dual_mov_b32 v11, v7
	s_lshl_b64 s[24:25], s[18:19], 3
	s_mov_b32 s29, 0
                                        ; implicit-def: $sgpr30
	s_branch .LBB64_21
.LBB64_18:                              ;   in Loop: Header=BB64_21 Depth=1
	s_or_b32 exec_lo, exec_lo, s34
	s_delay_alu instid0(SALU_CYCLE_1)
	s_or_not1_b32 s3, s3, exec_lo
.LBB64_19:                              ;   in Loop: Header=BB64_21 Depth=1
	s_or_b32 exec_lo, exec_lo, s33
	s_delay_alu instid0(SALU_CYCLE_1) | instskip(SKIP_1) | instid1(SALU_CYCLE_1)
	s_and_not1_b32 s30, s30, exec_lo
	s_and_b32 s3, s3, exec_lo
	s_or_b32 s30, s30, s3
.LBB64_20:                              ;   in Loop: Header=BB64_21 Depth=1
	s_or_b32 exec_lo, exec_lo, s31
	s_delay_alu instid0(SALU_CYCLE_1) | instskip(NEXT) | instid1(SALU_CYCLE_1)
	s_and_b32 s3, exec_lo, s30
	s_or_b32 s29, s3, s29
	s_delay_alu instid0(SALU_CYCLE_1)
	s_and_not1_b32 exec_lo, exec_lo, s29
	s_cbranch_execz .LBB64_25
.LBB64_21:                              ; =>This Inner Loop Header: Depth=1
	v_add_co_u32 v17, vcc_lo, s10, v19
	v_add_co_ci_u32_e32 v18, vcc_lo, s11, v20, vcc_lo
	v_add_co_u32 v15, vcc_lo, s14, v19
	v_add_co_ci_u32_e32 v16, vcc_lo, s26, v20, vcc_lo
	s_or_b32 s30, s30, exec_lo
	global_load_b64 v[13:14], v[17:18], off
	global_load_b64 v[21:22], v[15:16], off
	s_mov_b32 s31, exec_lo
	s_waitcnt vmcnt(1)
	v_lshrrev_b32_e32 v23, 16, v13
	s_waitcnt vmcnt(0) lgkmcnt(0)
	v_fma_mixlo_f16 v24, v28, v21, 0 op_sel_hi:[0,1,0]
	v_fma_mixlo_f16 v21, v28, v21, 0 op_sel:[0,1,0] op_sel_hi:[0,1,0]
	v_lshrrev_b32_e32 v25, 16, v14
	v_fma_mixlo_f16 v26, v28, v22, 0 op_sel_hi:[0,1,0]
	v_fma_mixlo_f16 v22, v28, v22, 0 op_sel:[0,1,0] op_sel_hi:[0,1,0]
	v_mul_f16_e32 v13, v13, v24
	v_mul_f16_e32 v21, v23, v21
	s_delay_alu instid0(VALU_DEP_4) | instskip(NEXT) | instid1(VALU_DEP_4)
	v_mul_f16_e32 v23, v14, v26
	v_mul_f16_e32 v22, v25, v22
	s_delay_alu instid0(VALU_DEP_4) | instskip(NEXT) | instid1(VALU_DEP_4)
	v_cvt_f32_f16_e64 v24, |v13|
	v_cvt_f32_f16_e64 v21, |v21|
	v_add_co_u32 v13, vcc_lo, v11, s18
	v_cvt_f32_f16_e64 v23, |v23|
	v_add_co_ci_u32_e32 v14, vcc_lo, s19, v12, vcc_lo
	s_delay_alu instid0(VALU_DEP_4) | instskip(SKIP_1) | instid1(VALU_DEP_1)
	v_max3_f32 v4, v4, v24, v21
	v_cvt_f32_f16_e64 v21, |v22|
	v_max3_f32 v4, v4, v23, v21
	s_delay_alu instid0(VALU_DEP_4)
	v_cmpx_lt_i64_e64 v[13:14], v[9:10]
	s_cbranch_execz .LBB64_20
; %bb.22:                               ;   in Loop: Header=BB64_21 Depth=1
	v_add_co_u32 v17, vcc_lo, v17, s24
	v_add_co_ci_u32_e32 v18, vcc_lo, s25, v18, vcc_lo
	v_add_co_u32 v15, vcc_lo, v15, s24
	v_add_co_ci_u32_e32 v16, vcc_lo, s25, v16, vcc_lo
	s_mov_b32 s3, -1
	global_load_b64 v[21:22], v[17:18], off
	global_load_b64 v[23:24], v[15:16], off
	s_mov_b32 s33, exec_lo
	s_waitcnt vmcnt(1)
	v_lshrrev_b32_e32 v25, 16, v21
	s_waitcnt vmcnt(0)
	v_fma_mixlo_f16 v26, v28, v23, 0 op_sel_hi:[0,1,0]
	v_fma_mixlo_f16 v23, v28, v23, 0 op_sel:[0,1,0] op_sel_hi:[0,1,0]
	v_lshrrev_b32_e32 v27, 16, v22
	v_fma_mixlo_f16 v29, v28, v24, 0 op_sel_hi:[0,1,0]
	v_fma_mixlo_f16 v24, v28, v24, 0 op_sel:[0,1,0] op_sel_hi:[0,1,0]
	v_mul_f16_e32 v21, v21, v26
	v_mul_f16_e32 v23, v25, v23
	s_delay_alu instid0(VALU_DEP_4) | instskip(NEXT) | instid1(VALU_DEP_4)
	v_mul_f16_e32 v25, v22, v29
	v_mul_f16_e32 v24, v27, v24
	s_delay_alu instid0(VALU_DEP_4) | instskip(NEXT) | instid1(VALU_DEP_4)
	v_cvt_f32_f16_e64 v26, |v21|
	v_cvt_f32_f16_e64 v23, |v23|
	v_add_co_u32 v21, vcc_lo, s22, v11
	v_cvt_f32_f16_e64 v25, |v25|
	v_add_co_ci_u32_e32 v22, vcc_lo, s23, v12, vcc_lo
	s_delay_alu instid0(VALU_DEP_4) | instskip(SKIP_1) | instid1(VALU_DEP_1)
	v_max3_f32 v4, v4, v26, v23
	v_cvt_f32_f16_e64 v23, |v24|
	v_max3_f32 v4, v4, v25, v23
	s_delay_alu instid0(VALU_DEP_4)
	v_cmpx_lt_i64_e64 v[21:22], v[9:10]
	s_cbranch_execz .LBB64_19
; %bb.23:                               ;   in Loop: Header=BB64_21 Depth=1
	v_add_co_u32 v17, vcc_lo, v17, s24
	v_add_co_ci_u32_e32 v18, vcc_lo, s25, v18, vcc_lo
	v_add_co_u32 v15, vcc_lo, v15, s24
	v_add_co_ci_u32_e32 v16, vcc_lo, s25, v16, vcc_lo
	v_add_co_u32 v11, vcc_lo, s28, v11
	global_load_b64 v[21:22], v[17:18], off
	global_load_b64 v[23:24], v[15:16], off
	v_add_co_ci_u32_e32 v12, vcc_lo, s17, v12, vcc_lo
	s_delay_alu instid0(VALU_DEP_1)
	v_cmp_lt_i64_e32 vcc_lo, v[11:12], v[9:10]
                                        ; implicit-def: $vgpr11_vgpr12
	s_waitcnt vmcnt(1)
	v_lshrrev_b32_e32 v25, 16, v21
	s_waitcnt vmcnt(0)
	v_fma_mixlo_f16 v26, v28, v23, 0 op_sel_hi:[0,1,0]
	v_fma_mixlo_f16 v23, v28, v23, 0 op_sel:[0,1,0] op_sel_hi:[0,1,0]
	v_lshrrev_b32_e32 v27, 16, v22
	v_fma_mixlo_f16 v29, v28, v24, 0 op_sel_hi:[0,1,0]
	v_fma_mixlo_f16 v24, v28, v24, 0 op_sel:[0,1,0] op_sel_hi:[0,1,0]
	v_mul_f16_e32 v21, v21, v26
	v_mul_f16_e32 v23, v25, v23
	s_delay_alu instid0(VALU_DEP_4) | instskip(NEXT) | instid1(VALU_DEP_4)
	v_mul_f16_e32 v22, v22, v29
	v_mul_f16_e32 v24, v27, v24
	s_delay_alu instid0(VALU_DEP_4) | instskip(NEXT) | instid1(VALU_DEP_4)
	v_cvt_f32_f16_e64 v21, |v21|
	v_cvt_f32_f16_e64 v23, |v23|
	s_delay_alu instid0(VALU_DEP_4) | instskip(NEXT) | instid1(VALU_DEP_2)
	v_cvt_f32_f16_e64 v22, |v22|
	v_max3_f32 v4, v4, v21, v23
	v_cvt_f32_f16_e64 v21, |v24|
	s_delay_alu instid0(VALU_DEP_1) | instskip(SKIP_1) | instid1(SALU_CYCLE_1)
	v_max3_f32 v4, v4, v22, v21
	s_and_saveexec_b32 s34, vcc_lo
	s_xor_b32 s34, exec_lo, s34
	s_cbranch_execz .LBB64_18
; %bb.24:                               ;   in Loop: Header=BB64_21 Depth=1
	v_add_co_u32 v11, vcc_lo, v17, s24
	v_add_co_ci_u32_e32 v12, vcc_lo, s25, v18, vcc_lo
	v_add_co_u32 v15, vcc_lo, v15, s24
	v_add_co_ci_u32_e32 v16, vcc_lo, s25, v16, vcc_lo
	s_add_u32 s3, s18, s18
	global_load_b64 v[11:12], v[11:12], off
	global_load_b64 v[15:16], v[15:16], off
	s_addc_u32 s35, s19, s19
	s_add_u32 s3, s3, s18
	s_addc_u32 s35, s35, s19
	s_waitcnt vmcnt(1)
	v_lshrrev_b32_e32 v17, 16, v11
	s_waitcnt vmcnt(0)
	v_fma_mixlo_f16 v18, v28, v15, 0 op_sel_hi:[0,1,0]
	v_fma_mixlo_f16 v15, v28, v15, 0 op_sel:[0,1,0] op_sel_hi:[0,1,0]
	v_lshrrev_b32_e32 v21, 16, v12
	v_fma_mixlo_f16 v22, v28, v16, 0 op_sel_hi:[0,1,0]
	v_fma_mixlo_f16 v16, v28, v16, 0 op_sel:[0,1,0] op_sel_hi:[0,1,0]
	v_mul_f16_e32 v11, v11, v18
	v_mul_f16_e32 v15, v17, v15
	s_delay_alu instid0(VALU_DEP_4) | instskip(NEXT) | instid1(VALU_DEP_4)
	v_mul_f16_e32 v17, v12, v22
	v_mul_f16_e32 v16, v21, v16
	s_delay_alu instid0(VALU_DEP_4) | instskip(NEXT) | instid1(VALU_DEP_4)
	v_cvt_f32_f16_e64 v18, |v11|
	v_cvt_f32_f16_e64 v15, |v15|
	v_add_co_u32 v11, vcc_lo, s3, v13
	v_add_co_ci_u32_e32 v12, vcc_lo, s35, v14, vcc_lo
	v_cvt_f32_f16_e64 v13, |v17|
	v_cvt_f32_f16_e64 v14, |v16|
	v_max3_f32 v4, v4, v18, v15
	s_delay_alu instid0(VALU_DEP_4) | instskip(SKIP_1) | instid1(VALU_DEP_1)
	v_cmp_ge_i64_e32 vcc_lo, v[11:12], v[9:10]
	v_add_co_u32 v19, s3, v19, s20
	v_add_co_ci_u32_e64 v20, s3, s21, v20, s3
	s_delay_alu instid0(VALU_DEP_4)
	v_max3_f32 v4, v4, v13, v14
	s_or_not1_b32 s3, vcc_lo, exec_lo
	s_branch .LBB64_18
.LBB64_25:
	s_or_b32 exec_lo, exec_lo, s29
.LBB64_26:
	s_delay_alu instid0(SALU_CYCLE_1)
	s_or_b32 exec_lo, exec_lo, s9
	s_lshr_b32 s9, s27, 5
	v_lshlrev_b32_e32 v29, 2, v0
	v_cvt_f32_u32_e32 v9, s9
	s_sub_i32 s17, 0, s9
	s_add_i32 s20, s16, s9
	s_delay_alu instid0(SALU_CYCLE_1) | instskip(NEXT) | instid1(VALU_DEP_1)
	s_add_i32 s20, s20, -1
	v_rcp_iflag_f32_e32 v9, v9
	s_abs_i32 s21, s20
	s_ashr_i32 s20, s20, 31
	ds_store_b32 v29, v4
	s_waitcnt lgkmcnt(0)
	s_barrier
	buffer_gl0_inv
	v_mul_f32_e32 v9, 0x4f7ffffe, v9
	s_delay_alu instid0(VALU_DEP_1) | instskip(NEXT) | instid1(VALU_DEP_1)
	v_cvt_u32_f32_e32 v9, v9
	v_readfirstlane_b32 s3, v9
	s_delay_alu instid0(VALU_DEP_1) | instskip(NEXT) | instid1(SALU_CYCLE_1)
	s_mul_i32 s17, s17, s3
	s_mul_hi_u32 s17, s3, s17
	s_delay_alu instid0(SALU_CYCLE_1) | instskip(SKIP_2) | instid1(SALU_CYCLE_1)
	s_add_i32 s3, s3, s17
	s_ashr_i32 s17, s16, 31
	s_mul_hi_u32 s3, s21, s3
	s_mul_i32 s22, s3, s9
	s_delay_alu instid0(SALU_CYCLE_1)
	s_sub_i32 s21, s21, s22
	s_add_i32 s22, s3, 1
	s_sub_i32 s23, s21, s9
	s_cmp_ge_u32 s21, s9
	s_cselect_b32 s3, s22, s3
	s_cselect_b32 s21, s23, s21
	s_add_i32 s22, s3, 1
	s_cmp_ge_u32 s21, s9
	s_cselect_b32 s3, s22, s3
	s_delay_alu instid0(SALU_CYCLE_1) | instskip(NEXT) | instid1(SALU_CYCLE_1)
	s_xor_b32 s3, s3, s20
	s_sub_i32 s20, s3, s20
	s_delay_alu instid0(SALU_CYCLE_1) | instskip(NEXT) | instid1(SALU_CYCLE_1)
	s_ashr_i32 s21, s20, 31
	v_cmp_lt_i64_e64 s3, s[20:21], 1
	s_delay_alu instid0(VALU_DEP_1)
	s_and_b32 vcc_lo, exec_lo, s3
	s_cbranch_vccnz .LBB64_46
; %bb.27:
	v_lshrrev_b32_e32 v9, 5, v0
	v_and_b32_e32 v4, 31, v0
	s_mov_b64 s[22:23], 0
	s_mov_b64 s[24:25], src_shared_base
	s_delay_alu instid0(VALU_DEP_2) | instskip(NEXT) | instid1(VALU_DEP_2)
	v_mul_lo_u32 v19, s18, v9
	v_add_co_u32 v11, s3, v4, 16
	s_delay_alu instid0(VALU_DEP_1) | instskip(SKIP_1) | instid1(VALU_DEP_1)
	v_add_co_ci_u32_e64 v12, null, 0, 0, s3
	v_add_co_u32 v13, s3, v4, 8
	v_add_co_ci_u32_e64 v14, null, 0, 0, s3
	v_add_co_u32 v15, s3, v4, 4
	v_dual_mov_b32 v10, 0 :: v_dual_lshlrev_b32 v21, 2, v19
	v_lshlrev_b32_e32 v22, 2, v4
	v_add_co_ci_u32_e64 v16, null, 0, 0, s3
	v_add_co_u32 v17, s3, v4, 2
	s_delay_alu instid0(VALU_DEP_1) | instskip(SKIP_1) | instid1(VALU_DEP_1)
	v_add_co_ci_u32_e64 v18, null, 0, 0, s3
	v_add_co_u32 v19, s3, v4, 1
	v_add_co_ci_u32_e64 v20, null, 0, 0, s3
	v_add3_u32 v30, v21, v22, 0x80
	s_mul_i32 s3, s18, s9
	s_delay_alu instid0(SALU_CYCLE_1)
	s_lshl_b32 s28, s3, 2
	s_branch .LBB64_30
.LBB64_28:                              ;   in Loop: Header=BB64_30 Depth=1
	s_or_b32 exec_lo, exec_lo, s3
	v_mov_b32_e32 v22, s25
	flat_load_b32 v21, v[21:22] glc dlc
	s_waitcnt vmcnt(0)
.LBB64_29:                              ;   in Loop: Header=BB64_30 Depth=1
	s_or_b32 exec_lo, exec_lo, s24
	s_add_u32 s22, s22, 1
	v_add_nc_u32_e32 v30, s28, v30
	s_addc_u32 s23, s23, 0
	s_delay_alu instid0(SALU_CYCLE_1)
	s_cmp_eq_u64 s[22:23], s[20:21]
	s_cbranch_scc1 .LBB64_46
.LBB64_30:                              ; =>This Loop Header: Depth=1
                                        ;     Child Loop BB64_33 Depth 2
	s_waitcnt lgkmcnt(0)
	v_mad_u64_u32 v[21:22], null, s22, s9, v[9:10]
	s_mov_b32 s24, exec_lo
	s_delay_alu instid0(VALU_DEP_1) | instskip(NEXT) | instid1(VALU_DEP_1)
	v_mad_u64_u32 v[23:24], null, s23, s9, v[22:23]
	v_mov_b32_e32 v22, v23
	s_delay_alu instid0(VALU_DEP_1)
	v_cmpx_gt_i64_e64 s[16:17], v[21:22]
	s_cbranch_execz .LBB64_29
; %bb.31:                               ;   in Loop: Header=BB64_30 Depth=1
	v_mul_lo_u32 v24, v22, s18
	v_mul_lo_u32 v25, v21, s19
	v_mad_u64_u32 v[22:23], null, v21, s18, 0
	s_delay_alu instid0(VALU_DEP_1) | instskip(NEXT) | instid1(VALU_DEP_2)
	v_add3_u32 v23, v23, v25, v24
	v_add_co_u32 v24, vcc_lo, v22, s18
	v_add_co_u32 v31, s3, v22, v4
	s_delay_alu instid0(VALU_DEP_3) | instskip(SKIP_2) | instid1(VALU_DEP_2)
	v_add_co_ci_u32_e32 v25, vcc_lo, s19, v23, vcc_lo
	v_add_co_ci_u32_e64 v21, s3, 0, v23, s3
	s_mov_b32 s3, exec_lo
	v_cmp_gt_i64_e32 vcc_lo, s[12:13], v[24:25]
	v_cndmask_b32_e32 v25, s13, v25, vcc_lo
	v_cndmask_b32_e32 v24, s12, v24, vcc_lo
	v_add_co_u32 v26, vcc_lo, v31, 32
	v_add_co_ci_u32_e32 v27, vcc_lo, 0, v21, vcc_lo
	v_lshlrev_b32_e32 v21, 2, v31
	s_delay_alu instid0(VALU_DEP_2)
	v_cmpx_lt_i64_e64 v[26:27], v[24:25]
	s_cbranch_execz .LBB64_34
; %bb.32:                               ;   in Loop: Header=BB64_30 Depth=1
	ds_load_b32 v33, v21
	v_mov_b32_e32 v32, v30
	s_mov_b32 s29, 0
.LBB64_33:                              ;   Parent Loop BB64_30 Depth=1
                                        ; =>  This Inner Loop Header: Depth=2
	ds_load_b32 v34, v32
	v_add_co_u32 v26, vcc_lo, v26, 32
	v_add_co_ci_u32_e32 v27, vcc_lo, 0, v27, vcc_lo
	s_waitcnt lgkmcnt(1)
	v_dual_max_f32 v33, v33, v33 :: v_dual_add_nc_u32 v32, 0x80, v32
	s_delay_alu instid0(VALU_DEP_2) | instskip(SKIP_3) | instid1(VALU_DEP_1)
	v_cmp_ge_i64_e32 vcc_lo, v[26:27], v[24:25]
	s_or_b32 s29, vcc_lo, s29
	s_waitcnt lgkmcnt(0)
	v_max_f32_e32 v34, v34, v34
	v_max_f32_e32 v33, v33, v34
	ds_store_b32 v21, v33
	s_and_not1_b32 exec_lo, exec_lo, s29
	s_cbranch_execnz .LBB64_33
.LBB64_34:                              ;   in Loop: Header=BB64_30 Depth=1
	s_or_b32 exec_lo, exec_lo, s3
	v_sub_co_u32 v22, vcc_lo, v24, v22
	v_sub_co_ci_u32_e32 v23, vcc_lo, v25, v23, vcc_lo
	s_mov_b32 s3, exec_lo
	s_delay_alu instid0(VALU_DEP_1) | instskip(SKIP_1) | instid1(VALU_DEP_1)
	v_cmp_gt_i64_e32 vcc_lo, 32, v[22:23]
	v_dual_cndmask_b32 v24, 0, v23 :: v_dual_cndmask_b32 v23, 32, v22
	v_cmpx_lt_i64_e64 v[11:12], v[23:24]
	s_cbranch_execz .LBB64_36
; %bb.35:                               ;   in Loop: Header=BB64_30 Depth=1
	v_dual_mov_b32 v22, s25 :: v_dual_add_nc_u32 v25, 64, v21
	v_mov_b32_e32 v26, s25
	flat_load_b32 v27, v[21:22] glc dlc
	s_waitcnt vmcnt(0)
	flat_load_b32 v25, v[25:26] glc dlc
	s_waitcnt vmcnt(0) lgkmcnt(0)
	v_dual_max_f32 v26, v27, v27 :: v_dual_max_f32 v25, v25, v25
	s_delay_alu instid0(VALU_DEP_1)
	v_max_f32_e32 v25, v26, v25
	flat_store_b32 v[21:22], v25 dlc
	s_waitcnt_vscnt null, 0x0
.LBB64_36:                              ;   in Loop: Header=BB64_30 Depth=1
	s_or_b32 exec_lo, exec_lo, s3
	s_delay_alu instid0(SALU_CYCLE_1)
	s_mov_b32 s3, exec_lo
	v_cmpx_lt_i64_e64 v[13:14], v[23:24]
	s_cbranch_execz .LBB64_38
; %bb.37:                               ;   in Loop: Header=BB64_30 Depth=1
	v_dual_mov_b32 v22, s25 :: v_dual_add_nc_u32 v25, 32, v21
	v_mov_b32_e32 v26, s25
	flat_load_b32 v27, v[21:22] glc dlc
	s_waitcnt vmcnt(0)
	flat_load_b32 v25, v[25:26] glc dlc
	s_waitcnt vmcnt(0) lgkmcnt(0)
	v_dual_max_f32 v26, v27, v27 :: v_dual_max_f32 v25, v25, v25
	s_delay_alu instid0(VALU_DEP_1)
	v_max_f32_e32 v25, v26, v25
	flat_store_b32 v[21:22], v25 dlc
	s_waitcnt_vscnt null, 0x0
.LBB64_38:                              ;   in Loop: Header=BB64_30 Depth=1
	s_or_b32 exec_lo, exec_lo, s3
	s_delay_alu instid0(SALU_CYCLE_1)
	s_mov_b32 s3, exec_lo
	v_cmpx_ge_i64_e64 v[15:16], v[23:24]
	s_xor_b32 s3, exec_lo, s3
; %bb.39:                               ;   in Loop: Header=BB64_30 Depth=1
                                        ; implicit-def: $vgpr21
; %bb.40:                               ;   in Loop: Header=BB64_30 Depth=1
	s_delay_alu instid0(SALU_CYCLE_1)
	s_and_not1_saveexec_b32 s3, s3
	s_cbranch_execz .LBB64_42
; %bb.41:                               ;   in Loop: Header=BB64_30 Depth=1
	v_dual_mov_b32 v22, s25 :: v_dual_add_nc_u32 v25, 16, v21
	v_mov_b32_e32 v26, s25
	flat_load_b32 v27, v[21:22] glc dlc
	s_waitcnt vmcnt(0)
	flat_load_b32 v25, v[25:26] glc dlc
	s_waitcnt vmcnt(0) lgkmcnt(0)
	v_dual_max_f32 v26, v27, v27 :: v_dual_max_f32 v25, v25, v25
	s_delay_alu instid0(VALU_DEP_1)
	v_max_f32_e32 v25, v26, v25
	flat_store_b32 v[21:22], v25 dlc
	s_waitcnt_vscnt null, 0x0
.LBB64_42:                              ;   in Loop: Header=BB64_30 Depth=1
	s_or_b32 exec_lo, exec_lo, s3
	v_lshlrev_b32_e32 v21, 2, v31
	s_mov_b32 s3, exec_lo
	v_cmpx_lt_i64_e64 v[17:18], v[23:24]
	s_cbranch_execz .LBB64_44
; %bb.43:                               ;   in Loop: Header=BB64_30 Depth=1
	s_delay_alu instid0(VALU_DEP_2)
	v_dual_mov_b32 v22, s25 :: v_dual_add_nc_u32 v25, 8, v21
	v_mov_b32_e32 v26, s25
	flat_load_b32 v27, v[21:22] glc dlc
	s_waitcnt vmcnt(0)
	flat_load_b32 v25, v[25:26] glc dlc
	s_waitcnt vmcnt(0) lgkmcnt(0)
	v_dual_max_f32 v26, v27, v27 :: v_dual_max_f32 v25, v25, v25
	s_delay_alu instid0(VALU_DEP_1)
	v_max_f32_e32 v25, v26, v25
	flat_store_b32 v[21:22], v25 dlc
	s_waitcnt_vscnt null, 0x0
.LBB64_44:                              ;   in Loop: Header=BB64_30 Depth=1
	s_or_b32 exec_lo, exec_lo, s3
	s_delay_alu instid0(SALU_CYCLE_1)
	s_mov_b32 s3, exec_lo
	v_cmpx_lt_i64_e64 v[19:20], v[23:24]
	s_cbranch_execz .LBB64_28
; %bb.45:                               ;   in Loop: Header=BB64_30 Depth=1
	v_dual_mov_b32 v22, s25 :: v_dual_add_nc_u32 v23, 4, v21
	v_mov_b32_e32 v24, s25
	flat_load_b32 v25, v[21:22] glc dlc
	s_waitcnt vmcnt(0)
	flat_load_b32 v23, v[23:24] glc dlc
	s_waitcnt vmcnt(0) lgkmcnt(0)
	v_dual_max_f32 v24, v25, v25 :: v_dual_max_f32 v23, v23, v23
	s_delay_alu instid0(VALU_DEP_1)
	v_max_f32_e32 v23, v24, v23
	flat_store_b32 v[21:22], v23 dlc
	s_waitcnt_vscnt null, 0x0
	s_branch .LBB64_28
.LBB64_46:
	v_cmp_lt_i64_e32 vcc_lo, v[7:8], v[5:6]
	v_cmp_eq_u32_e64 s3, 0, v3
	s_mul_i32 s9, s17, s15
	s_mul_hi_u32 s18, s16, s15
	s_mul_i32 s16, s16, s15
	s_waitcnt lgkmcnt(0)
	s_and_b32 s17, s3, vcc_lo
	s_barrier
	buffer_gl0_inv
	s_and_saveexec_b32 s3, s17
	s_cbranch_execz .LBB64_50
; %bb.47:
	s_load_b64 s[0:1], s[0:1], 0x20
	ds_load_b32 v3, v29
	s_waitcnt lgkmcnt(0)
	s_cmp_eq_u64 s[0:1], 0
	s_cbranch_scc1 .LBB64_49
; %bb.48:
	s_load_b32 s0, s[0:1], 0x0
	v_max_f32_e32 v3, v3, v3
	s_waitcnt lgkmcnt(0)
	v_max_f32_e64 v4, s0, s0
	s_delay_alu instid0(VALU_DEP_1)
	v_min_f32_e32 v3, v3, v4
.LBB64_49:
	s_delay_alu instid0(VALU_DEP_1) | instskip(SKIP_2) | instid1(VALU_DEP_2)
	v_div_scale_f32 v4, null, 0x43600000, 0x43600000, v3
	v_div_scale_f32 v7, vcc_lo, v3, 0x43600000, v3
	s_add_i32 s17, s18, s9
	v_rcp_f32_e32 v5, v4
	v_lshlrev_b64 v[1:2], 2, v[1:2]
	s_lshl_b64 s[0:1], s[16:17], 2
	s_delay_alu instid0(SALU_CYCLE_1) | instskip(SKIP_3) | instid1(VALU_DEP_1)
	s_add_u32 s0, s6, s0
	s_addc_u32 s1, s7, s1
	s_waitcnt_depctr 0xfff
	v_fma_f32 v6, -v4, v5, 1.0
	v_fmac_f32_e32 v5, v6, v5
	s_delay_alu instid0(VALU_DEP_1) | instskip(NEXT) | instid1(VALU_DEP_1)
	v_mul_f32_e32 v6, v7, v5
	v_fma_f32 v8, -v4, v6, v7
	s_delay_alu instid0(VALU_DEP_1) | instskip(NEXT) | instid1(VALU_DEP_1)
	v_fmac_f32_e32 v6, v8, v5
	v_fma_f32 v4, -v4, v6, v7
	s_delay_alu instid0(VALU_DEP_1) | instskip(SKIP_2) | instid1(VALU_DEP_3)
	v_div_fmas_f32 v4, v4, v5, v6
	v_add_co_u32 v1, vcc_lo, s0, v1
	v_add_co_ci_u32_e32 v2, vcc_lo, s1, v2, vcc_lo
	v_div_fixup_f32 v3, v4, 0x43600000, v3
	s_delay_alu instid0(VALU_DEP_1)
	v_max_f32_e32 v3, 0x37124925, v3
	global_store_b32 v[1:2], v3, off
.LBB64_50:
	s_or_b32 exec_lo, exec_lo, s3
	s_waitcnt_vscnt null, 0x0
	s_barrier
	buffer_gl0_inv
	s_and_saveexec_b32 s0, s2
	s_cbranch_execz .LBB64_187
; %bb.51:
	s_mul_i32 s0, s13, s15
	s_mul_hi_u32 s1, s12, s15
	s_mul_i32 s2, s12, s15
	s_add_i32 s1, s1, s0
	s_add_u32 s2, s4, s2
	s_addc_u32 s3, s5, s1
	s_add_i32 s17, s18, s9
	v_mov_b32_e32 v1, 0
	s_lshl_b64 s[0:1], s[16:17], 2
	s_mul_i32 s4, s27, 3
	s_add_u32 s0, s6, s0
	s_addc_u32 s1, s7, s1
	s_lshl_b32 s5, s27, 1
	s_mov_b32 s6, 0
	s_mov_b32 s7, 0x43600000
	s_branch .LBB64_57
.LBB64_52:                              ;   in Loop: Header=BB64_57 Depth=1
	s_or_b32 exec_lo, exec_lo, s17
.LBB64_53:                              ;   in Loop: Header=BB64_57 Depth=1
	s_delay_alu instid0(SALU_CYCLE_1)
	s_or_b32 exec_lo, exec_lo, s15
	v_lshlrev_b32_e32 v6, 16, v5
	v_lshlrev_b64 v[4:5], 2, v[0:1]
	v_lshlrev_b32_e32 v8, 8, v8
	s_add_i32 s15, s27, s27
	v_and_b32_e32 v7, 0xff, v7
	v_add3_u32 v0, s15, s27, v2
	v_perm_b32 v6, v3, v6, 0x4020c0c
	v_and_b32_e32 v8, 0xff00, v8
	v_add_co_u32 v2, vcc_lo, s2, v4
	v_add_co_ci_u32_e32 v3, vcc_lo, s3, v5, vcc_lo
	v_cmp_le_u32_e32 vcc_lo, s8, v0
	s_delay_alu instid0(VALU_DEP_4)
	v_or3_b32 v4, v6, v8, v7
	s_or_not1_b32 s15, vcc_lo, exec_lo
	global_store_b32 v[2:3], v4, off
.LBB64_54:                              ;   in Loop: Header=BB64_57 Depth=1
	s_or_b32 exec_lo, exec_lo, s13
	s_delay_alu instid0(SALU_CYCLE_1)
	s_or_not1_b32 s13, s15, exec_lo
.LBB64_55:                              ;   in Loop: Header=BB64_57 Depth=1
	s_or_b32 exec_lo, exec_lo, s12
	s_delay_alu instid0(SALU_CYCLE_1)
	s_or_not1_b32 s12, s13, exec_lo
.LBB64_56:                              ;   in Loop: Header=BB64_57 Depth=1
	s_or_b32 exec_lo, exec_lo, s9
	s_delay_alu instid0(SALU_CYCLE_1) | instskip(NEXT) | instid1(SALU_CYCLE_1)
	s_and_b32 s9, exec_lo, s12
	s_or_b32 s6, s9, s6
	s_delay_alu instid0(SALU_CYCLE_1)
	s_and_not1_b32 exec_lo, exec_lo, s6
	s_cbranch_execz .LBB64_187
.LBB64_57:                              ; =>This Inner Loop Header: Depth=1
	v_lshlrev_b64 v[2:3], 3, v[0:1]
	v_lshrrev_b32_e32 v8, 2, v0
	s_mov_b32 s9, exec_lo
	s_delay_alu instid0(VALU_DEP_2) | instskip(NEXT) | instid1(VALU_DEP_3)
	v_add_co_u32 v4, vcc_lo, s14, v2
	v_add_co_ci_u32_e32 v5, vcc_lo, s26, v3, vcc_lo
	v_add_co_u32 v6, vcc_lo, s10, v2
	v_add_co_ci_u32_e32 v7, vcc_lo, s11, v3, vcc_lo
	global_load_b64 v[2:3], v[4:5], off
	global_load_b64 v[4:5], v[6:7], off
	v_and_b32_e32 v6, 0xffffffc, v8
	global_load_b32 v8, v6, s[0:1]
	s_waitcnt vmcnt(2)
	v_fma_mixlo_f16 v6, v28, v2, 0 op_sel_hi:[0,1,0]
	s_waitcnt vmcnt(1)
	s_delay_alu instid0(VALU_DEP_1) | instskip(NEXT) | instid1(VALU_DEP_1)
	v_mul_f16_e32 v6, v4, v6
	v_cvt_f32_f16_e32 v6, v6
	s_waitcnt vmcnt(0)
	s_delay_alu instid0(VALU_DEP_1) | instskip(SKIP_1) | instid1(VALU_DEP_2)
	v_div_scale_f32 v7, null, v8, v8, v6
	v_div_scale_f32 v11, vcc_lo, v6, v8, v6
	v_rcp_f32_e32 v9, v7
	s_waitcnt_depctr 0xfff
	v_fma_f32 v10, -v7, v9, 1.0
	s_delay_alu instid0(VALU_DEP_1) | instskip(NEXT) | instid1(VALU_DEP_1)
	v_fmac_f32_e32 v9, v10, v9
	v_mul_f32_e32 v10, v11, v9
	s_delay_alu instid0(VALU_DEP_1) | instskip(NEXT) | instid1(VALU_DEP_1)
	v_fma_f32 v12, -v7, v10, v11
	v_fmac_f32_e32 v10, v12, v9
	s_delay_alu instid0(VALU_DEP_1) | instskip(NEXT) | instid1(VALU_DEP_1)
	v_fma_f32 v7, -v7, v10, v11
	v_div_fmas_f32 v7, v7, v9, v10
	s_delay_alu instid0(VALU_DEP_1) | instskip(SKIP_1) | instid1(VALU_DEP_2)
	v_div_fixup_f32 v6, v7, v8, v6
	v_mov_b32_e32 v7, 0x80
	v_minmax_f32 v9, v6, s7, 0xc3600000
	v_mov_b32_e32 v6, 0x80
	s_delay_alu instid0(VALU_DEP_2) | instskip(NEXT) | instid1(VALU_DEP_1)
	v_and_b32_e32 v10, 0x7fffffff, v9
	v_cmpx_gt_u32_e32 0x43800000, v10
	s_cbranch_execz .LBB64_63
; %bb.58:                               ;   in Loop: Header=BB64_57 Depth=1
	v_cmp_lt_u32_e32 vcc_lo, 0x3bffffff, v10
	s_mov_b32 s12, 0
                                        ; implicit-def: $vgpr10
	s_and_saveexec_b32 s13, vcc_lo
	s_delay_alu instid0(SALU_CYCLE_1)
	s_xor_b32 s13, exec_lo, s13
	s_cbranch_execnz .LBB64_154
; %bb.59:                               ;   in Loop: Header=BB64_57 Depth=1
	s_or_saveexec_b32 s13, s13
                                        ; implicit-def: $sgpr15
	s_delay_alu instid0(SALU_CYCLE_1)
	s_xor_b32 exec_lo, exec_lo, s13
	s_cbranch_execnz .LBB64_155
.LBB64_60:                              ;   in Loop: Header=BB64_57 Depth=1
	s_or_b32 exec_lo, exec_lo, s13
	v_mov_b32_e32 v7, s15
	s_and_saveexec_b32 s13, s12
.LBB64_61:                              ;   in Loop: Header=BB64_57 Depth=1
	v_lshrrev_b32_e32 v7, 24, v9
	s_delay_alu instid0(VALU_DEP_1)
	v_and_or_b32 v7, 0x80, v7, v10
.LBB64_62:                              ;   in Loop: Header=BB64_57 Depth=1
	s_or_b32 exec_lo, exec_lo, s13
.LBB64_63:                              ;   in Loop: Header=BB64_57 Depth=1
	s_delay_alu instid0(SALU_CYCLE_1) | instskip(SKIP_3) | instid1(VALU_DEP_1)
	s_or_b32 exec_lo, exec_lo, s9
	v_lshrrev_b32_e32 v4, 16, v4
	v_fma_mixlo_f16 v2, v28, v2, 0 op_sel:[0,1,0] op_sel_hi:[0,1,0]
	s_mov_b32 s9, exec_lo
	v_mul_f16_e32 v2, v4, v2
	s_delay_alu instid0(VALU_DEP_1) | instskip(NEXT) | instid1(VALU_DEP_1)
	v_cvt_f32_f16_e32 v2, v2
	v_div_scale_f32 v4, null, v8, v8, v2
	s_delay_alu instid0(VALU_DEP_1) | instskip(SKIP_2) | instid1(VALU_DEP_1)
	v_rcp_f32_e32 v9, v4
	s_waitcnt_depctr 0xfff
	v_fma_f32 v10, -v4, v9, 1.0
	v_fmac_f32_e32 v9, v10, v9
	v_div_scale_f32 v10, vcc_lo, v2, v8, v2
	s_delay_alu instid0(VALU_DEP_1) | instskip(NEXT) | instid1(VALU_DEP_1)
	v_mul_f32_e32 v11, v10, v9
	v_fma_f32 v12, -v4, v11, v10
	s_delay_alu instid0(VALU_DEP_1) | instskip(NEXT) | instid1(VALU_DEP_1)
	v_fmac_f32_e32 v11, v12, v9
	v_fma_f32 v4, -v4, v11, v10
	s_delay_alu instid0(VALU_DEP_1) | instskip(NEXT) | instid1(VALU_DEP_1)
	v_div_fmas_f32 v4, v4, v9, v11
	v_div_fixup_f32 v2, v4, v8, v2
	s_delay_alu instid0(VALU_DEP_1) | instskip(NEXT) | instid1(VALU_DEP_1)
	v_minmax_f32 v2, v2, s7, 0xc3600000
	v_and_b32_e32 v4, 0x7fffffff, v2
	s_delay_alu instid0(VALU_DEP_1)
	v_cmpx_gt_u32_e32 0x43800000, v4
	s_cbranch_execz .LBB64_69
; %bb.64:                               ;   in Loop: Header=BB64_57 Depth=1
	v_cmp_lt_u32_e32 vcc_lo, 0x3bffffff, v4
	s_mov_b32 s12, 0
                                        ; implicit-def: $vgpr4
	s_and_saveexec_b32 s13, vcc_lo
	s_delay_alu instid0(SALU_CYCLE_1)
	s_xor_b32 s13, exec_lo, s13
	s_cbranch_execnz .LBB64_156
; %bb.65:                               ;   in Loop: Header=BB64_57 Depth=1
	s_or_saveexec_b32 s13, s13
                                        ; implicit-def: $sgpr15
	s_delay_alu instid0(SALU_CYCLE_1)
	s_xor_b32 exec_lo, exec_lo, s13
	s_cbranch_execnz .LBB64_157
.LBB64_66:                              ;   in Loop: Header=BB64_57 Depth=1
	s_or_b32 exec_lo, exec_lo, s13
	v_mov_b32_e32 v6, s15
	s_and_saveexec_b32 s13, s12
.LBB64_67:                              ;   in Loop: Header=BB64_57 Depth=1
	v_lshrrev_b32_e32 v2, 24, v2
	s_delay_alu instid0(VALU_DEP_1)
	v_and_or_b32 v6, 0x80, v2, v4
.LBB64_68:                              ;   in Loop: Header=BB64_57 Depth=1
	s_or_b32 exec_lo, exec_lo, s13
.LBB64_69:                              ;   in Loop: Header=BB64_57 Depth=1
	s_delay_alu instid0(SALU_CYCLE_1) | instskip(SKIP_2) | instid1(VALU_DEP_1)
	s_or_b32 exec_lo, exec_lo, s9
	v_fma_mixlo_f16 v2, v28, v3, 0 op_sel_hi:[0,1,0]
	s_mov_b32 s9, exec_lo
	v_mul_f16_e32 v2, v5, v2
	s_delay_alu instid0(VALU_DEP_1) | instskip(NEXT) | instid1(VALU_DEP_1)
	v_cvt_f32_f16_e32 v2, v2
	v_div_scale_f32 v4, null, v8, v8, v2
	v_div_scale_f32 v11, vcc_lo, v2, v8, v2
	s_delay_alu instid0(VALU_DEP_2) | instskip(SKIP_2) | instid1(VALU_DEP_1)
	v_rcp_f32_e32 v9, v4
	s_waitcnt_depctr 0xfff
	v_fma_f32 v10, -v4, v9, 1.0
	v_fmac_f32_e32 v9, v10, v9
	s_delay_alu instid0(VALU_DEP_1) | instskip(NEXT) | instid1(VALU_DEP_1)
	v_mul_f32_e32 v10, v11, v9
	v_fma_f32 v12, -v4, v10, v11
	s_delay_alu instid0(VALU_DEP_1) | instskip(NEXT) | instid1(VALU_DEP_1)
	v_fmac_f32_e32 v10, v12, v9
	v_fma_f32 v4, -v4, v10, v11
	s_delay_alu instid0(VALU_DEP_1) | instskip(NEXT) | instid1(VALU_DEP_1)
	v_div_fmas_f32 v4, v4, v9, v10
	v_div_fixup_f32 v2, v4, v8, v2
	v_mov_b32_e32 v4, 0x80
	s_delay_alu instid0(VALU_DEP_2) | instskip(SKIP_1) | instid1(VALU_DEP_2)
	v_minmax_f32 v9, v2, s7, 0xc3600000
	v_mov_b32_e32 v2, 0x80
	v_and_b32_e32 v10, 0x7fffffff, v9
	s_delay_alu instid0(VALU_DEP_1)
	v_cmpx_gt_u32_e32 0x43800000, v10
	s_cbranch_execz .LBB64_75
; %bb.70:                               ;   in Loop: Header=BB64_57 Depth=1
	v_cmp_lt_u32_e32 vcc_lo, 0x3bffffff, v10
	s_mov_b32 s12, 0
                                        ; implicit-def: $vgpr10
	s_and_saveexec_b32 s13, vcc_lo
	s_delay_alu instid0(SALU_CYCLE_1)
	s_xor_b32 s13, exec_lo, s13
	s_cbranch_execnz .LBB64_158
; %bb.71:                               ;   in Loop: Header=BB64_57 Depth=1
	s_or_saveexec_b32 s13, s13
                                        ; implicit-def: $sgpr15
	s_delay_alu instid0(SALU_CYCLE_1)
	s_xor_b32 exec_lo, exec_lo, s13
	s_cbranch_execnz .LBB64_159
.LBB64_72:                              ;   in Loop: Header=BB64_57 Depth=1
	s_or_b32 exec_lo, exec_lo, s13
	v_mov_b32_e32 v4, s15
	s_and_saveexec_b32 s13, s12
.LBB64_73:                              ;   in Loop: Header=BB64_57 Depth=1
	v_lshrrev_b32_e32 v4, 24, v9
	s_delay_alu instid0(VALU_DEP_1)
	v_and_or_b32 v4, 0x80, v4, v10
.LBB64_74:                              ;   in Loop: Header=BB64_57 Depth=1
	s_or_b32 exec_lo, exec_lo, s13
.LBB64_75:                              ;   in Loop: Header=BB64_57 Depth=1
	s_delay_alu instid0(SALU_CYCLE_1) | instskip(SKIP_3) | instid1(VALU_DEP_1)
	s_or_b32 exec_lo, exec_lo, s9
	v_lshrrev_b32_e32 v5, 16, v5
	v_fma_mixlo_f16 v3, v28, v3, 0 op_sel:[0,1,0] op_sel_hi:[0,1,0]
	s_mov_b32 s9, exec_lo
	v_mul_f16_e32 v3, v5, v3
	s_delay_alu instid0(VALU_DEP_1) | instskip(NEXT) | instid1(VALU_DEP_1)
	v_cvt_f32_f16_e32 v3, v3
	v_div_scale_f32 v5, null, v8, v8, v3
	s_delay_alu instid0(VALU_DEP_1) | instskip(SKIP_2) | instid1(VALU_DEP_1)
	v_rcp_f32_e32 v9, v5
	s_waitcnt_depctr 0xfff
	v_fma_f32 v10, -v5, v9, 1.0
	v_fmac_f32_e32 v9, v10, v9
	v_div_scale_f32 v10, vcc_lo, v3, v8, v3
	s_delay_alu instid0(VALU_DEP_1) | instskip(NEXT) | instid1(VALU_DEP_1)
	v_mul_f32_e32 v11, v10, v9
	v_fma_f32 v12, -v5, v11, v10
	s_delay_alu instid0(VALU_DEP_1) | instskip(NEXT) | instid1(VALU_DEP_1)
	v_fmac_f32_e32 v11, v12, v9
	v_fma_f32 v5, -v5, v11, v10
	s_delay_alu instid0(VALU_DEP_1) | instskip(NEXT) | instid1(VALU_DEP_1)
	v_div_fmas_f32 v5, v5, v9, v11
	v_div_fixup_f32 v3, v5, v8, v3
	s_delay_alu instid0(VALU_DEP_1) | instskip(NEXT) | instid1(VALU_DEP_1)
	v_minmax_f32 v3, v3, s7, 0xc3600000
	v_and_b32_e32 v5, 0x7fffffff, v3
	s_delay_alu instid0(VALU_DEP_1)
	v_cmpx_gt_u32_e32 0x43800000, v5
	s_cbranch_execz .LBB64_81
; %bb.76:                               ;   in Loop: Header=BB64_57 Depth=1
	v_cmp_lt_u32_e32 vcc_lo, 0x3bffffff, v5
	s_mov_b32 s12, 0
                                        ; implicit-def: $vgpr5
	s_and_saveexec_b32 s13, vcc_lo
	s_delay_alu instid0(SALU_CYCLE_1)
	s_xor_b32 s13, exec_lo, s13
	s_cbranch_execnz .LBB64_160
; %bb.77:                               ;   in Loop: Header=BB64_57 Depth=1
	s_or_saveexec_b32 s13, s13
                                        ; implicit-def: $sgpr15
	s_delay_alu instid0(SALU_CYCLE_1)
	s_xor_b32 exec_lo, exec_lo, s13
	s_cbranch_execnz .LBB64_161
.LBB64_78:                              ;   in Loop: Header=BB64_57 Depth=1
	s_or_b32 exec_lo, exec_lo, s13
	v_mov_b32_e32 v2, s15
	s_and_saveexec_b32 s13, s12
.LBB64_79:                              ;   in Loop: Header=BB64_57 Depth=1
	v_lshrrev_b32_e32 v2, 24, v3
	s_delay_alu instid0(VALU_DEP_1)
	v_and_or_b32 v2, 0x80, v2, v5
.LBB64_80:                              ;   in Loop: Header=BB64_57 Depth=1
	s_or_b32 exec_lo, exec_lo, s13
.LBB64_81:                              ;   in Loop: Header=BB64_57 Depth=1
	s_delay_alu instid0(SALU_CYCLE_1)
	s_or_b32 exec_lo, exec_lo, s9
	v_lshlrev_b32_e32 v5, 16, v4
	v_lshlrev_b32_e32 v6, 8, v6
	v_lshlrev_b64 v[3:4], 2, v[0:1]
	v_and_b32_e32 v7, 0xff, v7
	s_mov_b32 s12, -1
	v_perm_b32 v5, v2, v5, 0x4020c0c
	v_and_b32_e32 v6, 0xff00, v6
	v_add_nc_u32_e32 v2, s27, v0
	v_add_co_u32 v3, vcc_lo, s2, v3
	v_add_co_ci_u32_e32 v4, vcc_lo, s3, v4, vcc_lo
	s_delay_alu instid0(VALU_DEP_4)
	v_or3_b32 v5, v5, v6, v7
	s_mov_b32 s9, exec_lo
	global_store_b32 v[3:4], v5, off
	v_cmpx_gt_u32_e64 s8, v2
	s_cbranch_execz .LBB64_56
; %bb.82:                               ;   in Loop: Header=BB64_57 Depth=1
	v_lshrrev_b32_e32 v10, 2, v2
	v_mov_b32_e32 v3, v1
	s_mov_b32 s12, exec_lo
	s_delay_alu instid0(VALU_DEP_1) | instskip(NEXT) | instid1(VALU_DEP_1)
	v_lshlrev_b64 v[4:5], 3, v[2:3]
	v_add_co_u32 v6, vcc_lo, s14, v4
	s_delay_alu instid0(VALU_DEP_2)
	v_add_co_ci_u32_e32 v7, vcc_lo, s26, v5, vcc_lo
	v_add_co_u32 v8, vcc_lo, s10, v4
	v_add_co_ci_u32_e32 v9, vcc_lo, s11, v5, vcc_lo
	global_load_b64 v[4:5], v[6:7], off
	global_load_b64 v[6:7], v[8:9], off
	v_and_b32_e32 v8, 0xffffffc, v10
	global_load_b32 v10, v8, s[0:1]
	s_waitcnt vmcnt(2)
	v_fma_mixlo_f16 v8, v28, v4, 0 op_sel_hi:[0,1,0]
	s_waitcnt vmcnt(1)
	s_delay_alu instid0(VALU_DEP_1) | instskip(NEXT) | instid1(VALU_DEP_1)
	v_mul_f16_e32 v8, v6, v8
	v_cvt_f32_f16_e32 v8, v8
	s_waitcnt vmcnt(0)
	s_delay_alu instid0(VALU_DEP_1) | instskip(SKIP_1) | instid1(VALU_DEP_2)
	v_div_scale_f32 v9, null, v10, v10, v8
	v_div_scale_f32 v13, vcc_lo, v8, v10, v8
	v_rcp_f32_e32 v11, v9
	s_waitcnt_depctr 0xfff
	v_fma_f32 v12, -v9, v11, 1.0
	s_delay_alu instid0(VALU_DEP_1) | instskip(NEXT) | instid1(VALU_DEP_1)
	v_fmac_f32_e32 v11, v12, v11
	v_mul_f32_e32 v12, v13, v11
	s_delay_alu instid0(VALU_DEP_1) | instskip(NEXT) | instid1(VALU_DEP_1)
	v_fma_f32 v14, -v9, v12, v13
	v_fmac_f32_e32 v12, v14, v11
	s_delay_alu instid0(VALU_DEP_1) | instskip(NEXT) | instid1(VALU_DEP_1)
	v_fma_f32 v9, -v9, v12, v13
	v_div_fmas_f32 v9, v9, v11, v12
	s_delay_alu instid0(VALU_DEP_1) | instskip(SKIP_1) | instid1(VALU_DEP_2)
	v_div_fixup_f32 v8, v9, v10, v8
	v_mov_b32_e32 v9, 0x80
	v_minmax_f32 v11, v8, s7, 0xc3600000
	v_mov_b32_e32 v8, 0x80
	s_delay_alu instid0(VALU_DEP_2) | instskip(NEXT) | instid1(VALU_DEP_1)
	v_and_b32_e32 v12, 0x7fffffff, v11
	v_cmpx_gt_u32_e32 0x43800000, v12
	s_cbranch_execz .LBB64_88
; %bb.83:                               ;   in Loop: Header=BB64_57 Depth=1
	v_cmp_lt_u32_e32 vcc_lo, 0x3bffffff, v12
	s_mov_b32 s13, 0
                                        ; implicit-def: $vgpr12
	s_and_saveexec_b32 s15, vcc_lo
	s_delay_alu instid0(SALU_CYCLE_1)
	s_xor_b32 s15, exec_lo, s15
	s_cbranch_execnz .LBB64_162
; %bb.84:                               ;   in Loop: Header=BB64_57 Depth=1
	s_or_saveexec_b32 s15, s15
                                        ; implicit-def: $sgpr16
	s_delay_alu instid0(SALU_CYCLE_1)
	s_xor_b32 exec_lo, exec_lo, s15
	s_cbranch_execnz .LBB64_163
.LBB64_85:                              ;   in Loop: Header=BB64_57 Depth=1
	s_or_b32 exec_lo, exec_lo, s15
	v_mov_b32_e32 v8, s16
	s_and_saveexec_b32 s15, s13
.LBB64_86:                              ;   in Loop: Header=BB64_57 Depth=1
	v_lshrrev_b32_e32 v8, 24, v11
	s_delay_alu instid0(VALU_DEP_1)
	v_and_or_b32 v8, 0x80, v8, v12
.LBB64_87:                              ;   in Loop: Header=BB64_57 Depth=1
	s_or_b32 exec_lo, exec_lo, s15
.LBB64_88:                              ;   in Loop: Header=BB64_57 Depth=1
	s_delay_alu instid0(SALU_CYCLE_1) | instskip(SKIP_3) | instid1(VALU_DEP_1)
	s_or_b32 exec_lo, exec_lo, s12
	v_lshrrev_b32_e32 v6, 16, v6
	v_fma_mixlo_f16 v4, v28, v4, 0 op_sel:[0,1,0] op_sel_hi:[0,1,0]
	s_mov_b32 s12, exec_lo
	v_mul_f16_e32 v4, v6, v4
	s_delay_alu instid0(VALU_DEP_1) | instskip(NEXT) | instid1(VALU_DEP_1)
	v_cvt_f32_f16_e32 v4, v4
	v_div_scale_f32 v6, null, v10, v10, v4
	s_delay_alu instid0(VALU_DEP_1) | instskip(SKIP_2) | instid1(VALU_DEP_1)
	v_rcp_f32_e32 v11, v6
	s_waitcnt_depctr 0xfff
	v_fma_f32 v12, -v6, v11, 1.0
	v_fmac_f32_e32 v11, v12, v11
	v_div_scale_f32 v12, vcc_lo, v4, v10, v4
	s_delay_alu instid0(VALU_DEP_1) | instskip(NEXT) | instid1(VALU_DEP_1)
	v_mul_f32_e32 v13, v12, v11
	v_fma_f32 v14, -v6, v13, v12
	s_delay_alu instid0(VALU_DEP_1) | instskip(NEXT) | instid1(VALU_DEP_1)
	v_fmac_f32_e32 v13, v14, v11
	v_fma_f32 v6, -v6, v13, v12
	s_delay_alu instid0(VALU_DEP_1) | instskip(NEXT) | instid1(VALU_DEP_1)
	v_div_fmas_f32 v6, v6, v11, v13
	v_div_fixup_f32 v4, v6, v10, v4
	s_delay_alu instid0(VALU_DEP_1) | instskip(NEXT) | instid1(VALU_DEP_1)
	v_minmax_f32 v4, v4, s7, 0xc3600000
	v_and_b32_e32 v6, 0x7fffffff, v4
	s_delay_alu instid0(VALU_DEP_1)
	v_cmpx_gt_u32_e32 0x43800000, v6
	s_cbranch_execz .LBB64_94
; %bb.89:                               ;   in Loop: Header=BB64_57 Depth=1
	v_cmp_lt_u32_e32 vcc_lo, 0x3bffffff, v6
	s_mov_b32 s13, 0
                                        ; implicit-def: $vgpr6
	s_and_saveexec_b32 s15, vcc_lo
	s_delay_alu instid0(SALU_CYCLE_1)
	s_xor_b32 s15, exec_lo, s15
	s_cbranch_execnz .LBB64_164
; %bb.90:                               ;   in Loop: Header=BB64_57 Depth=1
	s_or_saveexec_b32 s15, s15
                                        ; implicit-def: $sgpr16
	s_delay_alu instid0(SALU_CYCLE_1)
	s_xor_b32 exec_lo, exec_lo, s15
	s_cbranch_execnz .LBB64_165
.LBB64_91:                              ;   in Loop: Header=BB64_57 Depth=1
	s_or_b32 exec_lo, exec_lo, s15
	v_mov_b32_e32 v9, s16
	s_and_saveexec_b32 s15, s13
.LBB64_92:                              ;   in Loop: Header=BB64_57 Depth=1
	v_lshrrev_b32_e32 v4, 24, v4
	s_delay_alu instid0(VALU_DEP_1)
	v_and_or_b32 v9, 0x80, v4, v6
.LBB64_93:                              ;   in Loop: Header=BB64_57 Depth=1
	s_or_b32 exec_lo, exec_lo, s15
.LBB64_94:                              ;   in Loop: Header=BB64_57 Depth=1
	s_delay_alu instid0(SALU_CYCLE_1) | instskip(SKIP_2) | instid1(VALU_DEP_1)
	s_or_b32 exec_lo, exec_lo, s12
	v_fma_mixlo_f16 v4, v28, v5, 0 op_sel_hi:[0,1,0]
	s_mov_b32 s12, exec_lo
	v_mul_f16_e32 v4, v7, v4
	s_delay_alu instid0(VALU_DEP_1) | instskip(NEXT) | instid1(VALU_DEP_1)
	v_cvt_f32_f16_e32 v4, v4
	v_div_scale_f32 v6, null, v10, v10, v4
	v_div_scale_f32 v13, vcc_lo, v4, v10, v4
	s_delay_alu instid0(VALU_DEP_2) | instskip(SKIP_2) | instid1(VALU_DEP_1)
	v_rcp_f32_e32 v11, v6
	s_waitcnt_depctr 0xfff
	v_fma_f32 v12, -v6, v11, 1.0
	v_fmac_f32_e32 v11, v12, v11
	s_delay_alu instid0(VALU_DEP_1) | instskip(NEXT) | instid1(VALU_DEP_1)
	v_mul_f32_e32 v12, v13, v11
	v_fma_f32 v14, -v6, v12, v13
	s_delay_alu instid0(VALU_DEP_1) | instskip(NEXT) | instid1(VALU_DEP_1)
	v_fmac_f32_e32 v12, v14, v11
	v_fma_f32 v6, -v6, v12, v13
	s_delay_alu instid0(VALU_DEP_1) | instskip(NEXT) | instid1(VALU_DEP_1)
	v_div_fmas_f32 v6, v6, v11, v12
	v_div_fixup_f32 v4, v6, v10, v4
	v_mov_b32_e32 v6, 0x80
	s_delay_alu instid0(VALU_DEP_2) | instskip(SKIP_1) | instid1(VALU_DEP_2)
	v_minmax_f32 v11, v4, s7, 0xc3600000
	v_mov_b32_e32 v4, 0x80
	v_and_b32_e32 v12, 0x7fffffff, v11
	s_delay_alu instid0(VALU_DEP_1)
	v_cmpx_gt_u32_e32 0x43800000, v12
	s_cbranch_execz .LBB64_100
; %bb.95:                               ;   in Loop: Header=BB64_57 Depth=1
	v_cmp_lt_u32_e32 vcc_lo, 0x3bffffff, v12
	s_mov_b32 s13, 0
                                        ; implicit-def: $vgpr12
	s_and_saveexec_b32 s15, vcc_lo
	s_delay_alu instid0(SALU_CYCLE_1)
	s_xor_b32 s15, exec_lo, s15
	s_cbranch_execnz .LBB64_166
; %bb.96:                               ;   in Loop: Header=BB64_57 Depth=1
	s_or_saveexec_b32 s15, s15
                                        ; implicit-def: $sgpr16
	s_delay_alu instid0(SALU_CYCLE_1)
	s_xor_b32 exec_lo, exec_lo, s15
	s_cbranch_execnz .LBB64_167
.LBB64_97:                              ;   in Loop: Header=BB64_57 Depth=1
	s_or_b32 exec_lo, exec_lo, s15
	v_mov_b32_e32 v6, s16
	s_and_saveexec_b32 s15, s13
.LBB64_98:                              ;   in Loop: Header=BB64_57 Depth=1
	v_lshrrev_b32_e32 v6, 24, v11
	s_delay_alu instid0(VALU_DEP_1)
	v_and_or_b32 v6, 0x80, v6, v12
.LBB64_99:                              ;   in Loop: Header=BB64_57 Depth=1
	s_or_b32 exec_lo, exec_lo, s15
.LBB64_100:                             ;   in Loop: Header=BB64_57 Depth=1
	s_delay_alu instid0(SALU_CYCLE_1) | instskip(SKIP_3) | instid1(VALU_DEP_1)
	s_or_b32 exec_lo, exec_lo, s12
	v_lshrrev_b32_e32 v7, 16, v7
	v_fma_mixlo_f16 v5, v28, v5, 0 op_sel:[0,1,0] op_sel_hi:[0,1,0]
	s_mov_b32 s12, exec_lo
	v_mul_f16_e32 v5, v7, v5
	s_delay_alu instid0(VALU_DEP_1) | instskip(NEXT) | instid1(VALU_DEP_1)
	v_cvt_f32_f16_e32 v5, v5
	v_div_scale_f32 v7, null, v10, v10, v5
	s_delay_alu instid0(VALU_DEP_1) | instskip(SKIP_2) | instid1(VALU_DEP_1)
	v_rcp_f32_e32 v11, v7
	s_waitcnt_depctr 0xfff
	v_fma_f32 v12, -v7, v11, 1.0
	v_fmac_f32_e32 v11, v12, v11
	v_div_scale_f32 v12, vcc_lo, v5, v10, v5
	s_delay_alu instid0(VALU_DEP_1) | instskip(NEXT) | instid1(VALU_DEP_1)
	v_mul_f32_e32 v13, v12, v11
	v_fma_f32 v14, -v7, v13, v12
	s_delay_alu instid0(VALU_DEP_1) | instskip(NEXT) | instid1(VALU_DEP_1)
	v_fmac_f32_e32 v13, v14, v11
	v_fma_f32 v7, -v7, v13, v12
	s_delay_alu instid0(VALU_DEP_1) | instskip(NEXT) | instid1(VALU_DEP_1)
	v_div_fmas_f32 v7, v7, v11, v13
	v_div_fixup_f32 v5, v7, v10, v5
	s_delay_alu instid0(VALU_DEP_1) | instskip(NEXT) | instid1(VALU_DEP_1)
	v_minmax_f32 v5, v5, s7, 0xc3600000
	v_and_b32_e32 v7, 0x7fffffff, v5
	s_delay_alu instid0(VALU_DEP_1)
	v_cmpx_gt_u32_e32 0x43800000, v7
	s_cbranch_execz .LBB64_106
; %bb.101:                              ;   in Loop: Header=BB64_57 Depth=1
	v_cmp_lt_u32_e32 vcc_lo, 0x3bffffff, v7
	s_mov_b32 s13, 0
                                        ; implicit-def: $vgpr7
	s_and_saveexec_b32 s15, vcc_lo
	s_delay_alu instid0(SALU_CYCLE_1)
	s_xor_b32 s15, exec_lo, s15
	s_cbranch_execnz .LBB64_168
; %bb.102:                              ;   in Loop: Header=BB64_57 Depth=1
	s_or_saveexec_b32 s15, s15
                                        ; implicit-def: $sgpr16
	s_delay_alu instid0(SALU_CYCLE_1)
	s_xor_b32 exec_lo, exec_lo, s15
	s_cbranch_execnz .LBB64_169
.LBB64_103:                             ;   in Loop: Header=BB64_57 Depth=1
	s_or_b32 exec_lo, exec_lo, s15
	v_mov_b32_e32 v4, s16
	s_and_saveexec_b32 s15, s13
.LBB64_104:                             ;   in Loop: Header=BB64_57 Depth=1
	v_lshrrev_b32_e32 v4, 24, v5
	s_delay_alu instid0(VALU_DEP_1)
	v_and_or_b32 v4, 0x80, v4, v7
.LBB64_105:                             ;   in Loop: Header=BB64_57 Depth=1
	s_or_b32 exec_lo, exec_lo, s15
.LBB64_106:                             ;   in Loop: Header=BB64_57 Depth=1
	s_delay_alu instid0(SALU_CYCLE_1)
	s_or_b32 exec_lo, exec_lo, s12
	v_lshlrev_b32_e32 v7, 16, v6
	v_lshlrev_b32_e32 v9, 8, v9
	v_lshlrev_b64 v[5:6], 2, v[2:3]
	v_and_b32_e32 v8, 0xff, v8
	v_add_nc_u32_e32 v3, s5, v0
	v_perm_b32 v7, v4, v7, 0x4020c0c
	v_and_b32_e32 v9, 0xff00, v9
	s_mov_b32 s13, -1
	v_add_co_u32 v4, vcc_lo, s2, v5
	v_add_co_ci_u32_e32 v5, vcc_lo, s3, v6, vcc_lo
	s_delay_alu instid0(VALU_DEP_3)
	v_or3_b32 v6, v7, v9, v8
	s_mov_b32 s12, exec_lo
	global_store_b32 v[4:5], v6, off
	v_cmpx_gt_u32_e64 s8, v3
	s_cbranch_execz .LBB64_55
; %bb.107:                              ;   in Loop: Header=BB64_57 Depth=1
	v_lshrrev_b32_e32 v11, 2, v3
	v_mov_b32_e32 v4, v1
	s_mov_b32 s13, exec_lo
	s_delay_alu instid0(VALU_DEP_1) | instskip(NEXT) | instid1(VALU_DEP_1)
	v_lshlrev_b64 v[5:6], 3, v[3:4]
	v_add_co_u32 v7, vcc_lo, s14, v5
	s_delay_alu instid0(VALU_DEP_2)
	v_add_co_ci_u32_e32 v8, vcc_lo, s26, v6, vcc_lo
	v_add_co_u32 v9, vcc_lo, s10, v5
	v_add_co_ci_u32_e32 v10, vcc_lo, s11, v6, vcc_lo
	global_load_b64 v[5:6], v[7:8], off
	global_load_b64 v[7:8], v[9:10], off
	v_and_b32_e32 v9, 0xffffffc, v11
	global_load_b32 v11, v9, s[0:1]
	s_waitcnt vmcnt(2)
	v_fma_mixlo_f16 v9, v28, v5, 0 op_sel_hi:[0,1,0]
	s_waitcnt vmcnt(1)
	s_delay_alu instid0(VALU_DEP_1) | instskip(NEXT) | instid1(VALU_DEP_1)
	v_mul_f16_e32 v9, v7, v9
	v_cvt_f32_f16_e32 v9, v9
	s_waitcnt vmcnt(0)
	s_delay_alu instid0(VALU_DEP_1) | instskip(SKIP_1) | instid1(VALU_DEP_2)
	v_div_scale_f32 v10, null, v11, v11, v9
	v_div_scale_f32 v14, vcc_lo, v9, v11, v9
	v_rcp_f32_e32 v12, v10
	s_waitcnt_depctr 0xfff
	v_fma_f32 v13, -v10, v12, 1.0
	s_delay_alu instid0(VALU_DEP_1) | instskip(NEXT) | instid1(VALU_DEP_1)
	v_fmac_f32_e32 v12, v13, v12
	v_mul_f32_e32 v13, v14, v12
	s_delay_alu instid0(VALU_DEP_1) | instskip(NEXT) | instid1(VALU_DEP_1)
	v_fma_f32 v15, -v10, v13, v14
	v_fmac_f32_e32 v13, v15, v12
	s_delay_alu instid0(VALU_DEP_1) | instskip(NEXT) | instid1(VALU_DEP_1)
	v_fma_f32 v10, -v10, v13, v14
	v_div_fmas_f32 v10, v10, v12, v13
	s_delay_alu instid0(VALU_DEP_1) | instskip(SKIP_1) | instid1(VALU_DEP_2)
	v_div_fixup_f32 v9, v10, v11, v9
	v_mov_b32_e32 v10, 0x80
	v_minmax_f32 v12, v9, s7, 0xc3600000
	v_mov_b32_e32 v9, 0x80
	s_delay_alu instid0(VALU_DEP_2) | instskip(NEXT) | instid1(VALU_DEP_1)
	v_and_b32_e32 v13, 0x7fffffff, v12
	v_cmpx_gt_u32_e32 0x43800000, v13
	s_cbranch_execz .LBB64_113
; %bb.108:                              ;   in Loop: Header=BB64_57 Depth=1
	v_cmp_lt_u32_e32 vcc_lo, 0x3bffffff, v13
	s_mov_b32 s15, 0
                                        ; implicit-def: $vgpr13
	s_and_saveexec_b32 s16, vcc_lo
	s_delay_alu instid0(SALU_CYCLE_1)
	s_xor_b32 s16, exec_lo, s16
	s_cbranch_execnz .LBB64_170
; %bb.109:                              ;   in Loop: Header=BB64_57 Depth=1
	s_or_saveexec_b32 s16, s16
                                        ; implicit-def: $sgpr17
	s_delay_alu instid0(SALU_CYCLE_1)
	s_xor_b32 exec_lo, exec_lo, s16
	s_cbranch_execnz .LBB64_171
.LBB64_110:                             ;   in Loop: Header=BB64_57 Depth=1
	s_or_b32 exec_lo, exec_lo, s16
	v_mov_b32_e32 v9, s17
	s_and_saveexec_b32 s16, s15
.LBB64_111:                             ;   in Loop: Header=BB64_57 Depth=1
	v_lshrrev_b32_e32 v9, 24, v12
	s_delay_alu instid0(VALU_DEP_1)
	v_and_or_b32 v9, 0x80, v9, v13
.LBB64_112:                             ;   in Loop: Header=BB64_57 Depth=1
	s_or_b32 exec_lo, exec_lo, s16
.LBB64_113:                             ;   in Loop: Header=BB64_57 Depth=1
	s_delay_alu instid0(SALU_CYCLE_1) | instskip(SKIP_3) | instid1(VALU_DEP_1)
	s_or_b32 exec_lo, exec_lo, s13
	v_lshrrev_b32_e32 v7, 16, v7
	v_fma_mixlo_f16 v5, v28, v5, 0 op_sel:[0,1,0] op_sel_hi:[0,1,0]
	s_mov_b32 s13, exec_lo
	v_mul_f16_e32 v5, v7, v5
	s_delay_alu instid0(VALU_DEP_1) | instskip(NEXT) | instid1(VALU_DEP_1)
	v_cvt_f32_f16_e32 v5, v5
	v_div_scale_f32 v7, null, v11, v11, v5
	s_delay_alu instid0(VALU_DEP_1) | instskip(SKIP_2) | instid1(VALU_DEP_1)
	v_rcp_f32_e32 v12, v7
	s_waitcnt_depctr 0xfff
	v_fma_f32 v13, -v7, v12, 1.0
	v_fmac_f32_e32 v12, v13, v12
	v_div_scale_f32 v13, vcc_lo, v5, v11, v5
	s_delay_alu instid0(VALU_DEP_1) | instskip(NEXT) | instid1(VALU_DEP_1)
	v_mul_f32_e32 v14, v13, v12
	v_fma_f32 v15, -v7, v14, v13
	s_delay_alu instid0(VALU_DEP_1) | instskip(NEXT) | instid1(VALU_DEP_1)
	v_fmac_f32_e32 v14, v15, v12
	v_fma_f32 v7, -v7, v14, v13
	s_delay_alu instid0(VALU_DEP_1) | instskip(NEXT) | instid1(VALU_DEP_1)
	v_div_fmas_f32 v7, v7, v12, v14
	v_div_fixup_f32 v5, v7, v11, v5
	s_delay_alu instid0(VALU_DEP_1) | instskip(NEXT) | instid1(VALU_DEP_1)
	v_minmax_f32 v5, v5, s7, 0xc3600000
	v_and_b32_e32 v7, 0x7fffffff, v5
	s_delay_alu instid0(VALU_DEP_1)
	v_cmpx_gt_u32_e32 0x43800000, v7
	s_cbranch_execz .LBB64_119
; %bb.114:                              ;   in Loop: Header=BB64_57 Depth=1
	v_cmp_lt_u32_e32 vcc_lo, 0x3bffffff, v7
	s_mov_b32 s15, 0
                                        ; implicit-def: $vgpr7
	s_and_saveexec_b32 s16, vcc_lo
	s_delay_alu instid0(SALU_CYCLE_1)
	s_xor_b32 s16, exec_lo, s16
	s_cbranch_execnz .LBB64_172
; %bb.115:                              ;   in Loop: Header=BB64_57 Depth=1
	s_or_saveexec_b32 s16, s16
                                        ; implicit-def: $sgpr17
	s_delay_alu instid0(SALU_CYCLE_1)
	s_xor_b32 exec_lo, exec_lo, s16
	s_cbranch_execnz .LBB64_173
.LBB64_116:                             ;   in Loop: Header=BB64_57 Depth=1
	s_or_b32 exec_lo, exec_lo, s16
	v_mov_b32_e32 v10, s17
	s_and_saveexec_b32 s16, s15
.LBB64_117:                             ;   in Loop: Header=BB64_57 Depth=1
	v_lshrrev_b32_e32 v5, 24, v5
	s_delay_alu instid0(VALU_DEP_1)
	v_and_or_b32 v10, 0x80, v5, v7
.LBB64_118:                             ;   in Loop: Header=BB64_57 Depth=1
	s_or_b32 exec_lo, exec_lo, s16
.LBB64_119:                             ;   in Loop: Header=BB64_57 Depth=1
	s_delay_alu instid0(SALU_CYCLE_1) | instskip(SKIP_2) | instid1(VALU_DEP_1)
	s_or_b32 exec_lo, exec_lo, s13
	v_fma_mixlo_f16 v5, v28, v6, 0 op_sel_hi:[0,1,0]
	s_mov_b32 s13, exec_lo
	v_mul_f16_e32 v5, v8, v5
	s_delay_alu instid0(VALU_DEP_1) | instskip(NEXT) | instid1(VALU_DEP_1)
	v_cvt_f32_f16_e32 v5, v5
	v_div_scale_f32 v7, null, v11, v11, v5
	v_div_scale_f32 v14, vcc_lo, v5, v11, v5
	s_delay_alu instid0(VALU_DEP_2) | instskip(SKIP_2) | instid1(VALU_DEP_1)
	v_rcp_f32_e32 v12, v7
	s_waitcnt_depctr 0xfff
	v_fma_f32 v13, -v7, v12, 1.0
	v_fmac_f32_e32 v12, v13, v12
	s_delay_alu instid0(VALU_DEP_1) | instskip(NEXT) | instid1(VALU_DEP_1)
	v_mul_f32_e32 v13, v14, v12
	v_fma_f32 v15, -v7, v13, v14
	s_delay_alu instid0(VALU_DEP_1) | instskip(NEXT) | instid1(VALU_DEP_1)
	v_fmac_f32_e32 v13, v15, v12
	v_fma_f32 v7, -v7, v13, v14
	s_delay_alu instid0(VALU_DEP_1) | instskip(NEXT) | instid1(VALU_DEP_1)
	v_div_fmas_f32 v7, v7, v12, v13
	v_div_fixup_f32 v5, v7, v11, v5
	v_mov_b32_e32 v7, 0x80
	s_delay_alu instid0(VALU_DEP_2) | instskip(SKIP_1) | instid1(VALU_DEP_2)
	v_minmax_f32 v12, v5, s7, 0xc3600000
	v_mov_b32_e32 v5, 0x80
	v_and_b32_e32 v13, 0x7fffffff, v12
	s_delay_alu instid0(VALU_DEP_1)
	v_cmpx_gt_u32_e32 0x43800000, v13
	s_cbranch_execz .LBB64_125
; %bb.120:                              ;   in Loop: Header=BB64_57 Depth=1
	v_cmp_lt_u32_e32 vcc_lo, 0x3bffffff, v13
	s_mov_b32 s15, 0
                                        ; implicit-def: $vgpr13
	s_and_saveexec_b32 s16, vcc_lo
	s_delay_alu instid0(SALU_CYCLE_1)
	s_xor_b32 s16, exec_lo, s16
	s_cbranch_execnz .LBB64_174
; %bb.121:                              ;   in Loop: Header=BB64_57 Depth=1
	s_or_saveexec_b32 s16, s16
                                        ; implicit-def: $sgpr17
	s_delay_alu instid0(SALU_CYCLE_1)
	s_xor_b32 exec_lo, exec_lo, s16
	s_cbranch_execnz .LBB64_175
.LBB64_122:                             ;   in Loop: Header=BB64_57 Depth=1
	s_or_b32 exec_lo, exec_lo, s16
	v_mov_b32_e32 v7, s17
	s_and_saveexec_b32 s16, s15
.LBB64_123:                             ;   in Loop: Header=BB64_57 Depth=1
	v_lshrrev_b32_e32 v7, 24, v12
	s_delay_alu instid0(VALU_DEP_1)
	v_and_or_b32 v7, 0x80, v7, v13
.LBB64_124:                             ;   in Loop: Header=BB64_57 Depth=1
	s_or_b32 exec_lo, exec_lo, s16
.LBB64_125:                             ;   in Loop: Header=BB64_57 Depth=1
	s_delay_alu instid0(SALU_CYCLE_1) | instskip(SKIP_3) | instid1(VALU_DEP_1)
	s_or_b32 exec_lo, exec_lo, s13
	v_lshrrev_b32_e32 v8, 16, v8
	v_fma_mixlo_f16 v6, v28, v6, 0 op_sel:[0,1,0] op_sel_hi:[0,1,0]
	s_mov_b32 s13, exec_lo
	v_mul_f16_e32 v6, v8, v6
	s_delay_alu instid0(VALU_DEP_1) | instskip(NEXT) | instid1(VALU_DEP_1)
	v_cvt_f32_f16_e32 v6, v6
	v_div_scale_f32 v8, null, v11, v11, v6
	s_delay_alu instid0(VALU_DEP_1) | instskip(SKIP_2) | instid1(VALU_DEP_1)
	v_rcp_f32_e32 v12, v8
	s_waitcnt_depctr 0xfff
	v_fma_f32 v13, -v8, v12, 1.0
	v_fmac_f32_e32 v12, v13, v12
	v_div_scale_f32 v13, vcc_lo, v6, v11, v6
	s_delay_alu instid0(VALU_DEP_1) | instskip(NEXT) | instid1(VALU_DEP_1)
	v_mul_f32_e32 v14, v13, v12
	v_fma_f32 v15, -v8, v14, v13
	s_delay_alu instid0(VALU_DEP_1) | instskip(NEXT) | instid1(VALU_DEP_1)
	v_fmac_f32_e32 v14, v15, v12
	v_fma_f32 v8, -v8, v14, v13
	s_delay_alu instid0(VALU_DEP_1) | instskip(NEXT) | instid1(VALU_DEP_1)
	v_div_fmas_f32 v8, v8, v12, v14
	v_div_fixup_f32 v6, v8, v11, v6
	s_delay_alu instid0(VALU_DEP_1) | instskip(NEXT) | instid1(VALU_DEP_1)
	v_minmax_f32 v6, v6, s7, 0xc3600000
	v_and_b32_e32 v8, 0x7fffffff, v6
	s_delay_alu instid0(VALU_DEP_1)
	v_cmpx_gt_u32_e32 0x43800000, v8
	s_cbranch_execz .LBB64_131
; %bb.126:                              ;   in Loop: Header=BB64_57 Depth=1
	v_cmp_lt_u32_e32 vcc_lo, 0x3bffffff, v8
	s_mov_b32 s15, 0
                                        ; implicit-def: $vgpr8
	s_and_saveexec_b32 s16, vcc_lo
	s_delay_alu instid0(SALU_CYCLE_1)
	s_xor_b32 s16, exec_lo, s16
	s_cbranch_execnz .LBB64_176
; %bb.127:                              ;   in Loop: Header=BB64_57 Depth=1
	s_or_saveexec_b32 s16, s16
                                        ; implicit-def: $sgpr17
	s_delay_alu instid0(SALU_CYCLE_1)
	s_xor_b32 exec_lo, exec_lo, s16
	s_cbranch_execnz .LBB64_177
.LBB64_128:                             ;   in Loop: Header=BB64_57 Depth=1
	s_or_b32 exec_lo, exec_lo, s16
	v_mov_b32_e32 v5, s17
	s_and_saveexec_b32 s16, s15
.LBB64_129:                             ;   in Loop: Header=BB64_57 Depth=1
	v_lshrrev_b32_e32 v5, 24, v6
	s_delay_alu instid0(VALU_DEP_1)
	v_and_or_b32 v5, 0x80, v5, v8
.LBB64_130:                             ;   in Loop: Header=BB64_57 Depth=1
	s_or_b32 exec_lo, exec_lo, s16
.LBB64_131:                             ;   in Loop: Header=BB64_57 Depth=1
	s_delay_alu instid0(SALU_CYCLE_1)
	s_or_b32 exec_lo, exec_lo, s13
	v_lshlrev_b32_e32 v6, 16, v7
	v_lshlrev_b32_e32 v7, 8, v10
	v_lshlrev_b64 v[3:4], 2, v[3:4]
	v_and_b32_e32 v8, 0xff, v9
	v_add_nc_u32_e32 v0, s4, v0
	v_perm_b32 v5, v5, v6, 0x4020c0c
	v_and_b32_e32 v6, 0xff00, v7
	s_mov_b32 s15, -1
	v_add_co_u32 v3, vcc_lo, s2, v3
	v_add_co_ci_u32_e32 v4, vcc_lo, s3, v4, vcc_lo
	s_delay_alu instid0(VALU_DEP_3)
	v_or3_b32 v5, v5, v6, v8
	s_mov_b32 s13, exec_lo
	global_store_b32 v[3:4], v5, off
	v_cmpx_gt_u32_e64 s8, v0
	s_cbranch_execz .LBB64_54
; %bb.132:                              ;   in Loop: Header=BB64_57 Depth=1
	v_lshlrev_b64 v[3:4], 3, v[0:1]
	v_lshrrev_b32_e32 v9, 2, v0
	s_mov_b32 s15, exec_lo
	s_delay_alu instid0(VALU_DEP_2) | instskip(NEXT) | instid1(VALU_DEP_3)
	v_add_co_u32 v5, vcc_lo, s14, v3
	v_add_co_ci_u32_e32 v6, vcc_lo, s26, v4, vcc_lo
	v_add_co_u32 v7, vcc_lo, s10, v3
	v_add_co_ci_u32_e32 v8, vcc_lo, s11, v4, vcc_lo
	global_load_b64 v[3:4], v[5:6], off
	global_load_b64 v[5:6], v[7:8], off
	v_and_b32_e32 v7, 0xffffffc, v9
	global_load_b32 v9, v7, s[0:1]
	s_waitcnt vmcnt(2)
	v_fma_mixlo_f16 v7, v28, v3, 0 op_sel_hi:[0,1,0]
	s_waitcnt vmcnt(1)
	s_delay_alu instid0(VALU_DEP_1) | instskip(NEXT) | instid1(VALU_DEP_1)
	v_mul_f16_e32 v7, v5, v7
	v_cvt_f32_f16_e32 v7, v7
	s_waitcnt vmcnt(0)
	s_delay_alu instid0(VALU_DEP_1) | instskip(SKIP_1) | instid1(VALU_DEP_2)
	v_div_scale_f32 v8, null, v9, v9, v7
	v_div_scale_f32 v12, vcc_lo, v7, v9, v7
	v_rcp_f32_e32 v10, v8
	s_waitcnt_depctr 0xfff
	v_fma_f32 v11, -v8, v10, 1.0
	s_delay_alu instid0(VALU_DEP_1) | instskip(NEXT) | instid1(VALU_DEP_1)
	v_fmac_f32_e32 v10, v11, v10
	v_mul_f32_e32 v11, v12, v10
	s_delay_alu instid0(VALU_DEP_1) | instskip(NEXT) | instid1(VALU_DEP_1)
	v_fma_f32 v13, -v8, v11, v12
	v_fmac_f32_e32 v11, v13, v10
	s_delay_alu instid0(VALU_DEP_1) | instskip(NEXT) | instid1(VALU_DEP_1)
	v_fma_f32 v8, -v8, v11, v12
	v_div_fmas_f32 v8, v8, v10, v11
	s_delay_alu instid0(VALU_DEP_1) | instskip(SKIP_1) | instid1(VALU_DEP_2)
	v_div_fixup_f32 v7, v8, v9, v7
	v_mov_b32_e32 v8, 0x80
	v_minmax_f32 v10, v7, s7, 0xc3600000
	v_mov_b32_e32 v7, 0x80
	s_delay_alu instid0(VALU_DEP_2) | instskip(NEXT) | instid1(VALU_DEP_1)
	v_and_b32_e32 v11, 0x7fffffff, v10
	v_cmpx_gt_u32_e32 0x43800000, v11
	s_cbranch_execz .LBB64_138
; %bb.133:                              ;   in Loop: Header=BB64_57 Depth=1
	v_cmp_lt_u32_e32 vcc_lo, 0x3bffffff, v11
	s_mov_b32 s16, 0
                                        ; implicit-def: $vgpr11
	s_and_saveexec_b32 s17, vcc_lo
	s_delay_alu instid0(SALU_CYCLE_1)
	s_xor_b32 s17, exec_lo, s17
	s_cbranch_execnz .LBB64_178
; %bb.134:                              ;   in Loop: Header=BB64_57 Depth=1
	s_or_saveexec_b32 s17, s17
                                        ; implicit-def: $sgpr18
	s_delay_alu instid0(SALU_CYCLE_1)
	s_xor_b32 exec_lo, exec_lo, s17
	s_cbranch_execnz .LBB64_179
.LBB64_135:                             ;   in Loop: Header=BB64_57 Depth=1
	s_or_b32 exec_lo, exec_lo, s17
	v_mov_b32_e32 v7, s18
	s_and_saveexec_b32 s17, s16
.LBB64_136:                             ;   in Loop: Header=BB64_57 Depth=1
	v_lshrrev_b32_e32 v7, 24, v10
	s_delay_alu instid0(VALU_DEP_1)
	v_and_or_b32 v7, 0x80, v7, v11
.LBB64_137:                             ;   in Loop: Header=BB64_57 Depth=1
	s_or_b32 exec_lo, exec_lo, s17
.LBB64_138:                             ;   in Loop: Header=BB64_57 Depth=1
	s_delay_alu instid0(SALU_CYCLE_1) | instskip(SKIP_3) | instid1(VALU_DEP_1)
	s_or_b32 exec_lo, exec_lo, s15
	v_lshrrev_b32_e32 v5, 16, v5
	v_fma_mixlo_f16 v3, v28, v3, 0 op_sel:[0,1,0] op_sel_hi:[0,1,0]
	s_mov_b32 s15, exec_lo
	v_mul_f16_e32 v3, v5, v3
	s_delay_alu instid0(VALU_DEP_1) | instskip(NEXT) | instid1(VALU_DEP_1)
	v_cvt_f32_f16_e32 v3, v3
	v_div_scale_f32 v5, null, v9, v9, v3
	s_delay_alu instid0(VALU_DEP_1) | instskip(SKIP_2) | instid1(VALU_DEP_1)
	v_rcp_f32_e32 v10, v5
	s_waitcnt_depctr 0xfff
	v_fma_f32 v11, -v5, v10, 1.0
	v_fmac_f32_e32 v10, v11, v10
	v_div_scale_f32 v11, vcc_lo, v3, v9, v3
	s_delay_alu instid0(VALU_DEP_1) | instskip(NEXT) | instid1(VALU_DEP_1)
	v_mul_f32_e32 v12, v11, v10
	v_fma_f32 v13, -v5, v12, v11
	s_delay_alu instid0(VALU_DEP_1) | instskip(NEXT) | instid1(VALU_DEP_1)
	v_fmac_f32_e32 v12, v13, v10
	v_fma_f32 v5, -v5, v12, v11
	s_delay_alu instid0(VALU_DEP_1) | instskip(NEXT) | instid1(VALU_DEP_1)
	v_div_fmas_f32 v5, v5, v10, v12
	v_div_fixup_f32 v3, v5, v9, v3
	s_delay_alu instid0(VALU_DEP_1) | instskip(NEXT) | instid1(VALU_DEP_1)
	v_minmax_f32 v3, v3, s7, 0xc3600000
	v_and_b32_e32 v5, 0x7fffffff, v3
	s_delay_alu instid0(VALU_DEP_1)
	v_cmpx_gt_u32_e32 0x43800000, v5
	s_cbranch_execz .LBB64_144
; %bb.139:                              ;   in Loop: Header=BB64_57 Depth=1
	v_cmp_lt_u32_e32 vcc_lo, 0x3bffffff, v5
	s_mov_b32 s16, 0
                                        ; implicit-def: $vgpr5
	s_and_saveexec_b32 s17, vcc_lo
	s_delay_alu instid0(SALU_CYCLE_1)
	s_xor_b32 s17, exec_lo, s17
	s_cbranch_execnz .LBB64_180
; %bb.140:                              ;   in Loop: Header=BB64_57 Depth=1
	s_or_saveexec_b32 s17, s17
                                        ; implicit-def: $sgpr18
	s_delay_alu instid0(SALU_CYCLE_1)
	s_xor_b32 exec_lo, exec_lo, s17
	s_cbranch_execnz .LBB64_181
.LBB64_141:                             ;   in Loop: Header=BB64_57 Depth=1
	s_or_b32 exec_lo, exec_lo, s17
	v_mov_b32_e32 v8, s18
	s_and_saveexec_b32 s17, s16
.LBB64_142:                             ;   in Loop: Header=BB64_57 Depth=1
	v_lshrrev_b32_e32 v3, 24, v3
	s_delay_alu instid0(VALU_DEP_1)
	v_and_or_b32 v8, 0x80, v3, v5
.LBB64_143:                             ;   in Loop: Header=BB64_57 Depth=1
	s_or_b32 exec_lo, exec_lo, s17
.LBB64_144:                             ;   in Loop: Header=BB64_57 Depth=1
	s_delay_alu instid0(SALU_CYCLE_1) | instskip(SKIP_2) | instid1(VALU_DEP_1)
	s_or_b32 exec_lo, exec_lo, s15
	v_fma_mixlo_f16 v3, v28, v4, 0 op_sel_hi:[0,1,0]
	s_mov_b32 s15, exec_lo
	v_mul_f16_e32 v3, v6, v3
	s_delay_alu instid0(VALU_DEP_1) | instskip(NEXT) | instid1(VALU_DEP_1)
	v_cvt_f32_f16_e32 v3, v3
	v_div_scale_f32 v5, null, v9, v9, v3
	v_div_scale_f32 v12, vcc_lo, v3, v9, v3
	s_delay_alu instid0(VALU_DEP_2) | instskip(SKIP_2) | instid1(VALU_DEP_1)
	v_rcp_f32_e32 v10, v5
	s_waitcnt_depctr 0xfff
	v_fma_f32 v11, -v5, v10, 1.0
	v_fmac_f32_e32 v10, v11, v10
	s_delay_alu instid0(VALU_DEP_1) | instskip(NEXT) | instid1(VALU_DEP_1)
	v_mul_f32_e32 v11, v12, v10
	v_fma_f32 v13, -v5, v11, v12
	s_delay_alu instid0(VALU_DEP_1) | instskip(NEXT) | instid1(VALU_DEP_1)
	v_fmac_f32_e32 v11, v13, v10
	v_fma_f32 v5, -v5, v11, v12
	s_delay_alu instid0(VALU_DEP_1) | instskip(NEXT) | instid1(VALU_DEP_1)
	v_div_fmas_f32 v5, v5, v10, v11
	v_div_fixup_f32 v3, v5, v9, v3
	v_mov_b32_e32 v5, 0x80
	s_delay_alu instid0(VALU_DEP_2) | instskip(SKIP_1) | instid1(VALU_DEP_2)
	v_minmax_f32 v10, v3, s7, 0xc3600000
	v_mov_b32_e32 v3, 0x80
	v_and_b32_e32 v11, 0x7fffffff, v10
	s_delay_alu instid0(VALU_DEP_1)
	v_cmpx_gt_u32_e32 0x43800000, v11
	s_cbranch_execz .LBB64_150
; %bb.145:                              ;   in Loop: Header=BB64_57 Depth=1
	v_cmp_lt_u32_e32 vcc_lo, 0x3bffffff, v11
	s_mov_b32 s16, 0
                                        ; implicit-def: $vgpr11
	s_and_saveexec_b32 s17, vcc_lo
	s_delay_alu instid0(SALU_CYCLE_1)
	s_xor_b32 s17, exec_lo, s17
	s_cbranch_execnz .LBB64_182
; %bb.146:                              ;   in Loop: Header=BB64_57 Depth=1
	s_or_saveexec_b32 s17, s17
                                        ; implicit-def: $sgpr18
	s_delay_alu instid0(SALU_CYCLE_1)
	s_xor_b32 exec_lo, exec_lo, s17
	s_cbranch_execnz .LBB64_183
.LBB64_147:                             ;   in Loop: Header=BB64_57 Depth=1
	s_or_b32 exec_lo, exec_lo, s17
	v_mov_b32_e32 v5, s18
	s_and_saveexec_b32 s17, s16
.LBB64_148:                             ;   in Loop: Header=BB64_57 Depth=1
	v_lshrrev_b32_e32 v5, 24, v10
	s_delay_alu instid0(VALU_DEP_1)
	v_and_or_b32 v5, 0x80, v5, v11
.LBB64_149:                             ;   in Loop: Header=BB64_57 Depth=1
	s_or_b32 exec_lo, exec_lo, s17
.LBB64_150:                             ;   in Loop: Header=BB64_57 Depth=1
	s_delay_alu instid0(SALU_CYCLE_1) | instskip(SKIP_3) | instid1(VALU_DEP_1)
	s_or_b32 exec_lo, exec_lo, s15
	v_lshrrev_b32_e32 v6, 16, v6
	v_fma_mixlo_f16 v4, v28, v4, 0 op_sel:[0,1,0] op_sel_hi:[0,1,0]
	s_mov_b32 s15, exec_lo
	v_mul_f16_e32 v4, v6, v4
	s_delay_alu instid0(VALU_DEP_1) | instskip(NEXT) | instid1(VALU_DEP_1)
	v_cvt_f32_f16_e32 v4, v4
	v_div_scale_f32 v6, null, v9, v9, v4
	s_delay_alu instid0(VALU_DEP_1) | instskip(SKIP_2) | instid1(VALU_DEP_1)
	v_rcp_f32_e32 v10, v6
	s_waitcnt_depctr 0xfff
	v_fma_f32 v11, -v6, v10, 1.0
	v_fmac_f32_e32 v10, v11, v10
	v_div_scale_f32 v11, vcc_lo, v4, v9, v4
	s_delay_alu instid0(VALU_DEP_1) | instskip(NEXT) | instid1(VALU_DEP_1)
	v_mul_f32_e32 v12, v11, v10
	v_fma_f32 v13, -v6, v12, v11
	s_delay_alu instid0(VALU_DEP_1) | instskip(NEXT) | instid1(VALU_DEP_1)
	v_fmac_f32_e32 v12, v13, v10
	v_fma_f32 v6, -v6, v12, v11
	s_delay_alu instid0(VALU_DEP_1) | instskip(NEXT) | instid1(VALU_DEP_1)
	v_div_fmas_f32 v6, v6, v10, v12
	v_div_fixup_f32 v4, v6, v9, v4
	s_delay_alu instid0(VALU_DEP_1) | instskip(NEXT) | instid1(VALU_DEP_1)
	v_minmax_f32 v4, v4, s7, 0xc3600000
	v_and_b32_e32 v6, 0x7fffffff, v4
	s_delay_alu instid0(VALU_DEP_1)
	v_cmpx_gt_u32_e32 0x43800000, v6
	s_cbranch_execz .LBB64_53
; %bb.151:                              ;   in Loop: Header=BB64_57 Depth=1
	v_cmp_lt_u32_e32 vcc_lo, 0x3bffffff, v6
	s_mov_b32 s16, 0
                                        ; implicit-def: $vgpr6
	s_and_saveexec_b32 s17, vcc_lo
	s_delay_alu instid0(SALU_CYCLE_1)
	s_xor_b32 s17, exec_lo, s17
	s_cbranch_execnz .LBB64_184
; %bb.152:                              ;   in Loop: Header=BB64_57 Depth=1
	s_or_saveexec_b32 s17, s17
                                        ; implicit-def: $sgpr18
	s_delay_alu instid0(SALU_CYCLE_1)
	s_xor_b32 exec_lo, exec_lo, s17
	s_cbranch_execnz .LBB64_185
.LBB64_153:                             ;   in Loop: Header=BB64_57 Depth=1
	s_or_b32 exec_lo, exec_lo, s17
	v_mov_b32_e32 v3, s18
	s_and_saveexec_b32 s17, s16
	s_cbranch_execz .LBB64_52
	s_branch .LBB64_186
.LBB64_154:                             ;   in Loop: Header=BB64_57 Depth=1
	v_bfe_u32 v7, v9, 20, 1
	s_mov_b32 s12, exec_lo
	s_delay_alu instid0(VALU_DEP_1) | instskip(NEXT) | instid1(VALU_DEP_1)
	v_add3_u32 v7, v9, v7, 0x487ffff
	v_lshrrev_b32_e32 v10, 20, v7
	s_or_saveexec_b32 s13, s13
                                        ; implicit-def: $sgpr15
	s_delay_alu instid0(SALU_CYCLE_1)
	s_xor_b32 exec_lo, exec_lo, s13
	s_cbranch_execz .LBB64_60
.LBB64_155:                             ;   in Loop: Header=BB64_57 Depth=1
	v_add_f32_e64 v7, 0x46000000, |v9|
	s_and_not1_b32 s12, s12, exec_lo
	s_mov_b32 s15, 0
	s_delay_alu instid0(VALU_DEP_1) | instskip(NEXT) | instid1(VALU_DEP_1)
	v_and_b32_e32 v10, 0xff, v7
	v_cmp_ne_u32_e32 vcc_lo, 0, v10
	s_and_b32 s16, vcc_lo, exec_lo
	s_delay_alu instid0(SALU_CYCLE_1)
	s_or_b32 s12, s12, s16
	s_or_b32 exec_lo, exec_lo, s13
	v_mov_b32_e32 v7, s15
	s_and_saveexec_b32 s13, s12
	s_cbranch_execnz .LBB64_61
	s_branch .LBB64_62
.LBB64_156:                             ;   in Loop: Header=BB64_57 Depth=1
	v_bfe_u32 v4, v2, 20, 1
	s_mov_b32 s12, exec_lo
	s_delay_alu instid0(VALU_DEP_1) | instskip(NEXT) | instid1(VALU_DEP_1)
	v_add3_u32 v4, v2, v4, 0x487ffff
	v_lshrrev_b32_e32 v4, 20, v4
	s_or_saveexec_b32 s13, s13
                                        ; implicit-def: $sgpr15
	s_delay_alu instid0(SALU_CYCLE_1)
	s_xor_b32 exec_lo, exec_lo, s13
	s_cbranch_execz .LBB64_66
.LBB64_157:                             ;   in Loop: Header=BB64_57 Depth=1
	v_add_f32_e64 v4, 0x46000000, |v2|
	s_and_not1_b32 s12, s12, exec_lo
	s_mov_b32 s15, 0
	s_delay_alu instid0(VALU_DEP_1) | instskip(NEXT) | instid1(VALU_DEP_1)
	v_and_b32_e32 v4, 0xff, v4
	v_cmp_ne_u32_e32 vcc_lo, 0, v4
	s_and_b32 s16, vcc_lo, exec_lo
	s_delay_alu instid0(SALU_CYCLE_1)
	s_or_b32 s12, s12, s16
	s_or_b32 exec_lo, exec_lo, s13
	v_mov_b32_e32 v6, s15
	s_and_saveexec_b32 s13, s12
	s_cbranch_execnz .LBB64_67
	s_branch .LBB64_68
.LBB64_158:                             ;   in Loop: Header=BB64_57 Depth=1
	v_bfe_u32 v4, v9, 20, 1
	s_mov_b32 s12, exec_lo
	s_delay_alu instid0(VALU_DEP_1) | instskip(NEXT) | instid1(VALU_DEP_1)
	v_add3_u32 v4, v9, v4, 0x487ffff
	v_lshrrev_b32_e32 v10, 20, v4
	s_or_saveexec_b32 s13, s13
                                        ; implicit-def: $sgpr15
	s_delay_alu instid0(SALU_CYCLE_1)
	s_xor_b32 exec_lo, exec_lo, s13
	s_cbranch_execz .LBB64_72
.LBB64_159:                             ;   in Loop: Header=BB64_57 Depth=1
	v_add_f32_e64 v4, 0x46000000, |v9|
	s_and_not1_b32 s12, s12, exec_lo
	s_mov_b32 s15, 0
	s_delay_alu instid0(VALU_DEP_1) | instskip(NEXT) | instid1(VALU_DEP_1)
	v_and_b32_e32 v10, 0xff, v4
	v_cmp_ne_u32_e32 vcc_lo, 0, v10
	s_and_b32 s16, vcc_lo, exec_lo
	s_delay_alu instid0(SALU_CYCLE_1)
	s_or_b32 s12, s12, s16
	s_or_b32 exec_lo, exec_lo, s13
	v_mov_b32_e32 v4, s15
	s_and_saveexec_b32 s13, s12
	s_cbranch_execnz .LBB64_73
	s_branch .LBB64_74
.LBB64_160:                             ;   in Loop: Header=BB64_57 Depth=1
	v_bfe_u32 v2, v3, 20, 1
	s_mov_b32 s12, exec_lo
	s_delay_alu instid0(VALU_DEP_1) | instskip(NEXT) | instid1(VALU_DEP_1)
	v_add3_u32 v2, v3, v2, 0x487ffff
	v_lshrrev_b32_e32 v5, 20, v2
	s_or_saveexec_b32 s13, s13
                                        ; implicit-def: $sgpr15
	s_delay_alu instid0(SALU_CYCLE_1)
	s_xor_b32 exec_lo, exec_lo, s13
	s_cbranch_execz .LBB64_78
.LBB64_161:                             ;   in Loop: Header=BB64_57 Depth=1
	v_add_f32_e64 v2, 0x46000000, |v3|
	s_and_not1_b32 s12, s12, exec_lo
	s_mov_b32 s15, 0
	s_delay_alu instid0(VALU_DEP_1) | instskip(NEXT) | instid1(VALU_DEP_1)
	v_and_b32_e32 v5, 0xff, v2
	v_cmp_ne_u32_e32 vcc_lo, 0, v5
	s_and_b32 s16, vcc_lo, exec_lo
	s_delay_alu instid0(SALU_CYCLE_1)
	s_or_b32 s12, s12, s16
	s_or_b32 exec_lo, exec_lo, s13
	v_mov_b32_e32 v2, s15
	s_and_saveexec_b32 s13, s12
	s_cbranch_execnz .LBB64_79
	s_branch .LBB64_80
.LBB64_162:                             ;   in Loop: Header=BB64_57 Depth=1
	v_bfe_u32 v8, v11, 20, 1
	s_mov_b32 s13, exec_lo
	s_delay_alu instid0(VALU_DEP_1) | instskip(NEXT) | instid1(VALU_DEP_1)
	v_add3_u32 v8, v11, v8, 0x487ffff
	v_lshrrev_b32_e32 v12, 20, v8
	s_or_saveexec_b32 s15, s15
                                        ; implicit-def: $sgpr16
	s_delay_alu instid0(SALU_CYCLE_1)
	s_xor_b32 exec_lo, exec_lo, s15
	s_cbranch_execz .LBB64_85
.LBB64_163:                             ;   in Loop: Header=BB64_57 Depth=1
	v_add_f32_e64 v8, 0x46000000, |v11|
	s_and_not1_b32 s13, s13, exec_lo
	s_mov_b32 s16, 0
	s_delay_alu instid0(VALU_DEP_1) | instskip(NEXT) | instid1(VALU_DEP_1)
	v_and_b32_e32 v12, 0xff, v8
	v_cmp_ne_u32_e32 vcc_lo, 0, v12
	s_and_b32 s17, vcc_lo, exec_lo
	s_delay_alu instid0(SALU_CYCLE_1)
	s_or_b32 s13, s13, s17
	s_or_b32 exec_lo, exec_lo, s15
	v_mov_b32_e32 v8, s16
	s_and_saveexec_b32 s15, s13
	s_cbranch_execnz .LBB64_86
	s_branch .LBB64_87
.LBB64_164:                             ;   in Loop: Header=BB64_57 Depth=1
	v_bfe_u32 v6, v4, 20, 1
	s_mov_b32 s13, exec_lo
	s_delay_alu instid0(VALU_DEP_1) | instskip(NEXT) | instid1(VALU_DEP_1)
	v_add3_u32 v6, v4, v6, 0x487ffff
	v_lshrrev_b32_e32 v6, 20, v6
	s_or_saveexec_b32 s15, s15
                                        ; implicit-def: $sgpr16
	s_delay_alu instid0(SALU_CYCLE_1)
	s_xor_b32 exec_lo, exec_lo, s15
	s_cbranch_execz .LBB64_91
.LBB64_165:                             ;   in Loop: Header=BB64_57 Depth=1
	v_add_f32_e64 v6, 0x46000000, |v4|
	s_and_not1_b32 s13, s13, exec_lo
	s_mov_b32 s16, 0
	s_delay_alu instid0(VALU_DEP_1) | instskip(NEXT) | instid1(VALU_DEP_1)
	v_and_b32_e32 v6, 0xff, v6
	v_cmp_ne_u32_e32 vcc_lo, 0, v6
	s_and_b32 s17, vcc_lo, exec_lo
	s_delay_alu instid0(SALU_CYCLE_1)
	s_or_b32 s13, s13, s17
	s_or_b32 exec_lo, exec_lo, s15
	v_mov_b32_e32 v9, s16
	s_and_saveexec_b32 s15, s13
	s_cbranch_execnz .LBB64_92
	s_branch .LBB64_93
.LBB64_166:                             ;   in Loop: Header=BB64_57 Depth=1
	v_bfe_u32 v6, v11, 20, 1
	s_mov_b32 s13, exec_lo
	s_delay_alu instid0(VALU_DEP_1) | instskip(NEXT) | instid1(VALU_DEP_1)
	v_add3_u32 v6, v11, v6, 0x487ffff
	v_lshrrev_b32_e32 v12, 20, v6
	s_or_saveexec_b32 s15, s15
                                        ; implicit-def: $sgpr16
	s_delay_alu instid0(SALU_CYCLE_1)
	s_xor_b32 exec_lo, exec_lo, s15
	s_cbranch_execz .LBB64_97
.LBB64_167:                             ;   in Loop: Header=BB64_57 Depth=1
	v_add_f32_e64 v6, 0x46000000, |v11|
	s_and_not1_b32 s13, s13, exec_lo
	s_mov_b32 s16, 0
	s_delay_alu instid0(VALU_DEP_1) | instskip(NEXT) | instid1(VALU_DEP_1)
	v_and_b32_e32 v12, 0xff, v6
	v_cmp_ne_u32_e32 vcc_lo, 0, v12
	s_and_b32 s17, vcc_lo, exec_lo
	s_delay_alu instid0(SALU_CYCLE_1)
	s_or_b32 s13, s13, s17
	s_or_b32 exec_lo, exec_lo, s15
	v_mov_b32_e32 v6, s16
	s_and_saveexec_b32 s15, s13
	s_cbranch_execnz .LBB64_98
	s_branch .LBB64_99
.LBB64_168:                             ;   in Loop: Header=BB64_57 Depth=1
	v_bfe_u32 v4, v5, 20, 1
	s_mov_b32 s13, exec_lo
	s_delay_alu instid0(VALU_DEP_1) | instskip(NEXT) | instid1(VALU_DEP_1)
	v_add3_u32 v4, v5, v4, 0x487ffff
	v_lshrrev_b32_e32 v7, 20, v4
	s_or_saveexec_b32 s15, s15
                                        ; implicit-def: $sgpr16
	s_delay_alu instid0(SALU_CYCLE_1)
	s_xor_b32 exec_lo, exec_lo, s15
	s_cbranch_execz .LBB64_103
.LBB64_169:                             ;   in Loop: Header=BB64_57 Depth=1
	v_add_f32_e64 v4, 0x46000000, |v5|
	s_and_not1_b32 s13, s13, exec_lo
	s_mov_b32 s16, 0
	s_delay_alu instid0(VALU_DEP_1) | instskip(NEXT) | instid1(VALU_DEP_1)
	v_and_b32_e32 v7, 0xff, v4
	v_cmp_ne_u32_e32 vcc_lo, 0, v7
	s_and_b32 s17, vcc_lo, exec_lo
	s_delay_alu instid0(SALU_CYCLE_1)
	s_or_b32 s13, s13, s17
	s_or_b32 exec_lo, exec_lo, s15
	v_mov_b32_e32 v4, s16
	s_and_saveexec_b32 s15, s13
	s_cbranch_execnz .LBB64_104
	s_branch .LBB64_105
.LBB64_170:                             ;   in Loop: Header=BB64_57 Depth=1
	v_bfe_u32 v9, v12, 20, 1
	s_mov_b32 s15, exec_lo
	s_delay_alu instid0(VALU_DEP_1) | instskip(NEXT) | instid1(VALU_DEP_1)
	v_add3_u32 v9, v12, v9, 0x487ffff
	v_lshrrev_b32_e32 v13, 20, v9
	s_or_saveexec_b32 s16, s16
                                        ; implicit-def: $sgpr17
	s_delay_alu instid0(SALU_CYCLE_1)
	s_xor_b32 exec_lo, exec_lo, s16
	s_cbranch_execz .LBB64_110
.LBB64_171:                             ;   in Loop: Header=BB64_57 Depth=1
	v_add_f32_e64 v9, 0x46000000, |v12|
	s_and_not1_b32 s15, s15, exec_lo
	s_mov_b32 s17, 0
	s_delay_alu instid0(VALU_DEP_1) | instskip(NEXT) | instid1(VALU_DEP_1)
	v_and_b32_e32 v13, 0xff, v9
	v_cmp_ne_u32_e32 vcc_lo, 0, v13
	s_and_b32 s18, vcc_lo, exec_lo
	s_delay_alu instid0(SALU_CYCLE_1)
	s_or_b32 s15, s15, s18
	s_or_b32 exec_lo, exec_lo, s16
	v_mov_b32_e32 v9, s17
	s_and_saveexec_b32 s16, s15
	s_cbranch_execnz .LBB64_111
	s_branch .LBB64_112
.LBB64_172:                             ;   in Loop: Header=BB64_57 Depth=1
	v_bfe_u32 v7, v5, 20, 1
	s_mov_b32 s15, exec_lo
	s_delay_alu instid0(VALU_DEP_1) | instskip(NEXT) | instid1(VALU_DEP_1)
	v_add3_u32 v7, v5, v7, 0x487ffff
	v_lshrrev_b32_e32 v7, 20, v7
	s_or_saveexec_b32 s16, s16
                                        ; implicit-def: $sgpr17
	s_delay_alu instid0(SALU_CYCLE_1)
	s_xor_b32 exec_lo, exec_lo, s16
	s_cbranch_execz .LBB64_116
.LBB64_173:                             ;   in Loop: Header=BB64_57 Depth=1
	v_add_f32_e64 v7, 0x46000000, |v5|
	s_and_not1_b32 s15, s15, exec_lo
	s_mov_b32 s17, 0
	s_delay_alu instid0(VALU_DEP_1) | instskip(NEXT) | instid1(VALU_DEP_1)
	v_and_b32_e32 v7, 0xff, v7
	v_cmp_ne_u32_e32 vcc_lo, 0, v7
	s_and_b32 s18, vcc_lo, exec_lo
	s_delay_alu instid0(SALU_CYCLE_1)
	s_or_b32 s15, s15, s18
	s_or_b32 exec_lo, exec_lo, s16
	v_mov_b32_e32 v10, s17
	s_and_saveexec_b32 s16, s15
	s_cbranch_execnz .LBB64_117
	s_branch .LBB64_118
.LBB64_174:                             ;   in Loop: Header=BB64_57 Depth=1
	v_bfe_u32 v7, v12, 20, 1
	s_mov_b32 s15, exec_lo
	s_delay_alu instid0(VALU_DEP_1) | instskip(NEXT) | instid1(VALU_DEP_1)
	v_add3_u32 v7, v12, v7, 0x487ffff
	v_lshrrev_b32_e32 v13, 20, v7
	s_or_saveexec_b32 s16, s16
                                        ; implicit-def: $sgpr17
	s_delay_alu instid0(SALU_CYCLE_1)
	s_xor_b32 exec_lo, exec_lo, s16
	s_cbranch_execz .LBB64_122
.LBB64_175:                             ;   in Loop: Header=BB64_57 Depth=1
	v_add_f32_e64 v7, 0x46000000, |v12|
	s_and_not1_b32 s15, s15, exec_lo
	s_mov_b32 s17, 0
	s_delay_alu instid0(VALU_DEP_1) | instskip(NEXT) | instid1(VALU_DEP_1)
	v_and_b32_e32 v13, 0xff, v7
	v_cmp_ne_u32_e32 vcc_lo, 0, v13
	s_and_b32 s18, vcc_lo, exec_lo
	s_delay_alu instid0(SALU_CYCLE_1)
	s_or_b32 s15, s15, s18
	s_or_b32 exec_lo, exec_lo, s16
	v_mov_b32_e32 v7, s17
	s_and_saveexec_b32 s16, s15
	s_cbranch_execnz .LBB64_123
	s_branch .LBB64_124
.LBB64_176:                             ;   in Loop: Header=BB64_57 Depth=1
	v_bfe_u32 v5, v6, 20, 1
	s_mov_b32 s15, exec_lo
	s_delay_alu instid0(VALU_DEP_1) | instskip(NEXT) | instid1(VALU_DEP_1)
	v_add3_u32 v5, v6, v5, 0x487ffff
	v_lshrrev_b32_e32 v8, 20, v5
	s_or_saveexec_b32 s16, s16
                                        ; implicit-def: $sgpr17
	s_delay_alu instid0(SALU_CYCLE_1)
	s_xor_b32 exec_lo, exec_lo, s16
	s_cbranch_execz .LBB64_128
.LBB64_177:                             ;   in Loop: Header=BB64_57 Depth=1
	v_add_f32_e64 v5, 0x46000000, |v6|
	s_and_not1_b32 s15, s15, exec_lo
	s_mov_b32 s17, 0
	s_delay_alu instid0(VALU_DEP_1) | instskip(NEXT) | instid1(VALU_DEP_1)
	v_and_b32_e32 v8, 0xff, v5
	v_cmp_ne_u32_e32 vcc_lo, 0, v8
	s_and_b32 s18, vcc_lo, exec_lo
	s_delay_alu instid0(SALU_CYCLE_1)
	s_or_b32 s15, s15, s18
	s_or_b32 exec_lo, exec_lo, s16
	v_mov_b32_e32 v5, s17
	s_and_saveexec_b32 s16, s15
	s_cbranch_execnz .LBB64_129
	s_branch .LBB64_130
.LBB64_178:                             ;   in Loop: Header=BB64_57 Depth=1
	v_bfe_u32 v7, v10, 20, 1
	s_mov_b32 s16, exec_lo
	s_delay_alu instid0(VALU_DEP_1) | instskip(NEXT) | instid1(VALU_DEP_1)
	v_add3_u32 v7, v10, v7, 0x487ffff
	v_lshrrev_b32_e32 v11, 20, v7
	s_or_saveexec_b32 s17, s17
                                        ; implicit-def: $sgpr18
	s_delay_alu instid0(SALU_CYCLE_1)
	s_xor_b32 exec_lo, exec_lo, s17
	s_cbranch_execz .LBB64_135
.LBB64_179:                             ;   in Loop: Header=BB64_57 Depth=1
	v_add_f32_e64 v7, 0x46000000, |v10|
	s_and_not1_b32 s16, s16, exec_lo
	s_mov_b32 s18, 0
	s_delay_alu instid0(VALU_DEP_1) | instskip(NEXT) | instid1(VALU_DEP_1)
	v_and_b32_e32 v11, 0xff, v7
	v_cmp_ne_u32_e32 vcc_lo, 0, v11
	s_and_b32 s19, vcc_lo, exec_lo
	s_delay_alu instid0(SALU_CYCLE_1)
	s_or_b32 s16, s16, s19
	s_or_b32 exec_lo, exec_lo, s17
	v_mov_b32_e32 v7, s18
	s_and_saveexec_b32 s17, s16
	s_cbranch_execnz .LBB64_136
	s_branch .LBB64_137
.LBB64_180:                             ;   in Loop: Header=BB64_57 Depth=1
	v_bfe_u32 v5, v3, 20, 1
	s_mov_b32 s16, exec_lo
	s_delay_alu instid0(VALU_DEP_1) | instskip(NEXT) | instid1(VALU_DEP_1)
	v_add3_u32 v5, v3, v5, 0x487ffff
	v_lshrrev_b32_e32 v5, 20, v5
	s_or_saveexec_b32 s17, s17
                                        ; implicit-def: $sgpr18
	s_delay_alu instid0(SALU_CYCLE_1)
	s_xor_b32 exec_lo, exec_lo, s17
	s_cbranch_execz .LBB64_141
.LBB64_181:                             ;   in Loop: Header=BB64_57 Depth=1
	v_add_f32_e64 v5, 0x46000000, |v3|
	s_and_not1_b32 s16, s16, exec_lo
	s_mov_b32 s18, 0
	s_delay_alu instid0(VALU_DEP_1) | instskip(NEXT) | instid1(VALU_DEP_1)
	v_and_b32_e32 v5, 0xff, v5
	v_cmp_ne_u32_e32 vcc_lo, 0, v5
	s_and_b32 s19, vcc_lo, exec_lo
	s_delay_alu instid0(SALU_CYCLE_1)
	s_or_b32 s16, s16, s19
	s_or_b32 exec_lo, exec_lo, s17
	v_mov_b32_e32 v8, s18
	s_and_saveexec_b32 s17, s16
	s_cbranch_execnz .LBB64_142
	s_branch .LBB64_143
.LBB64_182:                             ;   in Loop: Header=BB64_57 Depth=1
	v_bfe_u32 v5, v10, 20, 1
	s_mov_b32 s16, exec_lo
	s_delay_alu instid0(VALU_DEP_1) | instskip(NEXT) | instid1(VALU_DEP_1)
	v_add3_u32 v5, v10, v5, 0x487ffff
	v_lshrrev_b32_e32 v11, 20, v5
	s_or_saveexec_b32 s17, s17
                                        ; implicit-def: $sgpr18
	s_delay_alu instid0(SALU_CYCLE_1)
	s_xor_b32 exec_lo, exec_lo, s17
	s_cbranch_execz .LBB64_147
.LBB64_183:                             ;   in Loop: Header=BB64_57 Depth=1
	v_add_f32_e64 v5, 0x46000000, |v10|
	s_and_not1_b32 s16, s16, exec_lo
	s_mov_b32 s18, 0
	s_delay_alu instid0(VALU_DEP_1) | instskip(NEXT) | instid1(VALU_DEP_1)
	v_and_b32_e32 v11, 0xff, v5
	v_cmp_ne_u32_e32 vcc_lo, 0, v11
	s_and_b32 s19, vcc_lo, exec_lo
	s_delay_alu instid0(SALU_CYCLE_1)
	s_or_b32 s16, s16, s19
	s_or_b32 exec_lo, exec_lo, s17
	v_mov_b32_e32 v5, s18
	s_and_saveexec_b32 s17, s16
	s_cbranch_execnz .LBB64_148
	s_branch .LBB64_149
.LBB64_184:                             ;   in Loop: Header=BB64_57 Depth=1
	v_bfe_u32 v3, v4, 20, 1
	s_mov_b32 s16, exec_lo
	s_delay_alu instid0(VALU_DEP_1) | instskip(NEXT) | instid1(VALU_DEP_1)
	v_add3_u32 v3, v4, v3, 0x487ffff
	v_lshrrev_b32_e32 v6, 20, v3
	s_or_saveexec_b32 s17, s17
                                        ; implicit-def: $sgpr18
	s_delay_alu instid0(SALU_CYCLE_1)
	s_xor_b32 exec_lo, exec_lo, s17
	s_cbranch_execz .LBB64_153
.LBB64_185:                             ;   in Loop: Header=BB64_57 Depth=1
	v_add_f32_e64 v3, 0x46000000, |v4|
	s_and_not1_b32 s16, s16, exec_lo
	s_mov_b32 s18, 0
	s_delay_alu instid0(VALU_DEP_1) | instskip(NEXT) | instid1(VALU_DEP_1)
	v_and_b32_e32 v6, 0xff, v3
	v_cmp_ne_u32_e32 vcc_lo, 0, v6
	s_and_b32 s19, vcc_lo, exec_lo
	s_delay_alu instid0(SALU_CYCLE_1)
	s_or_b32 s16, s16, s19
	s_or_b32 exec_lo, exec_lo, s17
	v_mov_b32_e32 v3, s18
	s_and_saveexec_b32 s17, s16
	s_cbranch_execz .LBB64_52
.LBB64_186:                             ;   in Loop: Header=BB64_57 Depth=1
	v_lshrrev_b32_e32 v3, 24, v4
	s_delay_alu instid0(VALU_DEP_1)
	v_and_or_b32 v3, 0x80, v3, v6
	s_branch .LBB64_52
.LBB64_187:
	s_nop 0
	s_sendmsg sendmsg(MSG_DEALLOC_VGPRS)
	s_endpgm
	.section	.rodata,"a",@progbits
	.p2align	6, 0x0
	.amdhsa_kernel _ZN4vllm31rms_norm_per_block_quant_kernelIN3c104HalfENS1_15Float8_e4m3fnuzELb0ELb0ELi64EEEvPT0_PfPKT_S9_PKffiiPS7_l
		.amdhsa_group_segment_fixed_size 4228
		.amdhsa_private_segment_fixed_size 0
		.amdhsa_kernarg_size 328
		.amdhsa_user_sgpr_count 15
		.amdhsa_user_sgpr_dispatch_ptr 0
		.amdhsa_user_sgpr_queue_ptr 0
		.amdhsa_user_sgpr_kernarg_segment_ptr 1
		.amdhsa_user_sgpr_dispatch_id 0
		.amdhsa_user_sgpr_private_segment_size 0
		.amdhsa_wavefront_size32 1
		.amdhsa_uses_dynamic_stack 0
		.amdhsa_enable_private_segment 0
		.amdhsa_system_sgpr_workgroup_id_x 1
		.amdhsa_system_sgpr_workgroup_id_y 0
		.amdhsa_system_sgpr_workgroup_id_z 0
		.amdhsa_system_sgpr_workgroup_info 0
		.amdhsa_system_vgpr_workitem_id 0
		.amdhsa_next_free_vgpr 35
		.amdhsa_next_free_sgpr 36
		.amdhsa_reserve_vcc 1
		.amdhsa_float_round_mode_32 0
		.amdhsa_float_round_mode_16_64 0
		.amdhsa_float_denorm_mode_32 3
		.amdhsa_float_denorm_mode_16_64 3
		.amdhsa_dx10_clamp 1
		.amdhsa_ieee_mode 1
		.amdhsa_fp16_overflow 0
		.amdhsa_workgroup_processor_mode 1
		.amdhsa_memory_ordered 1
		.amdhsa_forward_progress 0
		.amdhsa_shared_vgpr_count 0
		.amdhsa_exception_fp_ieee_invalid_op 0
		.amdhsa_exception_fp_denorm_src 0
		.amdhsa_exception_fp_ieee_div_zero 0
		.amdhsa_exception_fp_ieee_overflow 0
		.amdhsa_exception_fp_ieee_underflow 0
		.amdhsa_exception_fp_ieee_inexact 0
		.amdhsa_exception_int_div_zero 0
	.end_amdhsa_kernel
	.section	.text._ZN4vllm31rms_norm_per_block_quant_kernelIN3c104HalfENS1_15Float8_e4m3fnuzELb0ELb0ELi64EEEvPT0_PfPKT_S9_PKffiiPS7_l,"axG",@progbits,_ZN4vllm31rms_norm_per_block_quant_kernelIN3c104HalfENS1_15Float8_e4m3fnuzELb0ELb0ELi64EEEvPT0_PfPKT_S9_PKffiiPS7_l,comdat
.Lfunc_end64:
	.size	_ZN4vllm31rms_norm_per_block_quant_kernelIN3c104HalfENS1_15Float8_e4m3fnuzELb0ELb0ELi64EEEvPT0_PfPKT_S9_PKffiiPS7_l, .Lfunc_end64-_ZN4vllm31rms_norm_per_block_quant_kernelIN3c104HalfENS1_15Float8_e4m3fnuzELb0ELb0ELi64EEEvPT0_PfPKT_S9_PKffiiPS7_l
                                        ; -- End function
	.section	.AMDGPU.csdata,"",@progbits
; Kernel info:
; codeLenInByte = 11048
; NumSgprs: 38
; NumVgprs: 35
; ScratchSize: 0
; MemoryBound: 0
; FloatMode: 240
; IeeeMode: 1
; LDSByteSize: 4228 bytes/workgroup (compile time only)
; SGPRBlocks: 4
; VGPRBlocks: 4
; NumSGPRsForWavesPerEU: 38
; NumVGPRsForWavesPerEU: 35
; Occupancy: 16
; WaveLimiterHint : 0
; COMPUTE_PGM_RSRC2:SCRATCH_EN: 0
; COMPUTE_PGM_RSRC2:USER_SGPR: 15
; COMPUTE_PGM_RSRC2:TRAP_HANDLER: 0
; COMPUTE_PGM_RSRC2:TGID_X_EN: 1
; COMPUTE_PGM_RSRC2:TGID_Y_EN: 0
; COMPUTE_PGM_RSRC2:TGID_Z_EN: 0
; COMPUTE_PGM_RSRC2:TIDIG_COMP_CNT: 0
	.section	.text._ZN4vllm31rms_norm_per_block_quant_kernelIN3c104HalfEaLb0ELb0ELi64EEEvPT0_PfPKT_S8_PKffiiPS6_l,"axG",@progbits,_ZN4vllm31rms_norm_per_block_quant_kernelIN3c104HalfEaLb0ELb0ELi64EEEvPT0_PfPKT_S8_PKffiiPS6_l,comdat
	.protected	_ZN4vllm31rms_norm_per_block_quant_kernelIN3c104HalfEaLb0ELb0ELi64EEEvPT0_PfPKT_S8_PKffiiPS6_l ; -- Begin function _ZN4vllm31rms_norm_per_block_quant_kernelIN3c104HalfEaLb0ELb0ELi64EEEvPT0_PfPKT_S8_PKffiiPS6_l
	.globl	_ZN4vllm31rms_norm_per_block_quant_kernelIN3c104HalfEaLb0ELb0ELi64EEEvPT0_PfPKT_S8_PKffiiPS6_l
	.p2align	8
	.type	_ZN4vllm31rms_norm_per_block_quant_kernelIN3c104HalfEaLb0ELb0ELi64EEEvPT0_PfPKT_S8_PKffiiPS6_l,@function
_ZN4vllm31rms_norm_per_block_quant_kernelIN3c104HalfEaLb0ELb0ELi64EEEvPT0_PfPKT_S8_PKffiiPS6_l: ; @_ZN4vllm31rms_norm_per_block_quant_kernelIN3c104HalfEaLb0ELb0ELi64EEEvPT0_PfPKT_S8_PKffiiPS6_l
; %bb.0:
	s_clause 0x1
	s_load_b128 s[16:19], s[0:1], 0x28
	s_load_b256 s[4:11], s[0:1], 0x0
	v_mov_b32_e32 v6, 0
	s_waitcnt lgkmcnt(0)
	s_ashr_i32 s2, s18, 31
	s_mul_hi_u32 s3, s18, s15
	s_mul_i32 s12, s2, s15
	s_mul_i32 s2, s18, s15
	s_add_i32 s3, s3, s12
	s_mov_b32 s12, s17
	s_lshl_b64 s[2:3], s[2:3], 1
	s_delay_alu instid0(SALU_CYCLE_1)
	s_add_u32 s14, s8, s2
	s_addc_u32 s26, s9, s3
	s_ashr_i32 s8, s17, 2
	s_add_u32 s18, s0, 0x48
	v_cmp_gt_u32_e64 s2, s8, v0
	s_mov_b32 s9, 0
	s_addc_u32 s19, s1, 0
	s_delay_alu instid0(VALU_DEP_1)
	s_and_saveexec_b32 s3, s2
	s_cbranch_execz .LBB65_10
; %bb.1:
	s_load_b32 s13, s[18:19], 0x0
	v_dual_mov_b32 v2, 0 :: v_dual_mov_b32 v1, v0
	s_waitcnt lgkmcnt(0)
	s_cmp_lt_u32 s15, s13
	s_cselect_b32 s13, 12, 18
	s_delay_alu instid0(SALU_CYCLE_1)
	s_add_u32 s20, s18, s13
	s_addc_u32 s21, s19, 0
                                        ; implicit-def: $sgpr13
	global_load_u16 v7, v2, s[20:21]
	s_waitcnt vmcnt(0)
	v_lshlrev_b32_e32 v9, 1, v7
	v_mul_lo_u32 v8, v7, 3
	v_add_nc_u32_e32 v10, v7, v7
	v_mov_b32_e32 v6, v2
	s_branch .LBB65_5
.LBB65_2:                               ;   in Loop: Header=BB65_5 Depth=1
	s_or_b32 exec_lo, exec_lo, s22
	s_delay_alu instid0(SALU_CYCLE_1)
	s_or_not1_b32 s22, s23, exec_lo
.LBB65_3:                               ;   in Loop: Header=BB65_5 Depth=1
	s_or_b32 exec_lo, exec_lo, s21
	s_delay_alu instid0(SALU_CYCLE_1) | instskip(SKIP_1) | instid1(SALU_CYCLE_1)
	s_and_not1_b32 s13, s13, exec_lo
	s_and_b32 s21, s22, exec_lo
	s_or_b32 s13, s13, s21
.LBB65_4:                               ;   in Loop: Header=BB65_5 Depth=1
	s_or_b32 exec_lo, exec_lo, s20
	s_delay_alu instid0(SALU_CYCLE_1) | instskip(NEXT) | instid1(SALU_CYCLE_1)
	s_and_b32 s20, exec_lo, s13
	s_or_b32 s9, s20, s9
	s_delay_alu instid0(SALU_CYCLE_1)
	s_and_not1_b32 exec_lo, exec_lo, s9
	s_cbranch_execz .LBB65_9
.LBB65_5:                               ; =>This Inner Loop Header: Depth=1
	v_lshlrev_b64 v[3:4], 3, v[1:2]
	s_or_b32 s13, s13, exec_lo
	s_mov_b32 s20, exec_lo
	s_delay_alu instid0(VALU_DEP_1) | instskip(NEXT) | instid1(VALU_DEP_2)
	v_add_co_u32 v3, vcc_lo, s14, v3
	v_add_co_ci_u32_e32 v4, vcc_lo, s26, v4, vcc_lo
	global_load_b64 v[3:4], v[3:4], off
	s_waitcnt vmcnt(0)
	v_fma_mix_f32 v5, v3, v3, v6 op_sel_hi:[1,1,0]
	s_delay_alu instid0(VALU_DEP_1) | instskip(NEXT) | instid1(VALU_DEP_1)
	v_fma_mix_f32 v3, v3, v3, v5 op_sel:[1,1,0] op_sel_hi:[1,1,0]
	v_fma_mix_f32 v5, v4, v4, v3 op_sel_hi:[1,1,0]
	v_add_nc_u32_e32 v3, v1, v7
	s_delay_alu instid0(VALU_DEP_2) | instskip(NEXT) | instid1(VALU_DEP_2)
	v_fma_mix_f32 v6, v4, v4, v5 op_sel:[1,1,0] op_sel_hi:[1,1,0]
	v_cmpx_gt_u32_e64 s8, v3
	s_cbranch_execz .LBB65_4
; %bb.6:                                ;   in Loop: Header=BB65_5 Depth=1
	v_mov_b32_e32 v4, v2
	s_mov_b32 s22, -1
	s_mov_b32 s21, exec_lo
	s_delay_alu instid0(VALU_DEP_1) | instskip(NEXT) | instid1(VALU_DEP_1)
	v_lshlrev_b64 v[4:5], 3, v[3:4]
	v_add_co_u32 v4, vcc_lo, s14, v4
	s_delay_alu instid0(VALU_DEP_2) | instskip(SKIP_3) | instid1(VALU_DEP_1)
	v_add_co_ci_u32_e32 v5, vcc_lo, s26, v5, vcc_lo
	global_load_b64 v[4:5], v[4:5], off
	s_waitcnt vmcnt(0)
	v_fma_mix_f32 v6, v4, v4, v6 op_sel_hi:[1,1,0]
	v_fma_mix_f32 v4, v4, v4, v6 op_sel:[1,1,0] op_sel_hi:[1,1,0]
	s_delay_alu instid0(VALU_DEP_1) | instskip(SKIP_1) | instid1(VALU_DEP_2)
	v_fma_mix_f32 v6, v5, v5, v4 op_sel_hi:[1,1,0]
	v_add_nc_u32_e32 v4, v9, v1
	v_fma_mix_f32 v6, v5, v5, v6 op_sel:[1,1,0] op_sel_hi:[1,1,0]
	s_delay_alu instid0(VALU_DEP_2)
	v_cmpx_gt_u32_e64 s8, v4
	s_cbranch_execz .LBB65_3
; %bb.7:                                ;   in Loop: Header=BB65_5 Depth=1
	v_mov_b32_e32 v5, v2
	v_add_nc_u32_e32 v1, v8, v1
	s_mov_b32 s23, -1
	s_mov_b32 s22, exec_lo
	s_delay_alu instid0(VALU_DEP_2) | instskip(NEXT) | instid1(VALU_DEP_1)
	v_lshlrev_b64 v[4:5], 3, v[4:5]
	v_add_co_u32 v4, vcc_lo, s14, v4
	s_delay_alu instid0(VALU_DEP_2) | instskip(SKIP_3) | instid1(VALU_DEP_1)
	v_add_co_ci_u32_e32 v5, vcc_lo, s26, v5, vcc_lo
	global_load_b64 v[4:5], v[4:5], off
	s_waitcnt vmcnt(0)
	v_fma_mix_f32 v6, v4, v4, v6 op_sel_hi:[1,1,0]
	v_fma_mix_f32 v4, v4, v4, v6 op_sel:[1,1,0] op_sel_hi:[1,1,0]
	s_delay_alu instid0(VALU_DEP_1) | instskip(NEXT) | instid1(VALU_DEP_1)
	v_fma_mix_f32 v4, v5, v5, v4 op_sel_hi:[1,1,0]
	v_fma_mix_f32 v6, v5, v5, v4 op_sel:[1,1,0] op_sel_hi:[1,1,0]
	v_cmpx_gt_u32_e64 s8, v1
	s_xor_b32 s22, exec_lo, s22
	s_cbranch_execz .LBB65_2
; %bb.8:                                ;   in Loop: Header=BB65_5 Depth=1
	v_lshlrev_b64 v[4:5], 3, v[1:2]
	s_delay_alu instid0(VALU_DEP_1) | instskip(NEXT) | instid1(VALU_DEP_2)
	v_add_co_u32 v4, vcc_lo, s14, v4
	v_add_co_ci_u32_e32 v5, vcc_lo, s26, v5, vcc_lo
	global_load_b64 v[4:5], v[4:5], off
	s_waitcnt vmcnt(0)
	v_fma_mix_f32 v1, v4, v4, v6 op_sel_hi:[1,1,0]
	s_delay_alu instid0(VALU_DEP_1) | instskip(SKIP_1) | instid1(VALU_DEP_2)
	v_fma_mix_f32 v4, v4, v4, v1 op_sel:[1,1,0] op_sel_hi:[1,1,0]
	v_add3_u32 v1, v10, v7, v3
	v_fma_mix_f32 v3, v5, v5, v4 op_sel_hi:[1,1,0]
	s_delay_alu instid0(VALU_DEP_2) | instskip(NEXT) | instid1(VALU_DEP_2)
	v_cmp_le_u32_e32 vcc_lo, s8, v1
	v_fma_mix_f32 v6, v5, v5, v3 op_sel:[1,1,0] op_sel_hi:[1,1,0]
	s_or_not1_b32 s23, vcc_lo, exec_lo
	s_branch .LBB65_2
.LBB65_9:
	s_or_b32 exec_lo, exec_lo, s9
.LBB65_10:
	s_delay_alu instid0(SALU_CYCLE_1) | instskip(SKIP_3) | instid1(VALU_DEP_2)
	s_or_b32 exec_lo, exec_lo, s3
	v_mbcnt_lo_u32_b32 v1, -1, 0
	s_load_b32 s3, s[18:19], 0xc
	v_and_b32_e32 v7, 0x3e0, v0
	v_cmp_ne_u32_e32 vcc_lo, 31, v1
	v_add_nc_u32_e32 v3, 1, v1
	v_add_co_ci_u32_e32 v2, vcc_lo, 0, v1, vcc_lo
	v_cmp_gt_u32_e32 vcc_lo, 30, v1
	s_delay_alu instid0(VALU_DEP_2)
	v_lshlrev_b32_e32 v2, 2, v2
	v_cndmask_b32_e64 v5, 0, 1, vcc_lo
	ds_bpermute_b32 v4, v2, v6
	s_waitcnt lgkmcnt(0)
	s_and_b32 s27, s3, 0xffff
	v_lshlrev_b32_e32 v5, 1, v5
	v_sub_nc_u32_e64 v12, s27, v7 clamp
	s_mov_b32 s3, exec_lo
	s_delay_alu instid0(VALU_DEP_1) | instskip(SKIP_2) | instid1(VALU_DEP_2)
	v_cmp_lt_u32_e32 vcc_lo, v3, v12
	v_add_f32_e32 v7, v6, v4
	v_add_lshl_u32 v4, v5, v1, 2
	v_cndmask_b32_e32 v7, v6, v7, vcc_lo
	v_cmp_gt_u32_e32 vcc_lo, 28, v1
	v_cndmask_b32_e64 v5, 0, 1, vcc_lo
	s_delay_alu instid0(VALU_DEP_1) | instskip(SKIP_2) | instid1(VALU_DEP_1)
	v_lshlrev_b32_e32 v8, 2, v5
	ds_bpermute_b32 v6, v4, v7
	v_add_nc_u32_e32 v5, 2, v1
	v_cmp_lt_u32_e32 vcc_lo, v5, v12
	s_waitcnt lgkmcnt(0)
	v_add_f32_e32 v9, v7, v6
	v_add_lshl_u32 v6, v8, v1, 2
	s_delay_alu instid0(VALU_DEP_2) | instskip(SKIP_3) | instid1(VALU_DEP_1)
	v_cndmask_b32_e32 v9, v7, v9, vcc_lo
	v_cmp_gt_u32_e32 vcc_lo, 24, v1
	ds_bpermute_b32 v8, v6, v9
	v_cndmask_b32_e64 v7, 0, 1, vcc_lo
	v_lshlrev_b32_e32 v10, 3, v7
	v_add_nc_u32_e32 v7, 4, v1
	s_delay_alu instid0(VALU_DEP_1) | instskip(SKIP_3) | instid1(VALU_DEP_2)
	v_cmp_lt_u32_e32 vcc_lo, v7, v12
	s_waitcnt lgkmcnt(0)
	v_add_f32_e32 v11, v9, v8
	v_add_lshl_u32 v8, v10, v1, 2
	v_cndmask_b32_e32 v11, v9, v11, vcc_lo
	v_cmp_gt_u32_e32 vcc_lo, 16, v1
	ds_bpermute_b32 v10, v8, v11
	v_cndmask_b32_e64 v9, 0, 1, vcc_lo
	s_delay_alu instid0(VALU_DEP_1) | instskip(SKIP_1) | instid1(VALU_DEP_1)
	v_lshlrev_b32_e32 v13, 4, v9
	v_add_nc_u32_e32 v9, 8, v1
	v_cmp_lt_u32_e32 vcc_lo, v9, v12
	s_waitcnt lgkmcnt(0)
	v_add_f32_e32 v14, v11, v10
	v_add_lshl_u32 v10, v13, v1, 2
	s_delay_alu instid0(VALU_DEP_2)
	v_cndmask_b32_e32 v13, v11, v14, vcc_lo
	v_add_nc_u32_e32 v11, 16, v1
	ds_bpermute_b32 v14, v10, v13
	v_cmp_lt_u32_e32 vcc_lo, v11, v12
	s_waitcnt lgkmcnt(0)
	v_add_f32_e32 v14, v13, v14
	s_delay_alu instid0(VALU_DEP_1)
	v_cndmask_b32_e32 v12, v13, v14, vcc_lo
	v_cmpx_eq_u32_e32 0, v1
	s_cbranch_execz .LBB65_12
; %bb.11:
	v_lshrrev_b32_e32 v13, 3, v0
	s_delay_alu instid0(VALU_DEP_1)
	v_and_b32_e32 v13, 0x7c, v13
	ds_store_b32 v13, v12 offset:4096
.LBB65_12:
	s_or_b32 exec_lo, exec_lo, s3
	s_delay_alu instid0(SALU_CYCLE_1)
	s_mov_b32 s3, exec_lo
	s_waitcnt lgkmcnt(0)
	s_barrier
	buffer_gl0_inv
	v_cmpx_gt_u32_e32 32, v0
	s_cbranch_execz .LBB65_14
; %bb.13:
	v_lshlrev_b32_e32 v1, 2, v1
	s_add_i32 s9, s27, 31
	s_delay_alu instid0(SALU_CYCLE_1) | instskip(NEXT) | instid1(SALU_CYCLE_1)
	s_lshr_b32 s9, s9, 5
	v_cmp_gt_u32_e32 vcc_lo, s9, v3
	ds_load_b32 v1, v1 offset:4096
	s_waitcnt lgkmcnt(0)
	ds_bpermute_b32 v2, v2, v1
	s_waitcnt lgkmcnt(0)
	v_add_f32_e32 v2, v1, v2
	s_delay_alu instid0(VALU_DEP_1) | instskip(SKIP_4) | instid1(VALU_DEP_1)
	v_cndmask_b32_e32 v1, v1, v2, vcc_lo
	v_cmp_gt_u32_e32 vcc_lo, s9, v5
	ds_bpermute_b32 v2, v4, v1
	s_waitcnt lgkmcnt(0)
	v_add_f32_e32 v2, v1, v2
	v_cndmask_b32_e32 v1, v1, v2, vcc_lo
	v_cmp_gt_u32_e32 vcc_lo, s9, v7
	ds_bpermute_b32 v2, v6, v1
	s_waitcnt lgkmcnt(0)
	v_add_f32_e32 v2, v1, v2
	s_delay_alu instid0(VALU_DEP_1) | instskip(SKIP_4) | instid1(VALU_DEP_1)
	v_cndmask_b32_e32 v1, v1, v2, vcc_lo
	v_cmp_gt_u32_e32 vcc_lo, s9, v9
	ds_bpermute_b32 v2, v8, v1
	s_waitcnt lgkmcnt(0)
	v_add_f32_e32 v2, v1, v2
	v_cndmask_b32_e32 v1, v1, v2, vcc_lo
	v_cmp_gt_u32_e32 vcc_lo, s9, v11
	ds_bpermute_b32 v2, v10, v1
	s_waitcnt lgkmcnt(0)
	v_add_f32_e32 v2, v1, v2
	s_delay_alu instid0(VALU_DEP_1)
	v_cndmask_b32_e32 v12, v1, v2, vcc_lo
.LBB65_14:
	s_or_b32 exec_lo, exec_lo, s3
	s_delay_alu instid0(SALU_CYCLE_1)
	s_mov_b32 s3, exec_lo
	v_cmpx_eq_u32_e32 0, v0
	s_cbranch_execz .LBB65_16
; %bb.15:
	v_cvt_f32_i32_e32 v1, s17
	s_delay_alu instid0(VALU_DEP_1) | instskip(SKIP_1) | instid1(VALU_DEP_2)
	v_div_scale_f32 v2, null, v1, v1, v12
	v_div_scale_f32 v5, vcc_lo, v12, v1, v12
	v_rcp_f32_e32 v3, v2
	s_waitcnt_depctr 0xfff
	v_fma_f32 v4, -v2, v3, 1.0
	s_delay_alu instid0(VALU_DEP_1) | instskip(NEXT) | instid1(VALU_DEP_1)
	v_fmac_f32_e32 v3, v4, v3
	v_mul_f32_e32 v4, v5, v3
	s_delay_alu instid0(VALU_DEP_1) | instskip(NEXT) | instid1(VALU_DEP_1)
	v_fma_f32 v6, -v2, v4, v5
	v_fmac_f32_e32 v4, v6, v3
	s_delay_alu instid0(VALU_DEP_1) | instskip(NEXT) | instid1(VALU_DEP_1)
	v_fma_f32 v2, -v2, v4, v5
	v_div_fmas_f32 v2, v2, v3, v4
	s_delay_alu instid0(VALU_DEP_1) | instskip(NEXT) | instid1(VALU_DEP_1)
	v_div_fixup_f32 v1, v2, v1, v12
	v_add_f32_e32 v1, s16, v1
	s_delay_alu instid0(VALU_DEP_1) | instskip(SKIP_1) | instid1(VALU_DEP_2)
	v_mul_f32_e32 v2, 0x4b800000, v1
	v_cmp_gt_f32_e32 vcc_lo, 0x800000, v1
	v_cndmask_b32_e32 v1, v1, v2, vcc_lo
	s_delay_alu instid0(VALU_DEP_1) | instskip(SKIP_2) | instid1(VALU_DEP_1)
	v_rsq_f32_e32 v1, v1
	s_waitcnt_depctr 0xfff
	v_mul_f32_e32 v2, 0x45800000, v1
	v_dual_cndmask_b32 v1, v1, v2 :: v_dual_mov_b32 v2, 0
	ds_store_b32 v2, v1 offset:4224
.LBB65_16:
	s_or_b32 exec_lo, exec_lo, s3
	s_ashr_i32 s13, s17, 31
	s_waitcnt lgkmcnt(0)
	s_lshr_b32 s3, s13, 26
	s_barrier
	s_add_i32 s3, s17, s3
	buffer_gl0_inv
	s_ashr_i32 s16, s3, 6
	s_ashr_i32 s3, s3, 31
	s_abs_i32 s9, s16
	s_delay_alu instid0(SALU_CYCLE_1) | instskip(SKIP_1) | instid1(VALU_DEP_1)
	v_cvt_f32_u32_e32 v1, s9
	s_sub_i32 s18, 0, s9
	v_rcp_iflag_f32_e32 v1, v1
	s_waitcnt_depctr 0xfff
	v_mul_f32_e32 v1, 0x4f7ffffe, v1
	s_delay_alu instid0(VALU_DEP_1) | instskip(NEXT) | instid1(VALU_DEP_1)
	v_cvt_u32_f32_e32 v1, v1
	v_readfirstlane_b32 s17, v1
	s_delay_alu instid0(VALU_DEP_1) | instskip(NEXT) | instid1(SALU_CYCLE_1)
	s_mul_i32 s18, s18, s17
	s_mul_hi_u32 s18, s17, s18
	s_delay_alu instid0(SALU_CYCLE_1) | instskip(NEXT) | instid1(SALU_CYCLE_1)
	s_add_i32 s17, s17, s18
	s_mul_hi_u32 s17, s27, s17
	s_delay_alu instid0(SALU_CYCLE_1) | instskip(SKIP_2) | instid1(SALU_CYCLE_1)
	s_mul_i32 s18, s17, s9
	s_add_i32 s19, s17, 1
	s_sub_i32 s18, s27, s18
	s_sub_i32 s20, s18, s9
	s_cmp_ge_u32 s18, s9
	s_cselect_b32 s17, s19, s17
	s_cselect_b32 s18, s20, s18
	s_add_i32 s19, s17, 1
	s_cmp_ge_u32 s18, s9
	s_cselect_b32 s9, s19, s17
	s_delay_alu instid0(SALU_CYCLE_1) | instskip(NEXT) | instid1(SALU_CYCLE_1)
	s_xor_b32 s9, s9, s3
	s_sub_i32 s18, s9, s3
	s_delay_alu instid0(SALU_CYCLE_1) | instskip(SKIP_3) | instid1(VALU_DEP_1)
	s_abs_i32 s3, s18
	s_ashr_i32 s19, s18, 31
	v_cvt_f32_u32_e32 v1, s3
	s_sub_i32 s9, 0, s3
	v_rcp_iflag_f32_e32 v1, v1
	s_waitcnt_depctr 0xfff
	v_mul_f32_e32 v1, 0x4f7ffffe, v1
	s_delay_alu instid0(VALU_DEP_1) | instskip(NEXT) | instid1(VALU_DEP_1)
	v_cvt_u32_f32_e32 v1, v1
	v_mul_lo_u32 v2, s9, v1
	s_ashr_i32 s9, s8, 31
	s_delay_alu instid0(VALU_DEP_1) | instskip(NEXT) | instid1(VALU_DEP_1)
	v_mul_hi_u32 v2, v1, v2
	v_add_nc_u32_e32 v1, v1, v2
	s_delay_alu instid0(VALU_DEP_1) | instskip(NEXT) | instid1(VALU_DEP_1)
	v_mul_hi_u32 v1, v0, v1
	v_mul_lo_u32 v2, v1, s3
	v_add_nc_u32_e32 v3, 1, v1
	s_delay_alu instid0(VALU_DEP_2) | instskip(NEXT) | instid1(VALU_DEP_1)
	v_sub_nc_u32_e32 v2, v0, v2
	v_subrev_nc_u32_e32 v4, s3, v2
	v_cmp_le_u32_e32 vcc_lo, s3, v2
	s_delay_alu instid0(VALU_DEP_2) | instskip(NEXT) | instid1(VALU_DEP_1)
	v_dual_cndmask_b32 v1, v1, v3 :: v_dual_cndmask_b32 v2, v2, v4
	v_dual_mov_b32 v4, 0 :: v_dual_add_nc_u32 v3, 1, v1
	s_delay_alu instid0(VALU_DEP_2) | instskip(SKIP_2) | instid1(VALU_DEP_1)
	v_cmp_le_u32_e32 vcc_lo, s3, v2
	ds_load_b32 v28, v4 offset:4224
	v_cndmask_b32_e32 v1, v1, v3, vcc_lo
	v_xor_b32_e32 v1, s19, v1
	s_delay_alu instid0(VALU_DEP_1) | instskip(NEXT) | instid1(VALU_DEP_1)
	v_subrev_nc_u32_e32 v1, s19, v1
	v_ashrrev_i32_e32 v2, 31, v1
	v_mul_lo_u32 v3, v1, s18
	s_delay_alu instid0(VALU_DEP_2) | instskip(NEXT) | instid1(VALU_DEP_2)
	v_lshlrev_b64 v[7:8], 4, v[1:2]
	v_sub_nc_u32_e32 v3, v0, v3
	s_delay_alu instid0(VALU_DEP_2) | instskip(NEXT) | instid1(VALU_DEP_3)
	v_add_co_u32 v5, vcc_lo, v7, 16
	v_add_co_ci_u32_e32 v6, vcc_lo, 0, v8, vcc_lo
	s_delay_alu instid0(VALU_DEP_1) | instskip(SKIP_4) | instid1(VALU_DEP_3)
	v_cmp_gt_i64_e32 vcc_lo, s[8:9], v[5:6]
	v_cndmask_b32_e32 v6, s9, v6, vcc_lo
	v_cndmask_b32_e32 v5, s8, v5, vcc_lo
	v_add_co_u32 v7, vcc_lo, v7, v3
	v_add_co_ci_u32_e32 v8, vcc_lo, 0, v8, vcc_lo
	v_ashrrev_i32_e32 v10, 31, v5
	v_mov_b32_e32 v9, v5
	s_mov_b32 s9, exec_lo
	s_delay_alu instid0(VALU_DEP_1)
	v_cmpx_lt_i64_e64 v[7:8], v[9:10]
	s_cbranch_execz .LBB65_26
; %bb.17:
	v_lshlrev_b64 v[11:12], 7, v[1:2]
	v_lshlrev_b64 v[13:14], 3, v[3:4]
	v_mov_b32_e32 v4, 0
	s_lshl_b64 s[20:21], s[18:19], 5
	s_mul_hi_i32 s17, s18, 3
	s_mul_i32 s28, s18, 3
	s_lshl_b64 s[22:23], s[18:19], 1
	v_add_co_u32 v19, vcc_lo, v11, v13
	v_add_co_ci_u32_e32 v20, vcc_lo, v12, v14, vcc_lo
	v_dual_mov_b32 v12, v8 :: v_dual_mov_b32 v11, v7
	s_lshl_b64 s[24:25], s[18:19], 3
	s_mov_b32 s29, 0
                                        ; implicit-def: $sgpr30
	s_branch .LBB65_21
.LBB65_18:                              ;   in Loop: Header=BB65_21 Depth=1
	s_or_b32 exec_lo, exec_lo, s34
	s_delay_alu instid0(SALU_CYCLE_1)
	s_or_not1_b32 s3, s3, exec_lo
.LBB65_19:                              ;   in Loop: Header=BB65_21 Depth=1
	s_or_b32 exec_lo, exec_lo, s33
	s_delay_alu instid0(SALU_CYCLE_1) | instskip(SKIP_1) | instid1(SALU_CYCLE_1)
	s_and_not1_b32 s30, s30, exec_lo
	s_and_b32 s3, s3, exec_lo
	s_or_b32 s30, s30, s3
.LBB65_20:                              ;   in Loop: Header=BB65_21 Depth=1
	s_or_b32 exec_lo, exec_lo, s31
	s_delay_alu instid0(SALU_CYCLE_1) | instskip(NEXT) | instid1(SALU_CYCLE_1)
	s_and_b32 s3, exec_lo, s30
	s_or_b32 s29, s3, s29
	s_delay_alu instid0(SALU_CYCLE_1)
	s_and_not1_b32 exec_lo, exec_lo, s29
	s_cbranch_execz .LBB65_25
.LBB65_21:                              ; =>This Inner Loop Header: Depth=1
	v_add_co_u32 v17, vcc_lo, s10, v19
	v_add_co_ci_u32_e32 v18, vcc_lo, s11, v20, vcc_lo
	v_add_co_u32 v15, vcc_lo, s14, v19
	v_add_co_ci_u32_e32 v16, vcc_lo, s26, v20, vcc_lo
	s_or_b32 s30, s30, exec_lo
	global_load_b64 v[13:14], v[17:18], off
	global_load_b64 v[21:22], v[15:16], off
	s_mov_b32 s31, exec_lo
	s_waitcnt vmcnt(1)
	v_lshrrev_b32_e32 v23, 16, v13
	s_waitcnt vmcnt(0) lgkmcnt(0)
	v_fma_mixlo_f16 v24, v28, v21, 0 op_sel_hi:[0,1,0]
	v_fma_mixlo_f16 v21, v28, v21, 0 op_sel:[0,1,0] op_sel_hi:[0,1,0]
	v_lshrrev_b32_e32 v25, 16, v14
	v_fma_mixlo_f16 v26, v28, v22, 0 op_sel_hi:[0,1,0]
	v_fma_mixlo_f16 v22, v28, v22, 0 op_sel:[0,1,0] op_sel_hi:[0,1,0]
	v_mul_f16_e32 v13, v13, v24
	v_mul_f16_e32 v21, v23, v21
	s_delay_alu instid0(VALU_DEP_4) | instskip(NEXT) | instid1(VALU_DEP_4)
	v_mul_f16_e32 v23, v14, v26
	v_mul_f16_e32 v22, v25, v22
	s_delay_alu instid0(VALU_DEP_4) | instskip(NEXT) | instid1(VALU_DEP_4)
	v_cvt_f32_f16_e64 v24, |v13|
	v_cvt_f32_f16_e64 v21, |v21|
	v_add_co_u32 v13, vcc_lo, v11, s18
	v_cvt_f32_f16_e64 v23, |v23|
	v_add_co_ci_u32_e32 v14, vcc_lo, s19, v12, vcc_lo
	s_delay_alu instid0(VALU_DEP_4) | instskip(SKIP_1) | instid1(VALU_DEP_1)
	v_max3_f32 v4, v4, v24, v21
	v_cvt_f32_f16_e64 v21, |v22|
	v_max3_f32 v4, v4, v23, v21
	s_delay_alu instid0(VALU_DEP_4)
	v_cmpx_lt_i64_e64 v[13:14], v[9:10]
	s_cbranch_execz .LBB65_20
; %bb.22:                               ;   in Loop: Header=BB65_21 Depth=1
	v_add_co_u32 v17, vcc_lo, v17, s24
	v_add_co_ci_u32_e32 v18, vcc_lo, s25, v18, vcc_lo
	v_add_co_u32 v15, vcc_lo, v15, s24
	v_add_co_ci_u32_e32 v16, vcc_lo, s25, v16, vcc_lo
	s_mov_b32 s3, -1
	global_load_b64 v[21:22], v[17:18], off
	global_load_b64 v[23:24], v[15:16], off
	s_mov_b32 s33, exec_lo
	s_waitcnt vmcnt(1)
	v_lshrrev_b32_e32 v25, 16, v21
	s_waitcnt vmcnt(0)
	v_fma_mixlo_f16 v26, v28, v23, 0 op_sel_hi:[0,1,0]
	v_fma_mixlo_f16 v23, v28, v23, 0 op_sel:[0,1,0] op_sel_hi:[0,1,0]
	v_lshrrev_b32_e32 v27, 16, v22
	v_fma_mixlo_f16 v29, v28, v24, 0 op_sel_hi:[0,1,0]
	v_fma_mixlo_f16 v24, v28, v24, 0 op_sel:[0,1,0] op_sel_hi:[0,1,0]
	v_mul_f16_e32 v21, v21, v26
	v_mul_f16_e32 v23, v25, v23
	s_delay_alu instid0(VALU_DEP_4) | instskip(NEXT) | instid1(VALU_DEP_4)
	v_mul_f16_e32 v25, v22, v29
	v_mul_f16_e32 v24, v27, v24
	s_delay_alu instid0(VALU_DEP_4) | instskip(NEXT) | instid1(VALU_DEP_4)
	v_cvt_f32_f16_e64 v26, |v21|
	v_cvt_f32_f16_e64 v23, |v23|
	v_add_co_u32 v21, vcc_lo, s22, v11
	v_cvt_f32_f16_e64 v25, |v25|
	v_add_co_ci_u32_e32 v22, vcc_lo, s23, v12, vcc_lo
	s_delay_alu instid0(VALU_DEP_4) | instskip(SKIP_1) | instid1(VALU_DEP_1)
	v_max3_f32 v4, v4, v26, v23
	v_cvt_f32_f16_e64 v23, |v24|
	v_max3_f32 v4, v4, v25, v23
	s_delay_alu instid0(VALU_DEP_4)
	v_cmpx_lt_i64_e64 v[21:22], v[9:10]
	s_cbranch_execz .LBB65_19
; %bb.23:                               ;   in Loop: Header=BB65_21 Depth=1
	v_add_co_u32 v17, vcc_lo, v17, s24
	v_add_co_ci_u32_e32 v18, vcc_lo, s25, v18, vcc_lo
	v_add_co_u32 v15, vcc_lo, v15, s24
	v_add_co_ci_u32_e32 v16, vcc_lo, s25, v16, vcc_lo
	v_add_co_u32 v11, vcc_lo, s28, v11
	global_load_b64 v[21:22], v[17:18], off
	global_load_b64 v[23:24], v[15:16], off
	v_add_co_ci_u32_e32 v12, vcc_lo, s17, v12, vcc_lo
	s_delay_alu instid0(VALU_DEP_1)
	v_cmp_lt_i64_e32 vcc_lo, v[11:12], v[9:10]
                                        ; implicit-def: $vgpr11_vgpr12
	s_waitcnt vmcnt(1)
	v_lshrrev_b32_e32 v25, 16, v21
	s_waitcnt vmcnt(0)
	v_fma_mixlo_f16 v26, v28, v23, 0 op_sel_hi:[0,1,0]
	v_fma_mixlo_f16 v23, v28, v23, 0 op_sel:[0,1,0] op_sel_hi:[0,1,0]
	v_lshrrev_b32_e32 v27, 16, v22
	v_fma_mixlo_f16 v29, v28, v24, 0 op_sel_hi:[0,1,0]
	v_fma_mixlo_f16 v24, v28, v24, 0 op_sel:[0,1,0] op_sel_hi:[0,1,0]
	v_mul_f16_e32 v21, v21, v26
	v_mul_f16_e32 v23, v25, v23
	s_delay_alu instid0(VALU_DEP_4) | instskip(NEXT) | instid1(VALU_DEP_4)
	v_mul_f16_e32 v22, v22, v29
	v_mul_f16_e32 v24, v27, v24
	s_delay_alu instid0(VALU_DEP_4) | instskip(NEXT) | instid1(VALU_DEP_4)
	v_cvt_f32_f16_e64 v21, |v21|
	v_cvt_f32_f16_e64 v23, |v23|
	s_delay_alu instid0(VALU_DEP_4) | instskip(NEXT) | instid1(VALU_DEP_2)
	v_cvt_f32_f16_e64 v22, |v22|
	v_max3_f32 v4, v4, v21, v23
	v_cvt_f32_f16_e64 v21, |v24|
	s_delay_alu instid0(VALU_DEP_1) | instskip(SKIP_1) | instid1(SALU_CYCLE_1)
	v_max3_f32 v4, v4, v22, v21
	s_and_saveexec_b32 s34, vcc_lo
	s_xor_b32 s34, exec_lo, s34
	s_cbranch_execz .LBB65_18
; %bb.24:                               ;   in Loop: Header=BB65_21 Depth=1
	v_add_co_u32 v11, vcc_lo, v17, s24
	v_add_co_ci_u32_e32 v12, vcc_lo, s25, v18, vcc_lo
	v_add_co_u32 v15, vcc_lo, v15, s24
	v_add_co_ci_u32_e32 v16, vcc_lo, s25, v16, vcc_lo
	s_add_u32 s3, s18, s18
	global_load_b64 v[11:12], v[11:12], off
	global_load_b64 v[15:16], v[15:16], off
	s_addc_u32 s35, s19, s19
	s_add_u32 s3, s3, s18
	s_addc_u32 s35, s35, s19
	s_waitcnt vmcnt(1)
	v_lshrrev_b32_e32 v17, 16, v11
	s_waitcnt vmcnt(0)
	v_fma_mixlo_f16 v18, v28, v15, 0 op_sel_hi:[0,1,0]
	v_fma_mixlo_f16 v15, v28, v15, 0 op_sel:[0,1,0] op_sel_hi:[0,1,0]
	v_lshrrev_b32_e32 v21, 16, v12
	v_fma_mixlo_f16 v22, v28, v16, 0 op_sel_hi:[0,1,0]
	v_fma_mixlo_f16 v16, v28, v16, 0 op_sel:[0,1,0] op_sel_hi:[0,1,0]
	v_mul_f16_e32 v11, v11, v18
	v_mul_f16_e32 v15, v17, v15
	s_delay_alu instid0(VALU_DEP_4) | instskip(NEXT) | instid1(VALU_DEP_4)
	v_mul_f16_e32 v17, v12, v22
	v_mul_f16_e32 v16, v21, v16
	s_delay_alu instid0(VALU_DEP_4) | instskip(NEXT) | instid1(VALU_DEP_4)
	v_cvt_f32_f16_e64 v18, |v11|
	v_cvt_f32_f16_e64 v15, |v15|
	v_add_co_u32 v11, vcc_lo, s3, v13
	v_add_co_ci_u32_e32 v12, vcc_lo, s35, v14, vcc_lo
	v_cvt_f32_f16_e64 v13, |v17|
	v_cvt_f32_f16_e64 v14, |v16|
	v_max3_f32 v4, v4, v18, v15
	s_delay_alu instid0(VALU_DEP_4) | instskip(SKIP_1) | instid1(VALU_DEP_1)
	v_cmp_ge_i64_e32 vcc_lo, v[11:12], v[9:10]
	v_add_co_u32 v19, s3, v19, s20
	v_add_co_ci_u32_e64 v20, s3, s21, v20, s3
	s_delay_alu instid0(VALU_DEP_4)
	v_max3_f32 v4, v4, v13, v14
	s_or_not1_b32 s3, vcc_lo, exec_lo
	s_branch .LBB65_18
.LBB65_25:
	s_or_b32 exec_lo, exec_lo, s29
.LBB65_26:
	s_delay_alu instid0(SALU_CYCLE_1)
	s_or_b32 exec_lo, exec_lo, s9
	s_lshr_b32 s9, s27, 5
	v_lshlrev_b32_e32 v29, 2, v0
	v_cvt_f32_u32_e32 v9, s9
	s_sub_i32 s17, 0, s9
	s_add_i32 s20, s16, s9
	s_delay_alu instid0(SALU_CYCLE_1) | instskip(NEXT) | instid1(VALU_DEP_1)
	s_add_i32 s20, s20, -1
	v_rcp_iflag_f32_e32 v9, v9
	s_abs_i32 s21, s20
	s_ashr_i32 s20, s20, 31
	ds_store_b32 v29, v4
	s_waitcnt lgkmcnt(0)
	s_barrier
	buffer_gl0_inv
	v_mul_f32_e32 v9, 0x4f7ffffe, v9
	s_delay_alu instid0(VALU_DEP_1) | instskip(NEXT) | instid1(VALU_DEP_1)
	v_cvt_u32_f32_e32 v9, v9
	v_readfirstlane_b32 s3, v9
	s_delay_alu instid0(VALU_DEP_1) | instskip(NEXT) | instid1(SALU_CYCLE_1)
	s_mul_i32 s17, s17, s3
	s_mul_hi_u32 s17, s3, s17
	s_delay_alu instid0(SALU_CYCLE_1) | instskip(SKIP_2) | instid1(SALU_CYCLE_1)
	s_add_i32 s3, s3, s17
	s_ashr_i32 s17, s16, 31
	s_mul_hi_u32 s3, s21, s3
	s_mul_i32 s22, s3, s9
	s_delay_alu instid0(SALU_CYCLE_1)
	s_sub_i32 s21, s21, s22
	s_add_i32 s22, s3, 1
	s_sub_i32 s23, s21, s9
	s_cmp_ge_u32 s21, s9
	s_cselect_b32 s3, s22, s3
	s_cselect_b32 s21, s23, s21
	s_add_i32 s22, s3, 1
	s_cmp_ge_u32 s21, s9
	s_cselect_b32 s3, s22, s3
	s_delay_alu instid0(SALU_CYCLE_1) | instskip(NEXT) | instid1(SALU_CYCLE_1)
	s_xor_b32 s3, s3, s20
	s_sub_i32 s20, s3, s20
	s_delay_alu instid0(SALU_CYCLE_1) | instskip(NEXT) | instid1(SALU_CYCLE_1)
	s_ashr_i32 s21, s20, 31
	v_cmp_lt_i64_e64 s3, s[20:21], 1
	s_delay_alu instid0(VALU_DEP_1)
	s_and_b32 vcc_lo, exec_lo, s3
	s_cbranch_vccnz .LBB65_46
; %bb.27:
	v_lshrrev_b32_e32 v9, 5, v0
	v_and_b32_e32 v4, 31, v0
	s_mov_b64 s[22:23], 0
	s_mov_b64 s[24:25], src_shared_base
	s_delay_alu instid0(VALU_DEP_2) | instskip(NEXT) | instid1(VALU_DEP_2)
	v_mul_lo_u32 v19, s18, v9
	v_add_co_u32 v11, s3, v4, 16
	s_delay_alu instid0(VALU_DEP_1) | instskip(SKIP_1) | instid1(VALU_DEP_1)
	v_add_co_ci_u32_e64 v12, null, 0, 0, s3
	v_add_co_u32 v13, s3, v4, 8
	v_add_co_ci_u32_e64 v14, null, 0, 0, s3
	v_add_co_u32 v15, s3, v4, 4
	v_dual_mov_b32 v10, 0 :: v_dual_lshlrev_b32 v21, 2, v19
	v_lshlrev_b32_e32 v22, 2, v4
	v_add_co_ci_u32_e64 v16, null, 0, 0, s3
	v_add_co_u32 v17, s3, v4, 2
	s_delay_alu instid0(VALU_DEP_1) | instskip(SKIP_1) | instid1(VALU_DEP_1)
	v_add_co_ci_u32_e64 v18, null, 0, 0, s3
	v_add_co_u32 v19, s3, v4, 1
	v_add_co_ci_u32_e64 v20, null, 0, 0, s3
	v_add3_u32 v30, v21, v22, 0x80
	s_mul_i32 s3, s18, s9
	s_delay_alu instid0(SALU_CYCLE_1)
	s_lshl_b32 s28, s3, 2
	s_branch .LBB65_30
.LBB65_28:                              ;   in Loop: Header=BB65_30 Depth=1
	s_or_b32 exec_lo, exec_lo, s3
	v_mov_b32_e32 v22, s25
	flat_load_b32 v21, v[21:22] glc dlc
	s_waitcnt vmcnt(0)
.LBB65_29:                              ;   in Loop: Header=BB65_30 Depth=1
	s_or_b32 exec_lo, exec_lo, s24
	s_add_u32 s22, s22, 1
	v_add_nc_u32_e32 v30, s28, v30
	s_addc_u32 s23, s23, 0
	s_delay_alu instid0(SALU_CYCLE_1)
	s_cmp_eq_u64 s[22:23], s[20:21]
	s_cbranch_scc1 .LBB65_46
.LBB65_30:                              ; =>This Loop Header: Depth=1
                                        ;     Child Loop BB65_33 Depth 2
	s_waitcnt lgkmcnt(0)
	v_mad_u64_u32 v[21:22], null, s22, s9, v[9:10]
	s_mov_b32 s24, exec_lo
	s_delay_alu instid0(VALU_DEP_1) | instskip(NEXT) | instid1(VALU_DEP_1)
	v_mad_u64_u32 v[23:24], null, s23, s9, v[22:23]
	v_mov_b32_e32 v22, v23
	s_delay_alu instid0(VALU_DEP_1)
	v_cmpx_gt_i64_e64 s[16:17], v[21:22]
	s_cbranch_execz .LBB65_29
; %bb.31:                               ;   in Loop: Header=BB65_30 Depth=1
	v_mul_lo_u32 v24, v22, s18
	v_mul_lo_u32 v25, v21, s19
	v_mad_u64_u32 v[22:23], null, v21, s18, 0
	s_delay_alu instid0(VALU_DEP_1) | instskip(NEXT) | instid1(VALU_DEP_2)
	v_add3_u32 v23, v23, v25, v24
	v_add_co_u32 v24, vcc_lo, v22, s18
	v_add_co_u32 v31, s3, v22, v4
	s_delay_alu instid0(VALU_DEP_3) | instskip(SKIP_2) | instid1(VALU_DEP_2)
	v_add_co_ci_u32_e32 v25, vcc_lo, s19, v23, vcc_lo
	v_add_co_ci_u32_e64 v21, s3, 0, v23, s3
	s_mov_b32 s3, exec_lo
	v_cmp_gt_i64_e32 vcc_lo, s[12:13], v[24:25]
	v_cndmask_b32_e32 v25, s13, v25, vcc_lo
	v_cndmask_b32_e32 v24, s12, v24, vcc_lo
	v_add_co_u32 v26, vcc_lo, v31, 32
	v_add_co_ci_u32_e32 v27, vcc_lo, 0, v21, vcc_lo
	v_lshlrev_b32_e32 v21, 2, v31
	s_delay_alu instid0(VALU_DEP_2)
	v_cmpx_lt_i64_e64 v[26:27], v[24:25]
	s_cbranch_execz .LBB65_34
; %bb.32:                               ;   in Loop: Header=BB65_30 Depth=1
	ds_load_b32 v33, v21
	v_mov_b32_e32 v32, v30
	s_mov_b32 s29, 0
.LBB65_33:                              ;   Parent Loop BB65_30 Depth=1
                                        ; =>  This Inner Loop Header: Depth=2
	ds_load_b32 v34, v32
	v_add_co_u32 v26, vcc_lo, v26, 32
	v_add_co_ci_u32_e32 v27, vcc_lo, 0, v27, vcc_lo
	s_waitcnt lgkmcnt(1)
	v_dual_max_f32 v33, v33, v33 :: v_dual_add_nc_u32 v32, 0x80, v32
	s_delay_alu instid0(VALU_DEP_2) | instskip(SKIP_3) | instid1(VALU_DEP_1)
	v_cmp_ge_i64_e32 vcc_lo, v[26:27], v[24:25]
	s_or_b32 s29, vcc_lo, s29
	s_waitcnt lgkmcnt(0)
	v_max_f32_e32 v34, v34, v34
	v_max_f32_e32 v33, v33, v34
	ds_store_b32 v21, v33
	s_and_not1_b32 exec_lo, exec_lo, s29
	s_cbranch_execnz .LBB65_33
.LBB65_34:                              ;   in Loop: Header=BB65_30 Depth=1
	s_or_b32 exec_lo, exec_lo, s3
	v_sub_co_u32 v22, vcc_lo, v24, v22
	v_sub_co_ci_u32_e32 v23, vcc_lo, v25, v23, vcc_lo
	s_mov_b32 s3, exec_lo
	s_delay_alu instid0(VALU_DEP_1) | instskip(SKIP_1) | instid1(VALU_DEP_1)
	v_cmp_gt_i64_e32 vcc_lo, 32, v[22:23]
	v_dual_cndmask_b32 v24, 0, v23 :: v_dual_cndmask_b32 v23, 32, v22
	v_cmpx_lt_i64_e64 v[11:12], v[23:24]
	s_cbranch_execz .LBB65_36
; %bb.35:                               ;   in Loop: Header=BB65_30 Depth=1
	v_dual_mov_b32 v22, s25 :: v_dual_add_nc_u32 v25, 64, v21
	v_mov_b32_e32 v26, s25
	flat_load_b32 v27, v[21:22] glc dlc
	s_waitcnt vmcnt(0)
	flat_load_b32 v25, v[25:26] glc dlc
	s_waitcnt vmcnt(0) lgkmcnt(0)
	v_dual_max_f32 v26, v27, v27 :: v_dual_max_f32 v25, v25, v25
	s_delay_alu instid0(VALU_DEP_1)
	v_max_f32_e32 v25, v26, v25
	flat_store_b32 v[21:22], v25 dlc
	s_waitcnt_vscnt null, 0x0
.LBB65_36:                              ;   in Loop: Header=BB65_30 Depth=1
	s_or_b32 exec_lo, exec_lo, s3
	s_delay_alu instid0(SALU_CYCLE_1)
	s_mov_b32 s3, exec_lo
	v_cmpx_lt_i64_e64 v[13:14], v[23:24]
	s_cbranch_execz .LBB65_38
; %bb.37:                               ;   in Loop: Header=BB65_30 Depth=1
	v_dual_mov_b32 v22, s25 :: v_dual_add_nc_u32 v25, 32, v21
	v_mov_b32_e32 v26, s25
	flat_load_b32 v27, v[21:22] glc dlc
	s_waitcnt vmcnt(0)
	flat_load_b32 v25, v[25:26] glc dlc
	s_waitcnt vmcnt(0) lgkmcnt(0)
	v_dual_max_f32 v26, v27, v27 :: v_dual_max_f32 v25, v25, v25
	s_delay_alu instid0(VALU_DEP_1)
	v_max_f32_e32 v25, v26, v25
	flat_store_b32 v[21:22], v25 dlc
	s_waitcnt_vscnt null, 0x0
.LBB65_38:                              ;   in Loop: Header=BB65_30 Depth=1
	s_or_b32 exec_lo, exec_lo, s3
	s_delay_alu instid0(SALU_CYCLE_1)
	s_mov_b32 s3, exec_lo
	v_cmpx_ge_i64_e64 v[15:16], v[23:24]
	s_xor_b32 s3, exec_lo, s3
; %bb.39:                               ;   in Loop: Header=BB65_30 Depth=1
                                        ; implicit-def: $vgpr21
; %bb.40:                               ;   in Loop: Header=BB65_30 Depth=1
	s_delay_alu instid0(SALU_CYCLE_1)
	s_and_not1_saveexec_b32 s3, s3
	s_cbranch_execz .LBB65_42
; %bb.41:                               ;   in Loop: Header=BB65_30 Depth=1
	v_dual_mov_b32 v22, s25 :: v_dual_add_nc_u32 v25, 16, v21
	v_mov_b32_e32 v26, s25
	flat_load_b32 v27, v[21:22] glc dlc
	s_waitcnt vmcnt(0)
	flat_load_b32 v25, v[25:26] glc dlc
	s_waitcnt vmcnt(0) lgkmcnt(0)
	v_dual_max_f32 v26, v27, v27 :: v_dual_max_f32 v25, v25, v25
	s_delay_alu instid0(VALU_DEP_1)
	v_max_f32_e32 v25, v26, v25
	flat_store_b32 v[21:22], v25 dlc
	s_waitcnt_vscnt null, 0x0
.LBB65_42:                              ;   in Loop: Header=BB65_30 Depth=1
	s_or_b32 exec_lo, exec_lo, s3
	v_lshlrev_b32_e32 v21, 2, v31
	s_mov_b32 s3, exec_lo
	v_cmpx_lt_i64_e64 v[17:18], v[23:24]
	s_cbranch_execz .LBB65_44
; %bb.43:                               ;   in Loop: Header=BB65_30 Depth=1
	s_delay_alu instid0(VALU_DEP_2)
	v_dual_mov_b32 v22, s25 :: v_dual_add_nc_u32 v25, 8, v21
	v_mov_b32_e32 v26, s25
	flat_load_b32 v27, v[21:22] glc dlc
	s_waitcnt vmcnt(0)
	flat_load_b32 v25, v[25:26] glc dlc
	s_waitcnt vmcnt(0) lgkmcnt(0)
	v_dual_max_f32 v26, v27, v27 :: v_dual_max_f32 v25, v25, v25
	s_delay_alu instid0(VALU_DEP_1)
	v_max_f32_e32 v25, v26, v25
	flat_store_b32 v[21:22], v25 dlc
	s_waitcnt_vscnt null, 0x0
.LBB65_44:                              ;   in Loop: Header=BB65_30 Depth=1
	s_or_b32 exec_lo, exec_lo, s3
	s_delay_alu instid0(SALU_CYCLE_1)
	s_mov_b32 s3, exec_lo
	v_cmpx_lt_i64_e64 v[19:20], v[23:24]
	s_cbranch_execz .LBB65_28
; %bb.45:                               ;   in Loop: Header=BB65_30 Depth=1
	v_dual_mov_b32 v22, s25 :: v_dual_add_nc_u32 v23, 4, v21
	v_mov_b32_e32 v24, s25
	flat_load_b32 v25, v[21:22] glc dlc
	s_waitcnt vmcnt(0)
	flat_load_b32 v23, v[23:24] glc dlc
	s_waitcnt vmcnt(0) lgkmcnt(0)
	v_dual_max_f32 v24, v25, v25 :: v_dual_max_f32 v23, v23, v23
	s_delay_alu instid0(VALU_DEP_1)
	v_max_f32_e32 v23, v24, v23
	flat_store_b32 v[21:22], v23 dlc
	s_waitcnt_vscnt null, 0x0
	s_branch .LBB65_28
.LBB65_46:
	v_cmp_lt_i64_e32 vcc_lo, v[7:8], v[5:6]
	v_cmp_eq_u32_e64 s3, 0, v3
	s_mul_i32 s9, s17, s15
	s_mul_hi_u32 s18, s16, s15
	s_mul_i32 s16, s16, s15
	s_waitcnt lgkmcnt(0)
	s_and_b32 s17, s3, vcc_lo
	s_barrier
	buffer_gl0_inv
	s_and_saveexec_b32 s3, s17
	s_cbranch_execz .LBB65_50
; %bb.47:
	s_load_b64 s[0:1], s[0:1], 0x20
	ds_load_b32 v3, v29
	s_waitcnt lgkmcnt(0)
	s_cmp_eq_u64 s[0:1], 0
	s_cbranch_scc1 .LBB65_49
; %bb.48:
	s_load_b32 s0, s[0:1], 0x0
	v_max_f32_e32 v3, v3, v3
	s_waitcnt lgkmcnt(0)
	v_max_f32_e64 v4, s0, s0
	s_delay_alu instid0(VALU_DEP_1)
	v_min_f32_e32 v3, v3, v4
.LBB65_49:
	s_delay_alu instid0(VALU_DEP_1) | instskip(SKIP_2) | instid1(VALU_DEP_2)
	v_div_scale_f32 v4, null, 0x42fe0000, 0x42fe0000, v3
	v_div_scale_f32 v7, vcc_lo, v3, 0x42fe0000, v3
	s_add_i32 s17, s18, s9
	v_rcp_f32_e32 v5, v4
	v_lshlrev_b64 v[1:2], 2, v[1:2]
	s_lshl_b64 s[0:1], s[16:17], 2
	s_delay_alu instid0(SALU_CYCLE_1) | instskip(SKIP_3) | instid1(VALU_DEP_1)
	s_add_u32 s0, s6, s0
	s_addc_u32 s1, s7, s1
	s_waitcnt_depctr 0xfff
	v_fma_f32 v6, -v4, v5, 1.0
	v_fmac_f32_e32 v5, v6, v5
	s_delay_alu instid0(VALU_DEP_1) | instskip(NEXT) | instid1(VALU_DEP_1)
	v_mul_f32_e32 v6, v7, v5
	v_fma_f32 v8, -v4, v6, v7
	s_delay_alu instid0(VALU_DEP_1) | instskip(NEXT) | instid1(VALU_DEP_1)
	v_fmac_f32_e32 v6, v8, v5
	v_fma_f32 v4, -v4, v6, v7
	s_delay_alu instid0(VALU_DEP_1) | instskip(SKIP_2) | instid1(VALU_DEP_3)
	v_div_fmas_f32 v4, v4, v5, v6
	v_add_co_u32 v1, vcc_lo, s0, v1
	v_add_co_ci_u32_e32 v2, vcc_lo, s1, v2, vcc_lo
	v_div_fixup_f32 v3, v4, 0x42fe0000, v3
	s_delay_alu instid0(VALU_DEP_1)
	v_max_f32_e32 v3, 0x34000000, v3
	global_store_b32 v[1:2], v3, off
.LBB65_50:
	s_or_b32 exec_lo, exec_lo, s3
	s_waitcnt_vscnt null, 0x0
	s_barrier
	buffer_gl0_inv
	s_and_saveexec_b32 s0, s2
	s_cbranch_execz .LBB65_59
; %bb.51:
	s_mul_i32 s0, s13, s15
	s_mul_hi_u32 s1, s12, s15
	s_mul_i32 s2, s12, s15
	s_add_i32 s1, s1, s0
	s_add_u32 s2, s4, s2
	s_addc_u32 s3, s5, s1
	s_add_i32 s17, s18, s9
	v_mov_b32_e32 v1, 0
	s_lshl_b64 s[0:1], s[16:17], 2
	s_mul_i32 s4, s27, 3
	s_add_u32 s0, s6, s0
	s_addc_u32 s1, s7, s1
	s_lshl_b32 s5, s27, 1
	s_mov_b32 s6, 0
	s_add_i32 s7, s27, s27
                                        ; implicit-def: $sgpr9
	s_branch .LBB65_55
.LBB65_52:                              ;   in Loop: Header=BB65_55 Depth=1
	s_or_b32 exec_lo, exec_lo, s15
	s_delay_alu instid0(SALU_CYCLE_1)
	s_or_not1_b32 s15, s16, exec_lo
.LBB65_53:                              ;   in Loop: Header=BB65_55 Depth=1
	s_or_b32 exec_lo, exec_lo, s13
	s_delay_alu instid0(SALU_CYCLE_1) | instskip(SKIP_1) | instid1(SALU_CYCLE_1)
	s_and_not1_b32 s9, s9, exec_lo
	s_and_b32 s13, s15, exec_lo
	s_or_b32 s9, s9, s13
.LBB65_54:                              ;   in Loop: Header=BB65_55 Depth=1
	s_or_b32 exec_lo, exec_lo, s12
	s_delay_alu instid0(SALU_CYCLE_1) | instskip(NEXT) | instid1(SALU_CYCLE_1)
	s_and_b32 s12, exec_lo, s9
	s_or_b32 s6, s12, s6
	s_delay_alu instid0(SALU_CYCLE_1)
	s_and_not1_b32 exec_lo, exec_lo, s6
	s_cbranch_execz .LBB65_59
.LBB65_55:                              ; =>This Inner Loop Header: Depth=1
	v_lshrrev_b32_e32 v2, 2, v0
	s_or_b32 s9, s9, exec_lo
	s_mov_b32 s12, exec_lo
	s_delay_alu instid0(VALU_DEP_1) | instskip(SKIP_2) | instid1(VALU_DEP_1)
	v_and_b32_e32 v2, 0xffffffc, v2
	global_load_b32 v6, v2, s[0:1]
	v_lshlrev_b64 v[2:3], 3, v[0:1]
	v_add_co_u32 v4, vcc_lo, s10, v2
	s_delay_alu instid0(VALU_DEP_2)
	v_add_co_ci_u32_e32 v5, vcc_lo, s11, v3, vcc_lo
	v_add_co_u32 v2, vcc_lo, s14, v2
	v_add_co_ci_u32_e32 v3, vcc_lo, s26, v3, vcc_lo
	global_load_b64 v[4:5], v[4:5], off
	global_load_b64 v[2:3], v[2:3], off
	s_waitcnt vmcnt(2)
	v_div_scale_f32 v7, null, v6, v6, 1.0
	v_div_scale_f32 v10, vcc_lo, 1.0, v6, 1.0
	s_delay_alu instid0(VALU_DEP_2)
	v_rcp_f32_e32 v8, v7
	s_waitcnt_depctr 0xfff
	v_fma_f32 v9, -v7, v8, 1.0
	s_waitcnt vmcnt(1)
	v_lshrrev_b32_e32 v12, 16, v4
	s_waitcnt vmcnt(0)
	v_fma_mixlo_f16 v14, v28, v2, 0 op_sel_hi:[0,1,0]
	v_fma_mixlo_f16 v2, v28, v2, 0 op_sel:[0,1,0] op_sel_hi:[0,1,0]
	v_fma_mixlo_f16 v13, v28, v3, 0 op_sel_hi:[0,1,0]
	v_fmac_f32_e32 v8, v9, v8
	v_fma_mixlo_f16 v3, v28, v3, 0 op_sel:[0,1,0] op_sel_hi:[0,1,0]
	v_mul_f16_e32 v4, v4, v14
	v_mul_f16_e32 v2, v12, v2
	s_delay_alu instid0(VALU_DEP_4) | instskip(NEXT) | instid1(VALU_DEP_3)
	v_mul_f32_e32 v9, v10, v8
	v_cvt_f32_f16_e32 v4, v4
	s_delay_alu instid0(VALU_DEP_3) | instskip(NEXT) | instid1(VALU_DEP_3)
	v_cvt_f32_f16_e32 v2, v2
	v_fma_f32 v11, -v7, v9, v10
	s_delay_alu instid0(VALU_DEP_1) | instskip(SKIP_2) | instid1(VALU_DEP_3)
	v_fmac_f32_e32 v9, v11, v8
	v_lshrrev_b32_e32 v11, 16, v5
	v_mul_f16_e32 v5, v5, v13
	v_fma_f32 v7, -v7, v9, v10
	s_delay_alu instid0(VALU_DEP_3) | instskip(NEXT) | instid1(VALU_DEP_3)
	v_mul_f16_e32 v3, v11, v3
	v_cvt_f32_f16_e32 v5, v5
	s_delay_alu instid0(VALU_DEP_3) | instskip(NEXT) | instid1(VALU_DEP_3)
	v_div_fmas_f32 v7, v7, v8, v9
	v_cvt_f32_f16_e32 v3, v3
	s_delay_alu instid0(VALU_DEP_2) | instskip(NEXT) | instid1(VALU_DEP_1)
	v_div_fixup_f32 v6, v7, v6, 1.0
	v_mul_f32_e32 v2, v6, v2
	v_mul_f32_e32 v5, v6, v5
	;; [unrolled: 1-line block ×3, first 2 shown]
	s_delay_alu instid0(VALU_DEP_3) | instskip(NEXT) | instid1(VALU_DEP_3)
	v_rndne_f32_e32 v2, v2
	v_rndne_f32_e32 v5, v5
	s_delay_alu instid0(VALU_DEP_3) | instskip(NEXT) | instid1(VALU_DEP_2)
	v_rndne_f32_e32 v4, v4
	v_cmp_nlt_f32_e32 vcc_lo, 0x42fe0000, v5
	v_dual_mul_f32 v3, v6, v3 :: v_dual_cndmask_b32 v6, 0x42fe0000, v5
	s_delay_alu instid0(VALU_DEP_3) | instskip(NEXT) | instid1(VALU_DEP_2)
	v_cmp_nlt_f32_e32 vcc_lo, 0x42fe0000, v4
	v_rndne_f32_e32 v3, v3
	v_cndmask_b32_e32 v7, 0x42fe0000, v4, vcc_lo
	v_cmp_nlt_f32_e32 vcc_lo, 0x42fe0000, v2
	v_cndmask_b32_e32 v8, 0x42fe0000, v2, vcc_lo
	v_cmp_ngt_f32_e32 vcc_lo, 0xc3000000, v5
	v_cndmask_b32_e32 v5, 0xc3000000, v6, vcc_lo
	v_cmp_nlt_f32_e32 vcc_lo, 0x42fe0000, v3
	s_delay_alu instid0(VALU_DEP_2) | instskip(SKIP_2) | instid1(VALU_DEP_3)
	v_cvt_i32_f32_e32 v5, v5
	v_cndmask_b32_e32 v6, 0x42fe0000, v3, vcc_lo
	v_cmp_ngt_f32_e32 vcc_lo, 0xc3000000, v2
	v_and_b32_e32 v5, 0xff, v5
	s_delay_alu instid0(VALU_DEP_1) | instskip(SKIP_1) | instid1(VALU_DEP_2)
	v_dual_cndmask_b32 v2, 0xc3000000, v8 :: v_dual_lshlrev_b32 v5, 16, v5
	v_cmp_ngt_f32_e32 vcc_lo, 0xc3000000, v4
	v_cvt_i32_f32_e32 v2, v2
	s_delay_alu instid0(VALU_DEP_1) | instskip(NEXT) | instid1(VALU_DEP_1)
	v_and_b32_e32 v2, 0xff, v2
	v_lshlrev_b32_e32 v8, 8, v2
	v_cndmask_b32_e32 v4, 0xc3000000, v7, vcc_lo
	v_cmp_ngt_f32_e32 vcc_lo, 0xc3000000, v3
	v_add_nc_u32_e32 v2, s27, v0
	v_cndmask_b32_e32 v3, 0xc3000000, v6, vcc_lo
	s_delay_alu instid0(VALU_DEP_4) | instskip(NEXT) | instid1(VALU_DEP_2)
	v_cvt_i32_f32_e32 v6, v4
	v_cvt_i32_f32_e32 v7, v3
	v_lshlrev_b64 v[3:4], 2, v[0:1]
	s_delay_alu instid0(VALU_DEP_3) | instskip(NEXT) | instid1(VALU_DEP_3)
	v_and_b32_e32 v6, 0xff, v6
	v_lshl_or_b32 v5, v7, 24, v5
	s_delay_alu instid0(VALU_DEP_3) | instskip(NEXT) | instid1(VALU_DEP_4)
	v_add_co_u32 v3, vcc_lo, s2, v3
	v_add_co_ci_u32_e32 v4, vcc_lo, s3, v4, vcc_lo
	s_delay_alu instid0(VALU_DEP_3)
	v_or3_b32 v5, v5, v8, v6
	global_store_b32 v[3:4], v5, off
	v_cmpx_gt_u32_e64 s8, v2
	s_cbranch_execz .LBB65_54
; %bb.56:                               ;   in Loop: Header=BB65_55 Depth=1
	v_lshrrev_b32_e32 v3, 2, v2
	s_mov_b32 s15, -1
	s_mov_b32 s13, exec_lo
	s_delay_alu instid0(VALU_DEP_1) | instskip(SKIP_2) | instid1(VALU_DEP_1)
	v_and_b32_e32 v3, 0xffffffc, v3
	global_load_b32 v8, v3, s[0:1]
	v_mov_b32_e32 v3, v1
	v_lshlrev_b64 v[4:5], 3, v[2:3]
	s_delay_alu instid0(VALU_DEP_1) | instskip(NEXT) | instid1(VALU_DEP_2)
	v_add_co_u32 v6, vcc_lo, s10, v4
	v_add_co_ci_u32_e32 v7, vcc_lo, s11, v5, vcc_lo
	v_add_co_u32 v4, vcc_lo, s14, v4
	v_add_co_ci_u32_e32 v5, vcc_lo, s26, v5, vcc_lo
	global_load_b64 v[6:7], v[6:7], off
	global_load_b64 v[4:5], v[4:5], off
	s_waitcnt vmcnt(2)
	v_div_scale_f32 v9, null, v8, v8, 1.0
	v_div_scale_f32 v12, vcc_lo, 1.0, v8, 1.0
	s_delay_alu instid0(VALU_DEP_2) | instskip(SKIP_2) | instid1(VALU_DEP_1)
	v_rcp_f32_e32 v10, v9
	s_waitcnt_depctr 0xfff
	v_fma_f32 v11, -v9, v10, 1.0
	v_fmac_f32_e32 v10, v11, v10
	s_waitcnt vmcnt(1)
	v_lshrrev_b32_e32 v14, 16, v6
	s_waitcnt vmcnt(0)
	v_fma_mixlo_f16 v16, v28, v4, 0 op_sel_hi:[0,1,0]
	v_fma_mixlo_f16 v4, v28, v4, 0 op_sel:[0,1,0] op_sel_hi:[0,1,0]
	v_fma_mixlo_f16 v15, v28, v5, 0 op_sel_hi:[0,1,0]
	v_mul_f32_e32 v11, v12, v10
	v_fma_mixlo_f16 v5, v28, v5, 0 op_sel:[0,1,0] op_sel_hi:[0,1,0]
	v_mul_f16_e32 v6, v6, v16
	v_mul_f16_e32 v4, v14, v4
	s_delay_alu instid0(VALU_DEP_4) | instskip(NEXT) | instid1(VALU_DEP_3)
	v_fma_f32 v13, -v9, v11, v12
	v_cvt_f32_f16_e32 v6, v6
	s_delay_alu instid0(VALU_DEP_3) | instskip(NEXT) | instid1(VALU_DEP_3)
	v_cvt_f32_f16_e32 v4, v4
	v_fmac_f32_e32 v11, v13, v10
	v_lshrrev_b32_e32 v13, 16, v7
	v_mul_f16_e32 v7, v7, v15
	s_delay_alu instid0(VALU_DEP_3) | instskip(NEXT) | instid1(VALU_DEP_3)
	v_fma_f32 v9, -v9, v11, v12
	v_mul_f16_e32 v5, v13, v5
	s_delay_alu instid0(VALU_DEP_3) | instskip(NEXT) | instid1(VALU_DEP_3)
	v_cvt_f32_f16_e32 v7, v7
	v_div_fmas_f32 v9, v9, v10, v11
	s_delay_alu instid0(VALU_DEP_3) | instskip(NEXT) | instid1(VALU_DEP_2)
	v_cvt_f32_f16_e32 v5, v5
	v_div_fixup_f32 v8, v9, v8, 1.0
	s_delay_alu instid0(VALU_DEP_1) | instskip(SKIP_1) | instid1(VALU_DEP_4)
	v_mul_f32_e32 v4, v8, v4
	v_mul_f32_e32 v6, v8, v6
	v_mul_f32_e32 v5, v8, v5
	s_delay_alu instid0(VALU_DEP_3) | instskip(SKIP_1) | instid1(VALU_DEP_4)
	v_rndne_f32_e32 v4, v4
	v_mul_f32_e32 v7, v8, v7
	v_rndne_f32_e32 v6, v6
	s_delay_alu instid0(VALU_DEP_4) | instskip(NEXT) | instid1(VALU_DEP_3)
	v_rndne_f32_e32 v5, v5
	v_rndne_f32_e32 v7, v7
	s_delay_alu instid0(VALU_DEP_1)
	v_cmp_nlt_f32_e32 vcc_lo, 0x42fe0000, v7
	v_cndmask_b32_e32 v8, 0x42fe0000, v7, vcc_lo
	v_cmp_nlt_f32_e32 vcc_lo, 0x42fe0000, v6
	v_cndmask_b32_e32 v9, 0x42fe0000, v6, vcc_lo
	;; [unrolled: 2-line block ×3, first 2 shown]
	v_cmp_ngt_f32_e32 vcc_lo, 0xc3000000, v7
	v_cndmask_b32_e32 v7, 0xc3000000, v8, vcc_lo
	v_cmp_nlt_f32_e32 vcc_lo, 0x42fe0000, v5
	s_delay_alu instid0(VALU_DEP_2) | instskip(NEXT) | instid1(VALU_DEP_1)
	v_cvt_i32_f32_e32 v7, v7
	v_and_b32_e32 v7, 0xff, v7
	v_cndmask_b32_e32 v8, 0x42fe0000, v5, vcc_lo
	v_cmp_ngt_f32_e32 vcc_lo, 0xc3000000, v4
	s_delay_alu instid0(VALU_DEP_3) | instskip(SKIP_1) | instid1(VALU_DEP_2)
	v_dual_cndmask_b32 v4, 0xc3000000, v10 :: v_dual_lshlrev_b32 v7, 16, v7
	v_cmp_ngt_f32_e32 vcc_lo, 0xc3000000, v6
	v_cvt_i32_f32_e32 v4, v4
	v_cndmask_b32_e32 v6, 0xc3000000, v9, vcc_lo
	v_cmp_ngt_f32_e32 vcc_lo, 0xc3000000, v5
	s_delay_alu instid0(VALU_DEP_3) | instskip(NEXT) | instid1(VALU_DEP_3)
	v_and_b32_e32 v9, 0xff, v4
	v_cvt_i32_f32_e32 v6, v6
	v_cndmask_b32_e32 v5, 0xc3000000, v8, vcc_lo
	s_delay_alu instid0(VALU_DEP_3) | instskip(NEXT) | instid1(VALU_DEP_3)
	v_lshlrev_b32_e32 v9, 8, v9
	v_and_b32_e32 v6, 0xff, v6
	s_delay_alu instid0(VALU_DEP_3) | instskip(SKIP_2) | instid1(VALU_DEP_3)
	v_cvt_i32_f32_e32 v8, v5
	v_lshlrev_b64 v[4:5], 2, v[2:3]
	v_add_nc_u32_e32 v3, s5, v0
	v_lshl_or_b32 v7, v8, 24, v7
	s_delay_alu instid0(VALU_DEP_3) | instskip(NEXT) | instid1(VALU_DEP_4)
	v_add_co_u32 v4, vcc_lo, s2, v4
	v_add_co_ci_u32_e32 v5, vcc_lo, s3, v5, vcc_lo
	s_delay_alu instid0(VALU_DEP_3)
	v_or3_b32 v6, v7, v9, v6
	global_store_b32 v[4:5], v6, off
	v_cmpx_gt_u32_e64 s8, v3
	s_cbranch_execz .LBB65_53
; %bb.57:                               ;   in Loop: Header=BB65_55 Depth=1
	v_lshrrev_b32_e32 v4, 2, v3
	v_add_nc_u32_e32 v0, s4, v0
	s_mov_b32 s16, -1
	s_mov_b32 s15, exec_lo
	s_delay_alu instid0(VALU_DEP_2) | instskip(SKIP_2) | instid1(VALU_DEP_1)
	v_and_b32_e32 v4, 0xffffffc, v4
	global_load_b32 v9, v4, s[0:1]
	v_mov_b32_e32 v4, v1
	v_lshlrev_b64 v[5:6], 3, v[3:4]
	s_delay_alu instid0(VALU_DEP_1) | instskip(NEXT) | instid1(VALU_DEP_2)
	v_add_co_u32 v7, vcc_lo, s10, v5
	v_add_co_ci_u32_e32 v8, vcc_lo, s11, v6, vcc_lo
	v_add_co_u32 v5, vcc_lo, s14, v5
	v_add_co_ci_u32_e32 v6, vcc_lo, s26, v6, vcc_lo
	global_load_b64 v[7:8], v[7:8], off
	global_load_b64 v[5:6], v[5:6], off
	s_waitcnt vmcnt(2)
	v_div_scale_f32 v10, null, v9, v9, 1.0
	v_div_scale_f32 v13, vcc_lo, 1.0, v9, 1.0
	s_delay_alu instid0(VALU_DEP_2) | instskip(SKIP_2) | instid1(VALU_DEP_1)
	v_rcp_f32_e32 v11, v10
	s_waitcnt_depctr 0xfff
	v_fma_f32 v12, -v10, v11, 1.0
	v_fmac_f32_e32 v11, v12, v11
	s_waitcnt vmcnt(1)
	v_lshrrev_b32_e32 v15, 16, v7
	s_waitcnt vmcnt(0)
	v_fma_mixlo_f16 v17, v28, v5, 0 op_sel_hi:[0,1,0]
	v_fma_mixlo_f16 v5, v28, v5, 0 op_sel:[0,1,0] op_sel_hi:[0,1,0]
	v_fma_mixlo_f16 v16, v28, v6, 0 op_sel_hi:[0,1,0]
	v_mul_f32_e32 v12, v13, v11
	v_fma_mixlo_f16 v6, v28, v6, 0 op_sel:[0,1,0] op_sel_hi:[0,1,0]
	v_mul_f16_e32 v7, v7, v17
	v_mul_f16_e32 v5, v15, v5
	s_delay_alu instid0(VALU_DEP_4) | instskip(NEXT) | instid1(VALU_DEP_3)
	v_fma_f32 v14, -v10, v12, v13
	v_cvt_f32_f16_e32 v7, v7
	s_delay_alu instid0(VALU_DEP_3) | instskip(NEXT) | instid1(VALU_DEP_3)
	v_cvt_f32_f16_e32 v5, v5
	v_fmac_f32_e32 v12, v14, v11
	v_lshrrev_b32_e32 v14, 16, v8
	v_mul_f16_e32 v8, v8, v16
	s_delay_alu instid0(VALU_DEP_3) | instskip(NEXT) | instid1(VALU_DEP_3)
	v_fma_f32 v10, -v10, v12, v13
	v_mul_f16_e32 v6, v14, v6
	s_delay_alu instid0(VALU_DEP_3) | instskip(NEXT) | instid1(VALU_DEP_3)
	v_cvt_f32_f16_e32 v8, v8
	v_div_fmas_f32 v10, v10, v11, v12
	s_delay_alu instid0(VALU_DEP_3) | instskip(NEXT) | instid1(VALU_DEP_2)
	v_cvt_f32_f16_e32 v6, v6
	v_div_fixup_f32 v9, v10, v9, 1.0
	s_delay_alu instid0(VALU_DEP_1) | instskip(NEXT) | instid1(VALU_DEP_3)
	v_mul_f32_e32 v5, v9, v5
	v_mul_f32_e32 v6, v9, v6
	;; [unrolled: 1-line block ×3, first 2 shown]
	s_delay_alu instid0(VALU_DEP_3) | instskip(NEXT) | instid1(VALU_DEP_3)
	v_rndne_f32_e32 v5, v5
	v_rndne_f32_e32 v6, v6
	v_mul_f32_e32 v8, v9, v8
	s_delay_alu instid0(VALU_DEP_4) | instskip(NEXT) | instid1(VALU_DEP_2)
	v_rndne_f32_e32 v7, v7
	v_rndne_f32_e32 v8, v8
	s_delay_alu instid0(VALU_DEP_1) | instskip(SKIP_1) | instid1(VALU_DEP_4)
	v_cmp_nlt_f32_e32 vcc_lo, 0x42fe0000, v8
	v_cndmask_b32_e32 v9, 0x42fe0000, v8, vcc_lo
	v_cmp_nlt_f32_e32 vcc_lo, 0x42fe0000, v7
	v_lshlrev_b64 v[3:4], 2, v[3:4]
	v_cndmask_b32_e32 v10, 0x42fe0000, v7, vcc_lo
	v_cmp_nlt_f32_e32 vcc_lo, 0x42fe0000, v5
	v_cndmask_b32_e32 v11, 0x42fe0000, v5, vcc_lo
	v_cmp_ngt_f32_e32 vcc_lo, 0xc3000000, v8
	v_cndmask_b32_e32 v8, 0xc3000000, v9, vcc_lo
	v_cmp_nlt_f32_e32 vcc_lo, 0x42fe0000, v6
	s_delay_alu instid0(VALU_DEP_2) | instskip(SKIP_2) | instid1(VALU_DEP_3)
	v_cvt_i32_f32_e32 v8, v8
	v_cndmask_b32_e32 v9, 0x42fe0000, v6, vcc_lo
	v_cmp_ngt_f32_e32 vcc_lo, 0xc3000000, v5
	v_and_b32_e32 v8, 0xff, v8
	v_cndmask_b32_e32 v5, 0xc3000000, v11, vcc_lo
	v_cmp_ngt_f32_e32 vcc_lo, 0xc3000000, v7
	s_delay_alu instid0(VALU_DEP_3) | instskip(NEXT) | instid1(VALU_DEP_3)
	v_lshlrev_b32_e32 v8, 16, v8
	v_cvt_i32_f32_e32 v5, v5
	s_delay_alu instid0(VALU_DEP_1) | instskip(NEXT) | instid1(VALU_DEP_1)
	v_and_b32_e32 v5, 0xff, v5
	v_lshlrev_b32_e32 v5, 8, v5
	v_cndmask_b32_e32 v7, 0xc3000000, v10, vcc_lo
	v_cmp_ngt_f32_e32 vcc_lo, 0xc3000000, v6
	s_delay_alu instid0(VALU_DEP_2) | instskip(SKIP_3) | instid1(VALU_DEP_3)
	v_cvt_i32_f32_e32 v7, v7
	v_cndmask_b32_e32 v6, 0xc3000000, v9, vcc_lo
	v_add_co_u32 v3, vcc_lo, s2, v3
	v_add_co_ci_u32_e32 v4, vcc_lo, s3, v4, vcc_lo
	v_cvt_i32_f32_e32 v6, v6
	v_and_b32_e32 v7, 0xff, v7
	s_delay_alu instid0(VALU_DEP_2) | instskip(NEXT) | instid1(VALU_DEP_1)
	v_lshl_or_b32 v6, v6, 24, v8
	v_or3_b32 v5, v6, v5, v7
	global_store_b32 v[3:4], v5, off
	v_cmpx_gt_u32_e64 s8, v0
	s_cbranch_execz .LBB65_52
; %bb.58:                               ;   in Loop: Header=BB65_55 Depth=1
	v_lshrrev_b32_e32 v3, 2, v0
	s_delay_alu instid0(VALU_DEP_1) | instskip(SKIP_2) | instid1(VALU_DEP_1)
	v_and_b32_e32 v3, 0xffffffc, v3
	global_load_b32 v7, v3, s[0:1]
	v_lshlrev_b64 v[3:4], 3, v[0:1]
	v_add_co_u32 v5, vcc_lo, s10, v3
	s_delay_alu instid0(VALU_DEP_2)
	v_add_co_ci_u32_e32 v6, vcc_lo, s11, v4, vcc_lo
	v_add_co_u32 v3, vcc_lo, s14, v3
	v_add_co_ci_u32_e32 v4, vcc_lo, s26, v4, vcc_lo
	global_load_b64 v[5:6], v[5:6], off
	global_load_b64 v[3:4], v[3:4], off
	s_waitcnt vmcnt(2)
	v_div_scale_f32 v8, null, v7, v7, 1.0
	v_div_scale_f32 v11, vcc_lo, 1.0, v7, 1.0
	s_delay_alu instid0(VALU_DEP_2)
	v_rcp_f32_e32 v9, v8
	s_waitcnt_depctr 0xfff
	v_fma_f32 v10, -v8, v9, 1.0
	s_waitcnt vmcnt(1)
	v_lshrrev_b32_e32 v13, 16, v5
	s_waitcnt vmcnt(0)
	v_fma_mixlo_f16 v15, v28, v3, 0 op_sel_hi:[0,1,0]
	v_fma_mixlo_f16 v3, v28, v3, 0 op_sel:[0,1,0] op_sel_hi:[0,1,0]
	v_fma_mixlo_f16 v14, v28, v4, 0 op_sel_hi:[0,1,0]
	v_fmac_f32_e32 v9, v10, v9
	v_fma_mixlo_f16 v4, v28, v4, 0 op_sel:[0,1,0] op_sel_hi:[0,1,0]
	v_mul_f16_e32 v5, v5, v15
	v_mul_f16_e32 v3, v13, v3
	s_delay_alu instid0(VALU_DEP_4) | instskip(NEXT) | instid1(VALU_DEP_3)
	v_mul_f32_e32 v10, v11, v9
	v_cvt_f32_f16_e32 v5, v5
	s_delay_alu instid0(VALU_DEP_3) | instskip(NEXT) | instid1(VALU_DEP_3)
	v_cvt_f32_f16_e32 v3, v3
	v_fma_f32 v12, -v8, v10, v11
	s_delay_alu instid0(VALU_DEP_1) | instskip(SKIP_2) | instid1(VALU_DEP_3)
	v_fmac_f32_e32 v10, v12, v9
	v_lshrrev_b32_e32 v12, 16, v6
	v_mul_f16_e32 v6, v6, v14
	v_fma_f32 v8, -v8, v10, v11
	s_delay_alu instid0(VALU_DEP_3) | instskip(NEXT) | instid1(VALU_DEP_3)
	v_mul_f16_e32 v4, v12, v4
	v_cvt_f32_f16_e32 v6, v6
	s_delay_alu instid0(VALU_DEP_3) | instskip(NEXT) | instid1(VALU_DEP_3)
	v_div_fmas_f32 v8, v8, v9, v10
	v_cvt_f32_f16_e32 v4, v4
	s_delay_alu instid0(VALU_DEP_2) | instskip(NEXT) | instid1(VALU_DEP_1)
	v_div_fixup_f32 v7, v8, v7, 1.0
	v_mul_f32_e32 v3, v7, v3
	v_mul_f32_e32 v6, v7, v6
	;; [unrolled: 1-line block ×3, first 2 shown]
	s_delay_alu instid0(VALU_DEP_3) | instskip(NEXT) | instid1(VALU_DEP_3)
	v_rndne_f32_e32 v3, v3
	v_rndne_f32_e32 v6, v6
	s_delay_alu instid0(VALU_DEP_3) | instskip(NEXT) | instid1(VALU_DEP_2)
	v_rndne_f32_e32 v5, v5
	v_cmp_nlt_f32_e32 vcc_lo, 0x42fe0000, v6
	v_dual_mul_f32 v4, v7, v4 :: v_dual_cndmask_b32 v7, 0x42fe0000, v6
	s_delay_alu instid0(VALU_DEP_3) | instskip(NEXT) | instid1(VALU_DEP_2)
	v_cmp_nlt_f32_e32 vcc_lo, 0x42fe0000, v5
	v_rndne_f32_e32 v4, v4
	v_cndmask_b32_e32 v8, 0x42fe0000, v5, vcc_lo
	v_cmp_nlt_f32_e32 vcc_lo, 0x42fe0000, v3
	v_cndmask_b32_e32 v9, 0x42fe0000, v3, vcc_lo
	v_cmp_ngt_f32_e32 vcc_lo, 0xc3000000, v6
	v_cndmask_b32_e32 v6, 0xc3000000, v7, vcc_lo
	v_cmp_nlt_f32_e32 vcc_lo, 0x42fe0000, v4
	s_delay_alu instid0(VALU_DEP_2) | instskip(SKIP_2) | instid1(VALU_DEP_3)
	v_cvt_i32_f32_e32 v6, v6
	v_cndmask_b32_e32 v7, 0x42fe0000, v4, vcc_lo
	v_cmp_ngt_f32_e32 vcc_lo, 0xc3000000, v3
	v_and_b32_e32 v6, 0xff, v6
	s_delay_alu instid0(VALU_DEP_1) | instskip(SKIP_1) | instid1(VALU_DEP_2)
	v_dual_cndmask_b32 v3, 0xc3000000, v9 :: v_dual_lshlrev_b32 v6, 16, v6
	v_cmp_ngt_f32_e32 vcc_lo, 0xc3000000, v5
	v_cvt_i32_f32_e32 v3, v3
	v_cndmask_b32_e32 v5, 0xc3000000, v8, vcc_lo
	v_cmp_ngt_f32_e32 vcc_lo, 0xc3000000, v4
	s_delay_alu instid0(VALU_DEP_3) | instskip(NEXT) | instid1(VALU_DEP_3)
	v_and_b32_e32 v8, 0xff, v3
	v_cvt_i32_f32_e32 v5, v5
	v_cndmask_b32_e32 v4, 0xc3000000, v7, vcc_lo
	s_delay_alu instid0(VALU_DEP_3) | instskip(NEXT) | instid1(VALU_DEP_3)
	v_lshlrev_b32_e32 v8, 8, v8
	v_and_b32_e32 v5, 0xff, v5
	s_delay_alu instid0(VALU_DEP_3) | instskip(SKIP_2) | instid1(VALU_DEP_3)
	v_cvt_i32_f32_e32 v7, v4
	v_lshlrev_b64 v[3:4], 2, v[0:1]
	v_add3_u32 v0, s7, s27, v2
	v_lshl_or_b32 v6, v7, 24, v6
	s_delay_alu instid0(VALU_DEP_3) | instskip(NEXT) | instid1(VALU_DEP_4)
	v_add_co_u32 v2, vcc_lo, s2, v3
	v_add_co_ci_u32_e32 v3, vcc_lo, s3, v4, vcc_lo
	s_delay_alu instid0(VALU_DEP_4) | instskip(NEXT) | instid1(VALU_DEP_4)
	v_cmp_le_u32_e32 vcc_lo, s8, v0
	v_or3_b32 v4, v6, v8, v5
	s_or_not1_b32 s16, vcc_lo, exec_lo
	global_store_b32 v[2:3], v4, off
	s_branch .LBB65_52
.LBB65_59:
	s_nop 0
	s_sendmsg sendmsg(MSG_DEALLOC_VGPRS)
	s_endpgm
	.section	.rodata,"a",@progbits
	.p2align	6, 0x0
	.amdhsa_kernel _ZN4vllm31rms_norm_per_block_quant_kernelIN3c104HalfEaLb0ELb0ELi64EEEvPT0_PfPKT_S8_PKffiiPS6_l
		.amdhsa_group_segment_fixed_size 4228
		.amdhsa_private_segment_fixed_size 0
		.amdhsa_kernarg_size 328
		.amdhsa_user_sgpr_count 15
		.amdhsa_user_sgpr_dispatch_ptr 0
		.amdhsa_user_sgpr_queue_ptr 0
		.amdhsa_user_sgpr_kernarg_segment_ptr 1
		.amdhsa_user_sgpr_dispatch_id 0
		.amdhsa_user_sgpr_private_segment_size 0
		.amdhsa_wavefront_size32 1
		.amdhsa_uses_dynamic_stack 0
		.amdhsa_enable_private_segment 0
		.amdhsa_system_sgpr_workgroup_id_x 1
		.amdhsa_system_sgpr_workgroup_id_y 0
		.amdhsa_system_sgpr_workgroup_id_z 0
		.amdhsa_system_sgpr_workgroup_info 0
		.amdhsa_system_vgpr_workitem_id 0
		.amdhsa_next_free_vgpr 35
		.amdhsa_next_free_sgpr 36
		.amdhsa_reserve_vcc 1
		.amdhsa_float_round_mode_32 0
		.amdhsa_float_round_mode_16_64 0
		.amdhsa_float_denorm_mode_32 3
		.amdhsa_float_denorm_mode_16_64 3
		.amdhsa_dx10_clamp 1
		.amdhsa_ieee_mode 1
		.amdhsa_fp16_overflow 0
		.amdhsa_workgroup_processor_mode 1
		.amdhsa_memory_ordered 1
		.amdhsa_forward_progress 0
		.amdhsa_shared_vgpr_count 0
		.amdhsa_exception_fp_ieee_invalid_op 0
		.amdhsa_exception_fp_denorm_src 0
		.amdhsa_exception_fp_ieee_div_zero 0
		.amdhsa_exception_fp_ieee_overflow 0
		.amdhsa_exception_fp_ieee_underflow 0
		.amdhsa_exception_fp_ieee_inexact 0
		.amdhsa_exception_int_div_zero 0
	.end_amdhsa_kernel
	.section	.text._ZN4vllm31rms_norm_per_block_quant_kernelIN3c104HalfEaLb0ELb0ELi64EEEvPT0_PfPKT_S8_PKffiiPS6_l,"axG",@progbits,_ZN4vllm31rms_norm_per_block_quant_kernelIN3c104HalfEaLb0ELb0ELi64EEEvPT0_PfPKT_S8_PKffiiPS6_l,comdat
.Lfunc_end65:
	.size	_ZN4vllm31rms_norm_per_block_quant_kernelIN3c104HalfEaLb0ELb0ELi64EEEvPT0_PfPKT_S8_PKffiiPS6_l, .Lfunc_end65-_ZN4vllm31rms_norm_per_block_quant_kernelIN3c104HalfEaLb0ELb0ELi64EEEvPT0_PfPKT_S8_PKffiiPS6_l
                                        ; -- End function
	.section	.AMDGPU.csdata,"",@progbits
; Kernel info:
; codeLenInByte = 6692
; NumSgprs: 38
; NumVgprs: 35
; ScratchSize: 0
; MemoryBound: 0
; FloatMode: 240
; IeeeMode: 1
; LDSByteSize: 4228 bytes/workgroup (compile time only)
; SGPRBlocks: 4
; VGPRBlocks: 4
; NumSGPRsForWavesPerEU: 38
; NumVGPRsForWavesPerEU: 35
; Occupancy: 16
; WaveLimiterHint : 0
; COMPUTE_PGM_RSRC2:SCRATCH_EN: 0
; COMPUTE_PGM_RSRC2:USER_SGPR: 15
; COMPUTE_PGM_RSRC2:TRAP_HANDLER: 0
; COMPUTE_PGM_RSRC2:TGID_X_EN: 1
; COMPUTE_PGM_RSRC2:TGID_Y_EN: 0
; COMPUTE_PGM_RSRC2:TGID_Z_EN: 0
; COMPUTE_PGM_RSRC2:TIDIG_COMP_CNT: 0
	.section	.text._ZN4vllm31rms_norm_per_block_quant_kernelIN3c108BFloat16ENS1_13Float8_e4m3fnELb1ELb1ELi128EEEvPT0_PfPKT_S9_PKffiiPS7_l,"axG",@progbits,_ZN4vllm31rms_norm_per_block_quant_kernelIN3c108BFloat16ENS1_13Float8_e4m3fnELb1ELb1ELi128EEEvPT0_PfPKT_S9_PKffiiPS7_l,comdat
	.protected	_ZN4vllm31rms_norm_per_block_quant_kernelIN3c108BFloat16ENS1_13Float8_e4m3fnELb1ELb1ELi128EEEvPT0_PfPKT_S9_PKffiiPS7_l ; -- Begin function _ZN4vllm31rms_norm_per_block_quant_kernelIN3c108BFloat16ENS1_13Float8_e4m3fnELb1ELb1ELi128EEEvPT0_PfPKT_S9_PKffiiPS7_l
	.globl	_ZN4vllm31rms_norm_per_block_quant_kernelIN3c108BFloat16ENS1_13Float8_e4m3fnELb1ELb1ELi128EEEvPT0_PfPKT_S9_PKffiiPS7_l
	.p2align	8
	.type	_ZN4vllm31rms_norm_per_block_quant_kernelIN3c108BFloat16ENS1_13Float8_e4m3fnELb1ELb1ELi128EEEvPT0_PfPKT_S9_PKffiiPS7_l,@function
_ZN4vllm31rms_norm_per_block_quant_kernelIN3c108BFloat16ENS1_13Float8_e4m3fnELb1ELb1ELi128EEEvPT0_PfPKT_S9_PKffiiPS7_l: ; @_ZN4vllm31rms_norm_per_block_quant_kernelIN3c108BFloat16ENS1_13Float8_e4m3fnELb1ELb1ELi128EEEvPT0_PfPKT_S9_PKffiiPS7_l
; %bb.0:
	s_mov_b32 s16, s15
	s_clause 0x3
	s_load_b128 s[12:15], s[0:1], 0x28
	s_load_b256 s[4:11], s[0:1], 0x0
	s_load_b64 s[26:27], s[0:1], 0x38
	s_load_b32 s36, s[0:1], 0x48
	v_mov_b32_e32 v6, 0
	s_mov_b32 s17, 0
	s_waitcnt lgkmcnt(0)
	s_ashr_i32 s3, s14, 31
	s_mul_hi_u32 s15, s14, s16
	s_mul_i32 s3, s3, s16
	s_ashr_i32 s21, s13, 31
	s_mul_i32 s2, s14, s16
	s_add_i32 s3, s15, s3
	s_mul_hi_u32 s14, s13, s16
	s_mul_i32 s15, s21, s16
	s_lshl_b64 s[24:25], s[2:3], 1
	s_mul_i32 s18, s13, s16
	s_add_i32 s19, s14, s15
	s_add_u32 s30, s8, s24
	s_addc_u32 s31, s9, s25
	s_lshl_b64 s[28:29], s[18:19], 1
	s_mov_b32 s20, s13
	s_add_u32 s33, s26, s28
	s_addc_u32 s34, s27, s29
	s_ashr_i32 s14, s13, 2
	s_add_u32 s22, s0, 0x48
	v_cmp_gt_u32_e64 s2, s14, v0
	s_addc_u32 s23, s1, 0
	s_delay_alu instid0(VALU_DEP_1)
	s_and_saveexec_b32 s3, s2
	s_cbranch_execz .LBB66_10
; %bb.1:
	s_cmp_lt_u32 s16, s36
	v_mov_b32_e32 v2, 0
	s_cselect_b32 s13, 12, 18
                                        ; implicit-def: $sgpr15
	v_mov_b32_e32 v1, v0
	s_add_u32 s38, s22, s13
	s_addc_u32 s39, s23, 0
	s_mov_b32 s13, s17
	global_load_u16 v7, v2, s[38:39]
	s_waitcnt vmcnt(0)
	v_lshlrev_b32_e32 v9, 1, v7
	v_mul_lo_u32 v8, v7, 3
	v_add_nc_u32_e32 v10, v7, v7
	v_mov_b32_e32 v6, v2
	s_branch .LBB66_5
.LBB66_2:                               ;   in Loop: Header=BB66_5 Depth=1
	s_or_b32 exec_lo, exec_lo, s38
	s_delay_alu instid0(SALU_CYCLE_1)
	s_or_not1_b32 s38, s39, exec_lo
.LBB66_3:                               ;   in Loop: Header=BB66_5 Depth=1
	s_or_b32 exec_lo, exec_lo, s37
	s_delay_alu instid0(SALU_CYCLE_1) | instskip(SKIP_1) | instid1(SALU_CYCLE_1)
	s_and_not1_b32 s15, s15, exec_lo
	s_and_b32 s37, s38, exec_lo
	s_or_b32 s15, s15, s37
.LBB66_4:                               ;   in Loop: Header=BB66_5 Depth=1
	s_or_b32 exec_lo, exec_lo, s35
	s_delay_alu instid0(SALU_CYCLE_1) | instskip(NEXT) | instid1(SALU_CYCLE_1)
	s_and_b32 s35, exec_lo, s15
	s_or_b32 s13, s35, s13
	s_delay_alu instid0(SALU_CYCLE_1)
	s_and_not1_b32 exec_lo, exec_lo, s13
	s_cbranch_execz .LBB66_9
.LBB66_5:                               ; =>This Inner Loop Header: Depth=1
	v_lshlrev_b64 v[3:4], 3, v[1:2]
	s_or_b32 s15, s15, exec_lo
	s_mov_b32 s35, exec_lo
	s_delay_alu instid0(VALU_DEP_1) | instskip(NEXT) | instid1(VALU_DEP_2)
	v_add_co_u32 v11, vcc_lo, s30, v3
	v_add_co_ci_u32_e32 v12, vcc_lo, s31, v4, vcc_lo
	v_add_co_u32 v3, vcc_lo, s33, v3
	v_add_co_ci_u32_e32 v4, vcc_lo, s34, v4, vcc_lo
	global_load_b64 v[11:12], v[11:12], off
	global_load_b64 v[3:4], v[3:4], off
	s_waitcnt vmcnt(1)
	v_lshlrev_b32_e32 v5, 16, v11
	s_waitcnt vmcnt(0)
	v_lshlrev_b32_e32 v13, 16, v3
	v_and_b32_e32 v14, 0xffff0000, v11
	v_alignbit_b32 v11, v12, v11, 16
	s_delay_alu instid0(VALU_DEP_3) | instskip(NEXT) | instid1(VALU_DEP_1)
	v_add_f32_e32 v5, v5, v13
	v_dual_fmac_f32 v6, v5, v5 :: v_dual_and_b32 v5, 0xffff0000, v12
	v_and_b32_e32 v15, 0xffff0000, v3
	v_alignbit_b32 v3, v4, v3, 16
	s_delay_alu instid0(VALU_DEP_1) | instskip(SKIP_1) | instid1(VALU_DEP_1)
	v_and_b32_e32 v3, 0xffff0000, v3
	v_and_b32_e32 v4, 0xffff0000, v4
	v_dual_add_f32 v4, v5, v4 :: v_dual_and_b32 v11, 0xffff0000, v11
	v_add_f32_e32 v13, v14, v15
	s_delay_alu instid0(VALU_DEP_1) | instskip(NEXT) | instid1(VALU_DEP_1)
	v_dual_add_f32 v3, v11, v3 :: v_dual_fmac_f32 v6, v13, v13
	v_fmac_f32_e32 v6, v3, v3
	s_delay_alu instid0(VALU_DEP_1) | instskip(NEXT) | instid1(VALU_DEP_1)
	v_dual_fmac_f32 v6, v4, v4 :: v_dual_add_nc_u32 v3, v1, v7
	v_cmpx_gt_u32_e64 s14, v3
	s_cbranch_execz .LBB66_4
; %bb.6:                                ;   in Loop: Header=BB66_5 Depth=1
	v_mov_b32_e32 v4, v2
	s_mov_b32 s38, -1
	s_mov_b32 s37, exec_lo
	s_delay_alu instid0(VALU_DEP_1) | instskip(NEXT) | instid1(VALU_DEP_1)
	v_lshlrev_b64 v[4:5], 3, v[3:4]
	v_add_co_u32 v11, vcc_lo, s30, v4
	s_delay_alu instid0(VALU_DEP_2)
	v_add_co_ci_u32_e32 v12, vcc_lo, s31, v5, vcc_lo
	v_add_co_u32 v4, vcc_lo, s33, v4
	v_add_co_ci_u32_e32 v5, vcc_lo, s34, v5, vcc_lo
	global_load_b64 v[11:12], v[11:12], off
	global_load_b64 v[4:5], v[4:5], off
	s_waitcnt vmcnt(1)
	v_lshlrev_b32_e32 v13, 16, v11
	v_and_b32_e32 v15, 0xffff0000, v11
	v_alignbit_b32 v11, v12, v11, 16
	v_and_b32_e32 v12, 0xffff0000, v12
	s_waitcnt vmcnt(0)
	v_lshlrev_b32_e32 v14, 16, v4
	v_and_b32_e32 v16, 0xffff0000, v4
	v_alignbit_b32 v4, v5, v4, 16
	s_delay_alu instid0(VALU_DEP_1) | instskip(SKIP_1) | instid1(VALU_DEP_1)
	v_and_b32_e32 v4, 0xffff0000, v4
	v_and_b32_e32 v5, 0xffff0000, v5
	v_add_f32_e32 v5, v12, v5
	v_add_f32_e32 v13, v13, v14
	s_delay_alu instid0(VALU_DEP_1) | instskip(SKIP_1) | instid1(VALU_DEP_2)
	v_dual_fmac_f32 v6, v13, v13 :: v_dual_and_b32 v11, 0xffff0000, v11
	v_add_f32_e32 v14, v15, v16
	v_add_f32_e32 v4, v11, v4
	s_delay_alu instid0(VALU_DEP_2) | instskip(NEXT) | instid1(VALU_DEP_1)
	v_fmac_f32_e32 v6, v14, v14
	v_fmac_f32_e32 v6, v4, v4
	v_add_nc_u32_e32 v4, v9, v1
	s_delay_alu instid0(VALU_DEP_2) | instskip(NEXT) | instid1(VALU_DEP_2)
	v_fmac_f32_e32 v6, v5, v5
	v_cmpx_gt_u32_e64 s14, v4
	s_cbranch_execz .LBB66_3
; %bb.7:                                ;   in Loop: Header=BB66_5 Depth=1
	v_mov_b32_e32 v5, v2
	v_add_nc_u32_e32 v1, v8, v1
	s_mov_b32 s39, -1
	s_mov_b32 s38, exec_lo
	s_delay_alu instid0(VALU_DEP_2) | instskip(NEXT) | instid1(VALU_DEP_1)
	v_lshlrev_b64 v[4:5], 3, v[4:5]
	v_add_co_u32 v11, vcc_lo, s30, v4
	s_delay_alu instid0(VALU_DEP_2)
	v_add_co_ci_u32_e32 v12, vcc_lo, s31, v5, vcc_lo
	v_add_co_u32 v4, vcc_lo, s33, v4
	v_add_co_ci_u32_e32 v5, vcc_lo, s34, v5, vcc_lo
	global_load_b64 v[11:12], v[11:12], off
	global_load_b64 v[4:5], v[4:5], off
	s_waitcnt vmcnt(1)
	v_and_b32_e32 v15, 0xffff0000, v11
	s_waitcnt vmcnt(0)
	v_lshlrev_b32_e32 v14, 16, v4
	v_and_b32_e32 v16, 0xffff0000, v4
	v_lshlrev_b32_e32 v13, 16, v11
	v_alignbit_b32 v11, v12, v11, 16
	v_alignbit_b32 v4, v5, v4, 16
	s_delay_alu instid0(VALU_DEP_3) | instskip(NEXT) | instid1(VALU_DEP_1)
	v_dual_add_f32 v13, v13, v14 :: v_dual_and_b32 v12, 0xffff0000, v12
	v_fmac_f32_e32 v6, v13, v13
	s_delay_alu instid0(VALU_DEP_4) | instskip(NEXT) | instid1(VALU_DEP_1)
	v_dual_add_f32 v14, v15, v16 :: v_dual_and_b32 v11, 0xffff0000, v11
	v_dual_fmac_f32 v6, v14, v14 :: v_dual_and_b32 v5, 0xffff0000, v5
	s_delay_alu instid0(VALU_DEP_1) | instskip(NEXT) | instid1(VALU_DEP_1)
	v_dual_add_f32 v5, v12, v5 :: v_dual_and_b32 v4, 0xffff0000, v4
	v_add_f32_e32 v4, v11, v4
	s_delay_alu instid0(VALU_DEP_1) | instskip(NEXT) | instid1(VALU_DEP_1)
	v_fmac_f32_e32 v6, v4, v4
	v_fmac_f32_e32 v6, v5, v5
	v_cmpx_gt_u32_e64 s14, v1
	s_xor_b32 s38, exec_lo, s38
	s_cbranch_execz .LBB66_2
; %bb.8:                                ;   in Loop: Header=BB66_5 Depth=1
	v_lshlrev_b64 v[4:5], 3, v[1:2]
	s_delay_alu instid0(VALU_DEP_1) | instskip(NEXT) | instid1(VALU_DEP_2)
	v_add_co_u32 v11, vcc_lo, s30, v4
	v_add_co_ci_u32_e32 v12, vcc_lo, s31, v5, vcc_lo
	v_add_co_u32 v4, vcc_lo, s33, v4
	v_add_co_ci_u32_e32 v5, vcc_lo, s34, v5, vcc_lo
	global_load_b64 v[11:12], v[11:12], off
	global_load_b64 v[4:5], v[4:5], off
	s_waitcnt vmcnt(0)
	v_lshlrev_b32_e32 v13, 16, v4
	v_and_b32_e32 v14, 0xffff0000, v11
	v_alignbit_b32 v15, v5, v4, 16
	v_and_b32_e32 v4, 0xffff0000, v4
	v_lshlrev_b32_e32 v1, 16, v11
	v_alignbit_b32 v11, v12, v11, 16
	v_and_b32_e32 v12, 0xffff0000, v12
	s_delay_alu instid0(VALU_DEP_3) | instskip(NEXT) | instid1(VALU_DEP_1)
	v_dual_add_f32 v4, v14, v4 :: v_dual_add_f32 v1, v1, v13
	v_dual_fmac_f32 v6, v1, v1 :: v_dual_and_b32 v13, 0xffff0000, v15
	s_delay_alu instid0(VALU_DEP_4) | instskip(SKIP_1) | instid1(VALU_DEP_2)
	v_and_b32_e32 v11, 0xffff0000, v11
	v_add3_u32 v1, v10, v7, v3
	v_dual_fmac_f32 v6, v4, v4 :: v_dual_add_f32 v11, v11, v13
	v_and_b32_e32 v5, 0xffff0000, v5
	s_delay_alu instid0(VALU_DEP_3) | instskip(NEXT) | instid1(VALU_DEP_2)
	v_cmp_le_u32_e32 vcc_lo, s14, v1
	v_dual_fmac_f32 v6, v11, v11 :: v_dual_add_f32 v3, v12, v5
	s_or_not1_b32 s39, vcc_lo, exec_lo
	s_delay_alu instid0(VALU_DEP_1)
	v_fmac_f32_e32 v6, v3, v3
	s_branch .LBB66_2
.LBB66_9:
	s_or_b32 exec_lo, exec_lo, s13
.LBB66_10:
	s_delay_alu instid0(SALU_CYCLE_1) | instskip(SKIP_4) | instid1(VALU_DEP_2)
	s_or_b32 exec_lo, exec_lo, s3
	v_mbcnt_lo_u32_b32 v1, -1, 0
	s_load_b32 s3, s[22:23], 0xc
	v_and_b32_e32 v7, 0x3e0, v0
	s_mov_b32 s13, exec_lo
	v_cmp_ne_u32_e32 vcc_lo, 31, v1
	v_add_nc_u32_e32 v3, 1, v1
	v_add_co_ci_u32_e32 v2, vcc_lo, 0, v1, vcc_lo
	v_cmp_gt_u32_e32 vcc_lo, 30, v1
	s_delay_alu instid0(VALU_DEP_2)
	v_lshlrev_b32_e32 v2, 2, v2
	v_cndmask_b32_e64 v5, 0, 1, vcc_lo
	ds_bpermute_b32 v4, v2, v6
	s_waitcnt lgkmcnt(0)
	s_and_b32 s3, s3, 0xffff
	v_lshlrev_b32_e32 v5, 1, v5
	v_sub_nc_u32_e64 v12, s3, v7 clamp
	s_delay_alu instid0(VALU_DEP_1) | instskip(SKIP_1) | instid1(VALU_DEP_4)
	v_cmp_lt_u32_e32 vcc_lo, v3, v12
	v_add_f32_e32 v7, v6, v4
	v_add_lshl_u32 v4, v5, v1, 2
	s_delay_alu instid0(VALU_DEP_2) | instskip(SKIP_2) | instid1(VALU_DEP_1)
	v_cndmask_b32_e32 v7, v6, v7, vcc_lo
	v_cmp_gt_u32_e32 vcc_lo, 28, v1
	v_cndmask_b32_e64 v5, 0, 1, vcc_lo
	v_lshlrev_b32_e32 v8, 2, v5
	ds_bpermute_b32 v6, v4, v7
	v_add_nc_u32_e32 v5, 2, v1
	s_delay_alu instid0(VALU_DEP_1) | instskip(SKIP_3) | instid1(VALU_DEP_2)
	v_cmp_lt_u32_e32 vcc_lo, v5, v12
	s_waitcnt lgkmcnt(0)
	v_add_f32_e32 v9, v7, v6
	v_add_lshl_u32 v6, v8, v1, 2
	v_cndmask_b32_e32 v9, v7, v9, vcc_lo
	v_cmp_gt_u32_e32 vcc_lo, 24, v1
	ds_bpermute_b32 v8, v6, v9
	v_cndmask_b32_e64 v7, 0, 1, vcc_lo
	s_delay_alu instid0(VALU_DEP_1) | instskip(SKIP_1) | instid1(VALU_DEP_1)
	v_lshlrev_b32_e32 v10, 3, v7
	v_add_nc_u32_e32 v7, 4, v1
	v_cmp_lt_u32_e32 vcc_lo, v7, v12
	s_waitcnt lgkmcnt(0)
	v_add_f32_e32 v11, v9, v8
	v_add_lshl_u32 v8, v10, v1, 2
	s_delay_alu instid0(VALU_DEP_2) | instskip(SKIP_3) | instid1(VALU_DEP_1)
	v_cndmask_b32_e32 v11, v9, v11, vcc_lo
	v_cmp_gt_u32_e32 vcc_lo, 16, v1
	ds_bpermute_b32 v10, v8, v11
	v_cndmask_b32_e64 v9, 0, 1, vcc_lo
	v_lshlrev_b32_e32 v13, 4, v9
	v_add_nc_u32_e32 v9, 8, v1
	s_delay_alu instid0(VALU_DEP_1) | instskip(SKIP_3) | instid1(VALU_DEP_2)
	v_cmp_lt_u32_e32 vcc_lo, v9, v12
	s_waitcnt lgkmcnt(0)
	v_add_f32_e32 v14, v11, v10
	v_add_lshl_u32 v10, v13, v1, 2
	v_cndmask_b32_e32 v13, v11, v14, vcc_lo
	v_add_nc_u32_e32 v11, 16, v1
	ds_bpermute_b32 v14, v10, v13
	v_cmp_lt_u32_e32 vcc_lo, v11, v12
	s_waitcnt lgkmcnt(0)
	v_add_f32_e32 v14, v13, v14
	s_delay_alu instid0(VALU_DEP_1)
	v_cndmask_b32_e32 v12, v13, v14, vcc_lo
	v_cmpx_eq_u32_e32 0, v1
	s_cbranch_execz .LBB66_12
; %bb.11:
	v_lshrrev_b32_e32 v13, 3, v0
	s_delay_alu instid0(VALU_DEP_1)
	v_and_b32_e32 v13, 0x7c, v13
	ds_store_b32 v13, v12 offset:4096
.LBB66_12:
	s_or_b32 exec_lo, exec_lo, s13
	s_delay_alu instid0(SALU_CYCLE_1)
	s_mov_b32 s13, exec_lo
	s_waitcnt lgkmcnt(0)
	s_barrier
	buffer_gl0_inv
	v_cmpx_gt_u32_e32 32, v0
	s_cbranch_execz .LBB66_14
; %bb.13:
	v_lshlrev_b32_e32 v1, 2, v1
	s_add_i32 s3, s3, 31
	s_delay_alu instid0(SALU_CYCLE_1) | instskip(NEXT) | instid1(SALU_CYCLE_1)
	s_lshr_b32 s3, s3, 5
	v_cmp_gt_u32_e32 vcc_lo, s3, v3
	ds_load_b32 v1, v1 offset:4096
	s_waitcnt lgkmcnt(0)
	ds_bpermute_b32 v2, v2, v1
	s_waitcnt lgkmcnt(0)
	v_add_f32_e32 v2, v1, v2
	s_delay_alu instid0(VALU_DEP_1) | instskip(SKIP_4) | instid1(VALU_DEP_1)
	v_cndmask_b32_e32 v1, v1, v2, vcc_lo
	v_cmp_gt_u32_e32 vcc_lo, s3, v5
	ds_bpermute_b32 v2, v4, v1
	s_waitcnt lgkmcnt(0)
	v_add_f32_e32 v2, v1, v2
	v_cndmask_b32_e32 v1, v1, v2, vcc_lo
	v_cmp_gt_u32_e32 vcc_lo, s3, v7
	ds_bpermute_b32 v2, v6, v1
	s_waitcnt lgkmcnt(0)
	v_add_f32_e32 v2, v1, v2
	s_delay_alu instid0(VALU_DEP_1) | instskip(SKIP_4) | instid1(VALU_DEP_1)
	v_cndmask_b32_e32 v1, v1, v2, vcc_lo
	v_cmp_gt_u32_e32 vcc_lo, s3, v9
	ds_bpermute_b32 v2, v8, v1
	s_waitcnt lgkmcnt(0)
	v_add_f32_e32 v2, v1, v2
	v_cndmask_b32_e32 v1, v1, v2, vcc_lo
	v_cmp_gt_u32_e32 vcc_lo, s3, v11
	ds_bpermute_b32 v2, v10, v1
	s_waitcnt lgkmcnt(0)
	v_add_f32_e32 v2, v1, v2
	s_delay_alu instid0(VALU_DEP_1)
	v_cndmask_b32_e32 v12, v1, v2, vcc_lo
.LBB66_14:
	s_or_b32 exec_lo, exec_lo, s13
	s_delay_alu instid0(SALU_CYCLE_1)
	s_mov_b32 s3, exec_lo
	v_cmpx_eq_u32_e32 0, v0
	s_cbranch_execz .LBB66_16
; %bb.15:
	v_cvt_f32_i32_e32 v1, s20
	s_delay_alu instid0(VALU_DEP_1) | instskip(SKIP_1) | instid1(VALU_DEP_2)
	v_div_scale_f32 v2, null, v1, v1, v12
	v_div_scale_f32 v5, vcc_lo, v12, v1, v12
	v_rcp_f32_e32 v3, v2
	s_waitcnt_depctr 0xfff
	v_fma_f32 v4, -v2, v3, 1.0
	s_delay_alu instid0(VALU_DEP_1) | instskip(NEXT) | instid1(VALU_DEP_1)
	v_fmac_f32_e32 v3, v4, v3
	v_mul_f32_e32 v4, v5, v3
	s_delay_alu instid0(VALU_DEP_1) | instskip(NEXT) | instid1(VALU_DEP_1)
	v_fma_f32 v6, -v2, v4, v5
	v_fmac_f32_e32 v4, v6, v3
	s_delay_alu instid0(VALU_DEP_1) | instskip(NEXT) | instid1(VALU_DEP_1)
	v_fma_f32 v2, -v2, v4, v5
	v_div_fmas_f32 v2, v2, v3, v4
	s_delay_alu instid0(VALU_DEP_1) | instskip(NEXT) | instid1(VALU_DEP_1)
	v_div_fixup_f32 v1, v2, v1, v12
	v_add_f32_e32 v1, s12, v1
	s_delay_alu instid0(VALU_DEP_1) | instskip(SKIP_1) | instid1(VALU_DEP_2)
	v_mul_f32_e32 v2, 0x4b800000, v1
	v_cmp_gt_f32_e32 vcc_lo, 0x800000, v1
	v_cndmask_b32_e32 v1, v1, v2, vcc_lo
	s_delay_alu instid0(VALU_DEP_1) | instskip(SKIP_2) | instid1(VALU_DEP_1)
	v_rsq_f32_e32 v1, v1
	s_waitcnt_depctr 0xfff
	v_mul_f32_e32 v2, 0x45800000, v1
	v_dual_cndmask_b32 v1, v1, v2 :: v_dual_mov_b32 v2, 0
	ds_store_b32 v2, v1 offset:4224
.LBB66_16:
	s_or_b32 exec_lo, exec_lo, s3
	s_ashr_i32 s3, s20, 31
	v_mov_b32_e32 v4, 0
	s_lshr_b32 s3, s3, 25
	s_waitcnt lgkmcnt(0)
	s_add_i32 s3, s20, s3
	s_barrier
	s_ashr_i32 s12, s3, 7
	s_cmp_lt_u32 s16, s36
	buffer_gl0_inv
	s_cselect_b32 s13, 12, 18
	ds_load_b32 v28, v4 offset:4224
	s_add_u32 s22, s22, s13
	s_addc_u32 s23, s23, 0
	s_abs_i32 s13, s12
	global_load_u16 v1, v4, s[22:23]
	v_cvt_f32_u32_e32 v2, s13
	s_sub_i32 s22, 0, s13
	s_ashr_i32 s3, s3, 31
	s_delay_alu instid0(VALU_DEP_1) | instskip(SKIP_2) | instid1(VALU_DEP_1)
	v_rcp_iflag_f32_e32 v2, v2
	s_waitcnt_depctr 0xfff
	v_mul_f32_e32 v2, 0x4f7ffffe, v2
	v_cvt_u32_f32_e32 v2, v2
	s_delay_alu instid0(VALU_DEP_1) | instskip(NEXT) | instid1(VALU_DEP_1)
	v_readfirstlane_b32 s15, v2
	s_mul_i32 s22, s22, s15
	s_delay_alu instid0(SALU_CYCLE_1) | instskip(NEXT) | instid1(SALU_CYCLE_1)
	s_mul_hi_u32 s22, s15, s22
	s_add_i32 s15, s15, s22
	s_waitcnt vmcnt(0)
	v_readfirstlane_b32 s35, v1
	s_delay_alu instid0(VALU_DEP_1) | instskip(NEXT) | instid1(SALU_CYCLE_1)
	s_mul_hi_u32 s15, s35, s15
	s_mul_i32 s22, s15, s13
	s_add_i32 s23, s15, 1
	s_sub_i32 s22, s35, s22
	s_delay_alu instid0(SALU_CYCLE_1)
	s_sub_i32 s37, s22, s13
	s_cmp_ge_u32 s22, s13
	s_cselect_b32 s15, s23, s15
	s_cselect_b32 s22, s37, s22
	s_add_i32 s23, s15, 1
	s_cmp_ge_u32 s22, s13
	s_cselect_b32 s13, s23, s15
	s_ashr_i32 s15, s14, 31
	s_xor_b32 s13, s13, s3
	s_delay_alu instid0(SALU_CYCLE_1) | instskip(NEXT) | instid1(SALU_CYCLE_1)
	s_sub_i32 s22, s13, s3
	s_abs_i32 s3, s22
	s_ashr_i32 s23, s22, 31
	v_cvt_f32_u32_e32 v1, s3
	s_sub_i32 s13, 0, s3
	s_delay_alu instid0(VALU_DEP_1) | instskip(SKIP_2) | instid1(VALU_DEP_1)
	v_rcp_iflag_f32_e32 v1, v1
	s_waitcnt_depctr 0xfff
	v_mul_f32_e32 v1, 0x4f7ffffe, v1
	v_cvt_u32_f32_e32 v1, v1
	s_delay_alu instid0(VALU_DEP_1) | instskip(SKIP_1) | instid1(VALU_DEP_1)
	v_mul_lo_u32 v2, s13, v1
	s_mov_b32 s13, exec_lo
	v_mul_hi_u32 v2, v1, v2
	s_delay_alu instid0(VALU_DEP_1) | instskip(NEXT) | instid1(VALU_DEP_1)
	v_add_nc_u32_e32 v1, v1, v2
	v_mul_hi_u32 v1, v0, v1
	s_delay_alu instid0(VALU_DEP_1) | instskip(SKIP_1) | instid1(VALU_DEP_2)
	v_mul_lo_u32 v2, v1, s3
	v_add_nc_u32_e32 v3, 1, v1
	v_sub_nc_u32_e32 v2, v0, v2
	s_delay_alu instid0(VALU_DEP_1) | instskip(SKIP_1) | instid1(VALU_DEP_2)
	v_subrev_nc_u32_e32 v5, s3, v2
	v_cmp_le_u32_e32 vcc_lo, s3, v2
	v_dual_cndmask_b32 v2, v2, v5 :: v_dual_cndmask_b32 v1, v1, v3
	s_delay_alu instid0(VALU_DEP_1) | instskip(NEXT) | instid1(VALU_DEP_2)
	v_cmp_le_u32_e32 vcc_lo, s3, v2
	v_add_nc_u32_e32 v3, 1, v1
	s_delay_alu instid0(VALU_DEP_1) | instskip(NEXT) | instid1(VALU_DEP_1)
	v_cndmask_b32_e32 v1, v1, v3, vcc_lo
	v_xor_b32_e32 v1, s23, v1
	s_delay_alu instid0(VALU_DEP_1) | instskip(NEXT) | instid1(VALU_DEP_1)
	v_subrev_nc_u32_e32 v1, s23, v1
	v_ashrrev_i32_e32 v2, 31, v1
	v_mul_lo_u32 v3, v1, s22
	s_delay_alu instid0(VALU_DEP_2) | instskip(NEXT) | instid1(VALU_DEP_2)
	v_lshlrev_b64 v[7:8], 5, v[1:2]
	v_sub_nc_u32_e32 v3, v0, v3
	s_delay_alu instid0(VALU_DEP_2) | instskip(NEXT) | instid1(VALU_DEP_3)
	v_add_co_u32 v5, vcc_lo, v7, 32
	v_add_co_ci_u32_e32 v6, vcc_lo, 0, v8, vcc_lo
	s_delay_alu instid0(VALU_DEP_1) | instskip(SKIP_4) | instid1(VALU_DEP_3)
	v_cmp_gt_i64_e32 vcc_lo, s[14:15], v[5:6]
	v_cndmask_b32_e32 v6, s15, v6, vcc_lo
	v_cndmask_b32_e32 v5, s14, v5, vcc_lo
	v_add_co_u32 v7, vcc_lo, v7, v3
	v_add_co_ci_u32_e32 v8, vcc_lo, 0, v8, vcc_lo
	v_ashrrev_i32_e32 v10, 31, v5
	v_mov_b32_e32 v9, v5
	s_delay_alu instid0(VALU_DEP_1)
	v_cmpx_lt_i64_e64 v[7:8], v[9:10]
	s_cbranch_execz .LBB66_26
; %bb.17:
	v_lshlrev_b64 v[13:14], 8, v[1:2]
	v_lshlrev_b64 v[11:12], 3, v[3:4]
	s_mul_i32 s3, s22, 24
	s_mul_hi_i32 s15, s22, 24
	s_add_u32 s37, s8, s3
	s_delay_alu instid0(VALU_DEP_2) | instskip(SKIP_2) | instid1(VALU_DEP_2)
	v_add_co_u32 v4, vcc_lo, s24, v13
	v_add_co_ci_u32_e32 v15, vcc_lo, s25, v14, vcc_lo
	s_addc_u32 s24, s9, s15
	v_add_co_u32 v17, vcc_lo, s37, v4
	s_lshl_b64 s[38:39], s[22:23], 4
	s_delay_alu instid0(VALU_DEP_2)
	v_add_co_ci_u32_e32 v18, vcc_lo, s24, v15, vcc_lo
	s_lshl_b64 s[24:25], s[22:23], 5
	s_add_u32 s37, s8, s38
	s_addc_u32 s42, s9, s39
	s_lshl_b64 s[40:41], s[22:23], 3
	v_add_co_u32 v19, vcc_lo, s37, v4
	s_add_u32 s37, s8, s40
	v_add_co_ci_u32_e32 v20, vcc_lo, s42, v15, vcc_lo
	s_addc_u32 s42, s9, s41
	v_add_co_u32 v21, vcc_lo, s37, v4
	v_add_co_ci_u32_e32 v22, vcc_lo, s42, v15, vcc_lo
	v_add_co_u32 v23, vcc_lo, s8, v4
	s_add_u32 s8, s10, s3
	v_add_co_ci_u32_e32 v24, vcc_lo, s9, v15, vcc_lo
	s_addc_u32 s9, s11, s15
	v_add_co_u32 v25, vcc_lo, s8, v13
	s_add_u32 s8, s10, s38
	v_add_co_ci_u32_e32 v26, vcc_lo, s9, v14, vcc_lo
	s_addc_u32 s9, s11, s39
	;; [unrolled: 4-line block ×3, first 2 shown]
	v_add_co_u32 v30, vcc_lo, s8, v13
	v_add_co_ci_u32_e32 v31, vcc_lo, s9, v14, vcc_lo
	v_add_co_u32 v32, vcc_lo, s10, v13
	v_add_co_ci_u32_e32 v33, vcc_lo, s11, v14, vcc_lo
	;; [unrolled: 2-line block ×3, first 2 shown]
	s_add_u32 s3, s26, s3
	s_addc_u32 s8, s27, s15
	s_delay_alu instid0(VALU_DEP_2)
	v_add_co_u32 v34, vcc_lo, s3, v4
	s_add_u32 s3, s26, s38
	v_add_co_ci_u32_e32 v35, vcc_lo, s8, v13, vcc_lo
	s_addc_u32 s8, s27, s39
	v_add_co_u32 v36, vcc_lo, s3, v4
	s_add_u32 s3, s26, s40
	v_add_co_ci_u32_e32 v37, vcc_lo, s8, v13, vcc_lo
	s_addc_u32 s8, s27, s41
	v_add_co_u32 v38, vcc_lo, s3, v4
	v_add_co_ci_u32_e32 v39, vcc_lo, s8, v13, vcc_lo
	v_add_co_u32 v40, vcc_lo, s26, v4
	v_add_co_ci_u32_e32 v41, vcc_lo, s27, v13, vcc_lo
	v_mov_b32_e32 v14, v8
	v_dual_mov_b32 v4, 0 :: v_dual_mov_b32 v13, v7
	s_mul_hi_i32 s15, s22, 3
	s_mul_i32 s26, s22, 3
	s_lshl_b64 s[8:9], s[22:23], 1
	s_mov_b32 s27, 0
                                        ; implicit-def: $sgpr28
	s_branch .LBB66_21
.LBB66_18:                              ;   in Loop: Header=BB66_21 Depth=1
	s_or_b32 exec_lo, exec_lo, s38
	s_delay_alu instid0(SALU_CYCLE_1)
	s_or_not1_b32 s3, s3, exec_lo
.LBB66_19:                              ;   in Loop: Header=BB66_21 Depth=1
	s_or_b32 exec_lo, exec_lo, s37
	s_delay_alu instid0(SALU_CYCLE_1) | instskip(SKIP_1) | instid1(SALU_CYCLE_1)
	s_and_not1_b32 s28, s28, exec_lo
	s_and_b32 s3, s3, exec_lo
	s_or_b32 s28, s28, s3
.LBB66_20:                              ;   in Loop: Header=BB66_21 Depth=1
	s_or_b32 exec_lo, exec_lo, s29
	s_delay_alu instid0(SALU_CYCLE_1) | instskip(NEXT) | instid1(SALU_CYCLE_1)
	s_and_b32 s3, exec_lo, s28
	s_or_b32 s27, s3, s27
	s_delay_alu instid0(SALU_CYCLE_1)
	s_and_not1_b32 exec_lo, exec_lo, s27
	s_cbranch_execz .LBB66_25
.LBB66_21:                              ; =>This Inner Loop Header: Depth=1
	v_add_co_u32 v15, vcc_lo, v23, v11
	v_add_co_ci_u32_e32 v16, vcc_lo, v24, v12, vcc_lo
	v_add_co_u32 v42, vcc_lo, v32, v11
	v_add_co_ci_u32_e32 v43, vcc_lo, v33, v12, vcc_lo
	;; [unrolled: 2-line block ×3, first 2 shown]
	global_load_b64 v[15:16], v[15:16], off
	global_load_b64 v[42:43], v[42:43], off
	;; [unrolled: 1-line block ×3, first 2 shown]
	s_or_b32 s28, s28, exec_lo
	s_mov_b32 s29, exec_lo
	s_waitcnt vmcnt(2)
	v_lshlrev_b32_e32 v48, 16, v15
	s_waitcnt vmcnt(0)
	v_and_b32_e32 v50, 0xffff0000, v44
	v_lshlrev_b32_e32 v49, 16, v44
	v_alignbit_b32 v44, v45, v44, 16
	s_delay_alu instid0(VALU_DEP_1) | instskip(SKIP_2) | instid1(VALU_DEP_1)
	v_and_b32_e32 v44, 0xffff0000, v44
	v_and_b32_e32 v46, 0xffff0000, v15
	v_alignbit_b32 v15, v16, v15, 16
	v_and_b32_e32 v15, 0xffff0000, v15
	s_delay_alu instid0(VALU_DEP_1) | instskip(SKIP_2) | instid1(VALU_DEP_2)
	v_dual_add_f32 v15, v15, v44 :: v_dual_add_f32 v46, v46, v50
	v_dual_add_f32 v48, v48, v49 :: v_dual_and_b32 v47, 0xffff0000, v42
	s_waitcnt lgkmcnt(0)
	v_dual_mul_f32 v15, v28, v15 :: v_dual_and_b32 v16, 0xffff0000, v16
	s_delay_alu instid0(VALU_DEP_3) | instskip(NEXT) | instid1(VALU_DEP_3)
	v_dual_mul_f32 v46, v28, v46 :: v_dual_and_b32 v45, 0xffff0000, v45
	v_mul_f32_e32 v48, v28, v48
	s_delay_alu instid0(VALU_DEP_3) | instskip(NEXT) | instid1(VALU_DEP_3)
	v_bfe_u32 v51, v15, 16, 1
	v_dual_add_f32 v16, v16, v45 :: v_dual_lshlrev_b32 v45, 16, v42
	s_delay_alu instid0(VALU_DEP_3) | instskip(SKIP_1) | instid1(VALU_DEP_3)
	v_bfe_u32 v44, v48, 16, 1
	v_alignbit_b32 v42, v43, v42, 16
	v_dual_mul_f32 v16, v28, v16 :: v_dual_and_b32 v43, 0xffff0000, v43
	v_bfe_u32 v49, v46, 16, 1
	s_delay_alu instid0(VALU_DEP_4)
	v_add3_u32 v44, v48, v44, 0x7fff
	v_cmp_o_f32_e32 vcc_lo, v48, v48
	v_and_b32_e32 v42, 0xffff0000, v42
	v_bfe_u32 v50, v16, 16, 1
	v_add3_u32 v49, v46, v49, 0x7fff
	v_and_b32_e32 v44, 0xffff0000, v44
	v_add3_u32 v51, v15, v51, 0x7fff
	s_delay_alu instid0(VALU_DEP_4) | instskip(NEXT) | instid1(VALU_DEP_4)
	v_add3_u32 v50, v16, v50, 0x7fff
	v_and_b32_e32 v49, 0xffff0000, v49
	s_delay_alu instid0(VALU_DEP_4)
	v_cndmask_b32_e32 v44, 0x7fc00000, v44, vcc_lo
	v_cmp_o_f32_e32 vcc_lo, v46, v46
	v_and_b32_e32 v48, 0xffff0000, v51
	v_and_b32_e32 v50, 0xffff0000, v50
	v_cndmask_b32_e32 v46, 0x7fc00000, v49, vcc_lo
	v_cmp_o_f32_e32 vcc_lo, v16, v16
	s_delay_alu instid0(VALU_DEP_3) | instskip(SKIP_1) | instid1(VALU_DEP_4)
	v_cndmask_b32_e32 v16, 0x7fc00000, v50, vcc_lo
	v_cmp_o_f32_e32 vcc_lo, v15, v15
	v_dual_mul_f32 v44, v44, v45 :: v_dual_mul_f32 v45, v46, v47
	s_delay_alu instid0(VALU_DEP_3) | instskip(SKIP_1) | instid1(VALU_DEP_3)
	v_mul_f32_e32 v43, v16, v43
	v_cndmask_b32_e32 v15, 0x7fc00000, v48, vcc_lo
	v_bfe_u32 v46, v44, 16, 1
	s_delay_alu instid0(VALU_DEP_4) | instskip(SKIP_1) | instid1(VALU_DEP_4)
	v_bfe_u32 v16, v45, 16, 1
	v_cmp_o_f32_e32 vcc_lo, v44, v44
	v_mul_f32_e32 v42, v15, v42
	s_delay_alu instid0(VALU_DEP_4) | instskip(NEXT) | instid1(VALU_DEP_4)
	v_add3_u32 v15, v44, v46, 0x7fff
	v_add3_u32 v16, v45, v16, 0x7fff
	v_bfe_u32 v46, v43, 16, 1
	s_delay_alu instid0(VALU_DEP_4) | instskip(NEXT) | instid1(VALU_DEP_4)
	v_bfe_u32 v47, v42, 16, 1
	v_and_b32_e32 v15, 0xffff0000, v15
	s_delay_alu instid0(VALU_DEP_4) | instskip(NEXT) | instid1(VALU_DEP_4)
	v_and_b32_e32 v16, 0xffff0000, v16
	v_add3_u32 v46, v43, v46, 0x7fff
	s_delay_alu instid0(VALU_DEP_4) | instskip(NEXT) | instid1(VALU_DEP_4)
	v_add3_u32 v47, v42, v47, 0x7fff
	v_cndmask_b32_e64 v44, 0x7fc00000, |v15|, vcc_lo
	v_cmp_o_f32_e32 vcc_lo, v45, v45
	s_delay_alu instid0(VALU_DEP_4) | instskip(NEXT) | instid1(VALU_DEP_4)
	v_and_b32_e32 v46, 0xffff0000, v46
	v_and_b32_e32 v47, 0xffff0000, v47
	v_cndmask_b32_e64 v45, 0x7fc00000, |v16|, vcc_lo
	v_add_co_u32 v15, vcc_lo, v13, s22
	v_add_co_ci_u32_e32 v16, vcc_lo, s23, v14, vcc_lo
	v_cmp_o_f32_e32 vcc_lo, v42, v42
	s_delay_alu instid0(VALU_DEP_4) | instskip(SKIP_3) | instid1(VALU_DEP_1)
	v_max3_f32 v4, v4, v44, v45
	v_cndmask_b32_e64 v42, 0x7fc00000, |v47|, vcc_lo
	v_cmp_o_f32_e32 vcc_lo, v43, v43
	v_cndmask_b32_e64 v43, 0x7fc00000, |v46|, vcc_lo
	v_max3_f32 v4, v4, v42, v43
	v_cmpx_lt_i64_e64 v[15:16], v[9:10]
	s_cbranch_execz .LBB66_20
; %bb.22:                               ;   in Loop: Header=BB66_21 Depth=1
	v_add_co_u32 v42, vcc_lo, v21, v11
	v_add_co_ci_u32_e32 v43, vcc_lo, v22, v12, vcc_lo
	v_add_co_u32 v44, vcc_lo, v30, v11
	v_add_co_ci_u32_e32 v45, vcc_lo, v31, v12, vcc_lo
	;; [unrolled: 2-line block ×3, first 2 shown]
	global_load_b64 v[42:43], v[42:43], off
	global_load_b64 v[44:45], v[44:45], off
	;; [unrolled: 1-line block ×3, first 2 shown]
	s_mov_b32 s3, -1
	s_mov_b32 s37, exec_lo
	s_waitcnt vmcnt(2)
	v_lshlrev_b32_e32 v50, 16, v42
	s_waitcnt vmcnt(0)
	v_lshlrev_b32_e32 v51, 16, v46
	v_and_b32_e32 v52, 0xffff0000, v46
	v_alignbit_b32 v46, v47, v46, 16
	v_and_b32_e32 v47, 0xffff0000, v47
	v_and_b32_e32 v48, 0xffff0000, v42
	v_alignbit_b32 v42, v43, v42, 16
	v_and_b32_e32 v43, 0xffff0000, v43
	s_delay_alu instid0(VALU_DEP_1) | instskip(NEXT) | instid1(VALU_DEP_4)
	v_dual_add_f32 v43, v43, v47 :: v_dual_and_b32 v46, 0xffff0000, v46
	v_add_f32_e32 v48, v48, v52
	v_lshlrev_b32_e32 v47, 16, v44
	s_delay_alu instid0(VALU_DEP_3) | instskip(NEXT) | instid1(VALU_DEP_3)
	v_mul_f32_e32 v43, v28, v43
	v_mul_f32_e32 v48, v28, v48
	v_dual_add_f32 v50, v50, v51 :: v_dual_and_b32 v49, 0xffff0000, v44
	v_alignbit_b32 v44, v45, v44, 16
	v_and_b32_e32 v45, 0xffff0000, v45
	v_and_b32_e32 v42, 0xffff0000, v42
	v_bfe_u32 v51, v48, 16, 1
	v_mul_f32_e32 v50, v28, v50
	v_bfe_u32 v52, v43, 16, 1
	v_and_b32_e32 v44, 0xffff0000, v44
	v_add_f32_e32 v42, v42, v46
	v_add3_u32 v51, v48, v51, 0x7fff
	v_bfe_u32 v46, v50, 16, 1
	v_cmp_o_f32_e32 vcc_lo, v50, v50
	v_add3_u32 v52, v43, v52, 0x7fff
	s_delay_alu instid0(VALU_DEP_4) | instskip(NEXT) | instid1(VALU_DEP_4)
	v_dual_mul_f32 v42, v28, v42 :: v_dual_and_b32 v51, 0xffff0000, v51
	v_add3_u32 v46, v50, v46, 0x7fff
	s_delay_alu instid0(VALU_DEP_3) | instskip(NEXT) | instid1(VALU_DEP_3)
	v_and_b32_e32 v52, 0xffff0000, v52
	v_bfe_u32 v53, v42, 16, 1
	s_delay_alu instid0(VALU_DEP_3) | instskip(NEXT) | instid1(VALU_DEP_2)
	v_and_b32_e32 v46, 0xffff0000, v46
	v_add3_u32 v53, v42, v53, 0x7fff
	s_delay_alu instid0(VALU_DEP_2) | instskip(SKIP_1) | instid1(VALU_DEP_3)
	v_cndmask_b32_e32 v46, 0x7fc00000, v46, vcc_lo
	v_cmp_o_f32_e32 vcc_lo, v48, v48
	v_and_b32_e32 v50, 0xffff0000, v53
	s_delay_alu instid0(VALU_DEP_3) | instskip(SKIP_2) | instid1(VALU_DEP_2)
	v_mul_f32_e32 v46, v46, v47
	v_cndmask_b32_e32 v48, 0x7fc00000, v51, vcc_lo
	v_cmp_o_f32_e32 vcc_lo, v43, v43
	v_mul_f32_e32 v47, v48, v49
	v_cndmask_b32_e32 v43, 0x7fc00000, v52, vcc_lo
	v_cmp_o_f32_e32 vcc_lo, v42, v42
	v_bfe_u32 v48, v46, 16, 1
	s_delay_alu instid0(VALU_DEP_3) | instskip(SKIP_2) | instid1(VALU_DEP_2)
	v_dual_mul_f32 v45, v43, v45 :: v_dual_cndmask_b32 v42, 0x7fc00000, v50
	v_bfe_u32 v43, v47, 16, 1
	v_cmp_o_f32_e32 vcc_lo, v46, v46
	v_add3_u32 v43, v47, v43, 0x7fff
	s_delay_alu instid0(VALU_DEP_4) | instskip(SKIP_2) | instid1(VALU_DEP_4)
	v_mul_f32_e32 v44, v42, v44
	v_add3_u32 v42, v46, v48, 0x7fff
	v_bfe_u32 v48, v45, 16, 1
	v_and_b32_e32 v43, 0xffff0000, v43
	s_delay_alu instid0(VALU_DEP_4) | instskip(NEXT) | instid1(VALU_DEP_4)
	v_bfe_u32 v49, v44, 16, 1
	v_and_b32_e32 v42, 0xffff0000, v42
	s_delay_alu instid0(VALU_DEP_4) | instskip(NEXT) | instid1(VALU_DEP_3)
	v_add3_u32 v48, v45, v48, 0x7fff
	v_add3_u32 v49, v44, v49, 0x7fff
	s_delay_alu instid0(VALU_DEP_3) | instskip(SKIP_1) | instid1(VALU_DEP_4)
	v_cndmask_b32_e64 v46, 0x7fc00000, |v42|, vcc_lo
	v_cmp_o_f32_e32 vcc_lo, v47, v47
	v_and_b32_e32 v48, 0xffff0000, v48
	s_delay_alu instid0(VALU_DEP_4) | instskip(SKIP_4) | instid1(VALU_DEP_4)
	v_and_b32_e32 v49, 0xffff0000, v49
	v_cndmask_b32_e64 v47, 0x7fc00000, |v43|, vcc_lo
	v_add_co_u32 v42, vcc_lo, s8, v13
	v_add_co_ci_u32_e32 v43, vcc_lo, s9, v14, vcc_lo
	v_cmp_o_f32_e32 vcc_lo, v44, v44
	v_max3_f32 v4, v4, v46, v47
	v_cndmask_b32_e64 v44, 0x7fc00000, |v49|, vcc_lo
	v_cmp_o_f32_e32 vcc_lo, v45, v45
	v_cndmask_b32_e64 v45, 0x7fc00000, |v48|, vcc_lo
	s_delay_alu instid0(VALU_DEP_1)
	v_max3_f32 v4, v4, v44, v45
	v_cmpx_lt_i64_e64 v[42:43], v[9:10]
	s_cbranch_execz .LBB66_19
; %bb.23:                               ;   in Loop: Header=BB66_21 Depth=1
	v_add_co_u32 v42, vcc_lo, v19, v11
	v_add_co_ci_u32_e32 v43, vcc_lo, v20, v12, vcc_lo
	v_add_co_u32 v44, vcc_lo, v27, v11
	v_add_co_ci_u32_e32 v45, vcc_lo, v29, v12, vcc_lo
	;; [unrolled: 2-line block ×3, first 2 shown]
	global_load_b64 v[42:43], v[42:43], off
	global_load_b64 v[44:45], v[44:45], off
	;; [unrolled: 1-line block ×3, first 2 shown]
	s_waitcnt vmcnt(2)
	v_lshlrev_b32_e32 v50, 16, v42
	s_waitcnt vmcnt(0)
	v_lshlrev_b32_e32 v51, 16, v46
	v_and_b32_e32 v52, 0xffff0000, v46
	v_alignbit_b32 v46, v47, v46, 16
	v_and_b32_e32 v47, 0xffff0000, v47
	v_and_b32_e32 v48, 0xffff0000, v42
	v_alignbit_b32 v42, v43, v42, 16
	v_and_b32_e32 v43, 0xffff0000, v43
	s_delay_alu instid0(VALU_DEP_1) | instskip(NEXT) | instid1(VALU_DEP_4)
	v_dual_add_f32 v43, v43, v47 :: v_dual_and_b32 v46, 0xffff0000, v46
	v_add_f32_e32 v48, v48, v52
	v_lshlrev_b32_e32 v47, 16, v44
	s_delay_alu instid0(VALU_DEP_3) | instskip(NEXT) | instid1(VALU_DEP_3)
	v_mul_f32_e32 v43, v28, v43
	v_mul_f32_e32 v48, v28, v48
	v_dual_add_f32 v50, v50, v51 :: v_dual_and_b32 v49, 0xffff0000, v44
	v_alignbit_b32 v44, v45, v44, 16
	v_and_b32_e32 v45, 0xffff0000, v45
	v_and_b32_e32 v42, 0xffff0000, v42
	v_bfe_u32 v51, v48, 16, 1
	v_mul_f32_e32 v50, v28, v50
	v_bfe_u32 v52, v43, 16, 1
	v_and_b32_e32 v44, 0xffff0000, v44
	v_add_f32_e32 v42, v42, v46
	v_add3_u32 v51, v48, v51, 0x7fff
	v_bfe_u32 v46, v50, 16, 1
	v_cmp_o_f32_e32 vcc_lo, v50, v50
	v_add3_u32 v52, v43, v52, 0x7fff
	s_delay_alu instid0(VALU_DEP_4) | instskip(NEXT) | instid1(VALU_DEP_4)
	v_dual_mul_f32 v42, v28, v42 :: v_dual_and_b32 v51, 0xffff0000, v51
	v_add3_u32 v46, v50, v46, 0x7fff
	s_delay_alu instid0(VALU_DEP_3) | instskip(NEXT) | instid1(VALU_DEP_3)
	v_and_b32_e32 v52, 0xffff0000, v52
	v_bfe_u32 v53, v42, 16, 1
	s_delay_alu instid0(VALU_DEP_3) | instskip(NEXT) | instid1(VALU_DEP_2)
	v_and_b32_e32 v46, 0xffff0000, v46
	v_add3_u32 v53, v42, v53, 0x7fff
	s_delay_alu instid0(VALU_DEP_2) | instskip(SKIP_1) | instid1(VALU_DEP_3)
	v_cndmask_b32_e32 v46, 0x7fc00000, v46, vcc_lo
	v_cmp_o_f32_e32 vcc_lo, v48, v48
	v_and_b32_e32 v50, 0xffff0000, v53
	s_delay_alu instid0(VALU_DEP_3) | instskip(SKIP_2) | instid1(VALU_DEP_2)
	v_mul_f32_e32 v46, v46, v47
	v_cndmask_b32_e32 v48, 0x7fc00000, v51, vcc_lo
	v_cmp_o_f32_e32 vcc_lo, v43, v43
	v_mul_f32_e32 v47, v48, v49
	v_cndmask_b32_e32 v43, 0x7fc00000, v52, vcc_lo
	v_cmp_o_f32_e32 vcc_lo, v42, v42
	v_bfe_u32 v48, v46, 16, 1
	s_delay_alu instid0(VALU_DEP_3) | instskip(SKIP_2) | instid1(VALU_DEP_2)
	v_dual_mul_f32 v43, v43, v45 :: v_dual_cndmask_b32 v42, 0x7fc00000, v50
	v_bfe_u32 v45, v47, 16, 1
	v_cmp_o_f32_e32 vcc_lo, v46, v46
	v_add3_u32 v45, v47, v45, 0x7fff
	s_delay_alu instid0(VALU_DEP_4) | instskip(SKIP_2) | instid1(VALU_DEP_4)
	v_mul_f32_e32 v42, v42, v44
	v_add3_u32 v44, v46, v48, 0x7fff
	v_bfe_u32 v48, v43, 16, 1
	v_and_b32_e32 v45, 0xffff0000, v45
	s_delay_alu instid0(VALU_DEP_4) | instskip(NEXT) | instid1(VALU_DEP_4)
	v_bfe_u32 v49, v42, 16, 1
	v_and_b32_e32 v44, 0xffff0000, v44
	s_delay_alu instid0(VALU_DEP_4) | instskip(NEXT) | instid1(VALU_DEP_3)
	v_add3_u32 v48, v43, v48, 0x7fff
	v_add3_u32 v49, v42, v49, 0x7fff
	s_delay_alu instid0(VALU_DEP_3) | instskip(SKIP_1) | instid1(VALU_DEP_4)
	v_cndmask_b32_e64 v44, 0x7fc00000, |v44|, vcc_lo
	v_cmp_o_f32_e32 vcc_lo, v47, v47
	v_and_b32_e32 v47, 0xffff0000, v48
	s_delay_alu instid0(VALU_DEP_4) | instskip(SKIP_4) | instid1(VALU_DEP_4)
	v_and_b32_e32 v46, 0xffff0000, v49
	v_cndmask_b32_e64 v45, 0x7fc00000, |v45|, vcc_lo
	v_add_co_u32 v13, vcc_lo, s26, v13
	v_add_co_ci_u32_e32 v14, vcc_lo, s15, v14, vcc_lo
	v_cmp_o_f32_e32 vcc_lo, v42, v42
	v_max3_f32 v4, v4, v44, v45
	v_cndmask_b32_e64 v42, 0x7fc00000, |v46|, vcc_lo
	v_cmp_o_f32_e32 vcc_lo, v43, v43
	v_cndmask_b32_e64 v43, 0x7fc00000, |v47|, vcc_lo
	v_cmp_lt_i64_e32 vcc_lo, v[13:14], v[9:10]
                                        ; implicit-def: $vgpr13_vgpr14
	s_delay_alu instid0(VALU_DEP_2) | instskip(SKIP_1) | instid1(SALU_CYCLE_1)
	v_max3_f32 v4, v4, v42, v43
	s_and_saveexec_b32 s38, vcc_lo
	s_xor_b32 s38, exec_lo, s38
	s_cbranch_execz .LBB66_18
; %bb.24:                               ;   in Loop: Header=BB66_21 Depth=1
	v_add_co_u32 v13, vcc_lo, v17, v11
	v_add_co_ci_u32_e32 v14, vcc_lo, v18, v12, vcc_lo
	v_add_co_u32 v42, vcc_lo, v25, v11
	v_add_co_ci_u32_e32 v43, vcc_lo, v26, v12, vcc_lo
	;; [unrolled: 2-line block ×3, first 2 shown]
	global_load_b64 v[13:14], v[13:14], off
	global_load_b64 v[42:43], v[42:43], off
	global_load_b64 v[44:45], v[44:45], off
	v_add_co_u32 v17, vcc_lo, v17, s24
	v_add_co_ci_u32_e32 v18, vcc_lo, s25, v18, vcc_lo
	v_add_co_u32 v19, vcc_lo, v19, s24
	v_add_co_ci_u32_e32 v20, vcc_lo, s25, v20, vcc_lo
	;; [unrolled: 2-line block ×10, first 2 shown]
	s_add_u32 s3, s22, s22
	s_addc_u32 s39, s23, s23
	s_add_u32 s3, s3, s22
	s_addc_u32 s39, s39, s23
	s_waitcnt vmcnt(2)
	v_lshlrev_b32_e32 v48, 16, v13
	s_waitcnt vmcnt(0)
	v_and_b32_e32 v50, 0xffff0000, v44
	v_lshlrev_b32_e32 v49, 16, v44
	v_alignbit_b32 v44, v45, v44, 16
	s_delay_alu instid0(VALU_DEP_1) | instskip(SKIP_2) | instid1(VALU_DEP_1)
	v_and_b32_e32 v44, 0xffff0000, v44
	v_and_b32_e32 v46, 0xffff0000, v13
	v_alignbit_b32 v13, v14, v13, 16
	v_and_b32_e32 v13, 0xffff0000, v13
	s_delay_alu instid0(VALU_DEP_1) | instskip(SKIP_1) | instid1(VALU_DEP_2)
	v_dual_add_f32 v13, v13, v44 :: v_dual_add_f32 v46, v46, v50
	v_dual_add_f32 v48, v48, v49 :: v_dual_and_b32 v47, 0xffff0000, v42
	v_dual_mul_f32 v13, v28, v13 :: v_dual_and_b32 v14, 0xffff0000, v14
	s_delay_alu instid0(VALU_DEP_3) | instskip(NEXT) | instid1(VALU_DEP_3)
	v_dual_mul_f32 v46, v28, v46 :: v_dual_and_b32 v45, 0xffff0000, v45
	v_mul_f32_e32 v48, v28, v48
	s_delay_alu instid0(VALU_DEP_3) | instskip(NEXT) | instid1(VALU_DEP_3)
	v_bfe_u32 v51, v13, 16, 1
	v_dual_add_f32 v14, v14, v45 :: v_dual_lshlrev_b32 v45, 16, v42
	s_delay_alu instid0(VALU_DEP_3) | instskip(SKIP_2) | instid1(VALU_DEP_4)
	v_bfe_u32 v44, v48, 16, 1
	v_bfe_u32 v49, v46, 16, 1
	v_alignbit_b32 v42, v43, v42, 16
	v_dual_mul_f32 v14, v28, v14 :: v_dual_and_b32 v43, 0xffff0000, v43
	s_delay_alu instid0(VALU_DEP_4) | instskip(NEXT) | instid1(VALU_DEP_4)
	v_add3_u32 v44, v48, v44, 0x7fff
	v_add3_u32 v49, v46, v49, 0x7fff
	v_cmp_o_f32_e32 vcc_lo, v48, v48
	s_delay_alu instid0(VALU_DEP_4)
	v_bfe_u32 v50, v14, 16, 1
	v_and_b32_e32 v42, 0xffff0000, v42
	v_and_b32_e32 v44, 0xffff0000, v44
	;; [unrolled: 1-line block ×3, first 2 shown]
	v_add3_u32 v51, v13, v51, 0x7fff
	v_add3_u32 v50, v14, v50, 0x7fff
	s_delay_alu instid0(VALU_DEP_4) | instskip(SKIP_1) | instid1(VALU_DEP_4)
	v_cndmask_b32_e32 v44, 0x7fc00000, v44, vcc_lo
	v_cmp_o_f32_e32 vcc_lo, v46, v46
	v_and_b32_e32 v48, 0xffff0000, v51
	s_delay_alu instid0(VALU_DEP_4) | instskip(SKIP_2) | instid1(VALU_DEP_3)
	v_and_b32_e32 v50, 0xffff0000, v50
	v_cndmask_b32_e32 v46, 0x7fc00000, v49, vcc_lo
	v_cmp_o_f32_e32 vcc_lo, v14, v14
	v_cndmask_b32_e32 v14, 0x7fc00000, v50, vcc_lo
	v_cmp_o_f32_e32 vcc_lo, v13, v13
	s_delay_alu instid0(VALU_DEP_4) | instskip(NEXT) | instid1(VALU_DEP_3)
	v_dual_mul_f32 v44, v44, v45 :: v_dual_mul_f32 v45, v46, v47
	v_mul_f32_e32 v43, v14, v43
	v_cndmask_b32_e32 v13, 0x7fc00000, v48, vcc_lo
	s_delay_alu instid0(VALU_DEP_3) | instskip(NEXT) | instid1(VALU_DEP_4)
	v_bfe_u32 v14, v44, 16, 1
	v_bfe_u32 v46, v45, 16, 1
	v_cmp_o_f32_e32 vcc_lo, v44, v44
	s_delay_alu instid0(VALU_DEP_4) | instskip(NEXT) | instid1(VALU_DEP_4)
	v_mul_f32_e32 v42, v13, v42
	v_add3_u32 v14, v44, v14, 0x7fff
	v_bfe_u32 v13, v43, 16, 1
	v_add3_u32 v46, v45, v46, 0x7fff
	s_delay_alu instid0(VALU_DEP_4) | instskip(NEXT) | instid1(VALU_DEP_4)
	v_bfe_u32 v47, v42, 16, 1
	v_and_b32_e32 v14, 0xffff0000, v14
	s_delay_alu instid0(VALU_DEP_4) | instskip(NEXT) | instid1(VALU_DEP_4)
	v_add3_u32 v13, v43, v13, 0x7fff
	v_and_b32_e32 v46, 0xffff0000, v46
	s_delay_alu instid0(VALU_DEP_4) | instskip(NEXT) | instid1(VALU_DEP_4)
	v_add3_u32 v47, v42, v47, 0x7fff
	v_cndmask_b32_e64 v44, 0x7fc00000, |v14|, vcc_lo
	v_cmp_o_f32_e32 vcc_lo, v45, v45
	v_and_b32_e32 v48, 0xffff0000, v13
	v_cndmask_b32_e64 v45, 0x7fc00000, |v46|, vcc_lo
	v_add_co_u32 v13, vcc_lo, s3, v15
	v_add_co_ci_u32_e32 v14, vcc_lo, s39, v16, vcc_lo
	v_cmp_o_f32_e32 vcc_lo, v43, v43
	v_and_b32_e32 v15, 0xffff0000, v47
	v_max3_f32 v4, v4, v44, v45
	v_add_co_u32 v40, s3, v40, s24
	v_cndmask_b32_e64 v16, 0x7fc00000, |v48|, vcc_lo
	v_cmp_o_f32_e32 vcc_lo, v42, v42
	v_add_co_ci_u32_e64 v41, s3, s25, v41, s3
	v_cndmask_b32_e64 v15, 0x7fc00000, |v15|, vcc_lo
	v_add_co_u32 v38, vcc_lo, v38, s24
	v_add_co_ci_u32_e32 v39, vcc_lo, s25, v39, vcc_lo
	v_cmp_ge_i64_e32 vcc_lo, v[13:14], v[9:10]
	s_delay_alu instid0(VALU_DEP_4)
	v_max3_f32 v4, v4, v15, v16
	s_or_not1_b32 s3, vcc_lo, exec_lo
	s_branch .LBB66_18
.LBB66_25:
	s_or_b32 exec_lo, exec_lo, s27
.LBB66_26:
	s_delay_alu instid0(SALU_CYCLE_1)
	s_or_b32 exec_lo, exec_lo, s13
	s_lshr_b32 s15, s35, 5
	v_lshlrev_b32_e32 v29, 2, v0
	v_cvt_f32_u32_e32 v9, s15
	s_sub_i32 s8, 0, s15
	s_add_i32 s9, s12, s15
	s_delay_alu instid0(SALU_CYCLE_1) | instskip(NEXT) | instid1(VALU_DEP_1)
	s_add_i32 s9, s9, -1
	v_rcp_iflag_f32_e32 v9, v9
	s_abs_i32 s13, s9
	s_ashr_i32 s9, s9, 31
	ds_store_b32 v29, v4
	s_waitcnt lgkmcnt(0)
	s_barrier
	buffer_gl0_inv
	v_mul_f32_e32 v9, 0x4f7ffffe, v9
	s_delay_alu instid0(VALU_DEP_1) | instskip(NEXT) | instid1(VALU_DEP_1)
	v_cvt_u32_f32_e32 v9, v9
	v_readfirstlane_b32 s3, v9
	s_delay_alu instid0(VALU_DEP_1) | instskip(NEXT) | instid1(SALU_CYCLE_1)
	s_mul_i32 s8, s8, s3
	s_mul_hi_u32 s8, s3, s8
	s_delay_alu instid0(SALU_CYCLE_1) | instskip(NEXT) | instid1(SALU_CYCLE_1)
	s_add_i32 s3, s3, s8
	s_mul_hi_u32 s3, s13, s3
	s_delay_alu instid0(SALU_CYCLE_1) | instskip(NEXT) | instid1(SALU_CYCLE_1)
	s_mul_i32 s8, s3, s15
	s_sub_i32 s8, s13, s8
	s_add_i32 s13, s3, 1
	s_sub_i32 s24, s8, s15
	s_cmp_ge_u32 s8, s15
	s_cselect_b32 s3, s13, s3
	s_cselect_b32 s8, s24, s8
	s_add_i32 s13, s3, 1
	s_cmp_ge_u32 s8, s15
	s_cselect_b32 s3, s13, s3
	s_delay_alu instid0(SALU_CYCLE_1) | instskip(NEXT) | instid1(SALU_CYCLE_1)
	s_xor_b32 s3, s3, s9
	s_sub_i32 s8, s3, s9
	s_delay_alu instid0(SALU_CYCLE_1) | instskip(NEXT) | instid1(SALU_CYCLE_1)
	s_ashr_i32 s9, s8, 31
	v_cmp_lt_i64_e64 s3, s[8:9], 1
	s_delay_alu instid0(VALU_DEP_1)
	s_and_b32 vcc_lo, exec_lo, s3
	s_cbranch_vccnz .LBB66_46
; %bb.27:
	v_lshrrev_b32_e32 v9, 5, v0
	v_and_b32_e32 v4, 31, v0
	s_ashr_i32 s13, s12, 31
	s_mov_b64 s[24:25], 0
	s_mov_b64 s[26:27], src_shared_base
	v_mul_lo_u32 v19, s22, v9
	v_add_co_u32 v11, s3, v4, 16
	s_delay_alu instid0(VALU_DEP_1) | instskip(SKIP_1) | instid1(VALU_DEP_1)
	v_add_co_ci_u32_e64 v12, null, 0, 0, s3
	v_add_co_u32 v13, s3, v4, 8
	v_add_co_ci_u32_e64 v14, null, 0, 0, s3
	v_add_co_u32 v15, s3, v4, 4
	v_dual_mov_b32 v10, 0 :: v_dual_lshlrev_b32 v21, 2, v19
	v_lshlrev_b32_e32 v22, 2, v4
	v_add_co_ci_u32_e64 v16, null, 0, 0, s3
	v_add_co_u32 v17, s3, v4, 2
	s_delay_alu instid0(VALU_DEP_1) | instskip(SKIP_1) | instid1(VALU_DEP_1)
	v_add_co_ci_u32_e64 v18, null, 0, 0, s3
	v_add_co_u32 v19, s3, v4, 1
	v_add_co_ci_u32_e64 v20, null, 0, 0, s3
	v_add3_u32 v30, v21, v22, 0x80
	s_mul_i32 s3, s22, s15
	s_delay_alu instid0(SALU_CYCLE_1)
	s_lshl_b32 s28, s3, 2
	s_branch .LBB66_30
.LBB66_28:                              ;   in Loop: Header=BB66_30 Depth=1
	s_or_b32 exec_lo, exec_lo, s3
	v_mov_b32_e32 v22, s27
	flat_load_b32 v21, v[21:22] glc dlc
	s_waitcnt vmcnt(0)
.LBB66_29:                              ;   in Loop: Header=BB66_30 Depth=1
	s_or_b32 exec_lo, exec_lo, s26
	s_add_u32 s24, s24, 1
	v_add_nc_u32_e32 v30, s28, v30
	s_addc_u32 s25, s25, 0
	s_delay_alu instid0(SALU_CYCLE_1)
	s_cmp_eq_u64 s[24:25], s[8:9]
	s_cbranch_scc1 .LBB66_46
.LBB66_30:                              ; =>This Loop Header: Depth=1
                                        ;     Child Loop BB66_33 Depth 2
	s_waitcnt lgkmcnt(0)
	v_mad_u64_u32 v[21:22], null, s24, s15, v[9:10]
	s_mov_b32 s26, exec_lo
	s_delay_alu instid0(VALU_DEP_1) | instskip(NEXT) | instid1(VALU_DEP_1)
	v_mad_u64_u32 v[23:24], null, s25, s15, v[22:23]
	v_mov_b32_e32 v22, v23
	s_delay_alu instid0(VALU_DEP_1)
	v_cmpx_gt_i64_e64 s[12:13], v[21:22]
	s_cbranch_execz .LBB66_29
; %bb.31:                               ;   in Loop: Header=BB66_30 Depth=1
	v_mul_lo_u32 v24, v22, s22
	v_mul_lo_u32 v25, v21, s23
	v_mad_u64_u32 v[22:23], null, v21, s22, 0
	s_delay_alu instid0(VALU_DEP_1) | instskip(NEXT) | instid1(VALU_DEP_2)
	v_add3_u32 v23, v23, v25, v24
	v_add_co_u32 v24, vcc_lo, v22, s22
	v_add_co_u32 v31, s3, v22, v4
	s_delay_alu instid0(VALU_DEP_3) | instskip(SKIP_2) | instid1(VALU_DEP_2)
	v_add_co_ci_u32_e32 v25, vcc_lo, s23, v23, vcc_lo
	v_add_co_ci_u32_e64 v21, s3, 0, v23, s3
	s_mov_b32 s3, exec_lo
	v_cmp_gt_i64_e32 vcc_lo, s[20:21], v[24:25]
	v_cndmask_b32_e32 v25, s21, v25, vcc_lo
	v_cndmask_b32_e32 v24, s20, v24, vcc_lo
	v_add_co_u32 v26, vcc_lo, v31, 32
	v_add_co_ci_u32_e32 v27, vcc_lo, 0, v21, vcc_lo
	v_lshlrev_b32_e32 v21, 2, v31
	s_delay_alu instid0(VALU_DEP_2)
	v_cmpx_lt_i64_e64 v[26:27], v[24:25]
	s_cbranch_execz .LBB66_34
; %bb.32:                               ;   in Loop: Header=BB66_30 Depth=1
	ds_load_b32 v33, v21
	v_mov_b32_e32 v32, v30
	s_mov_b32 s29, 0
.LBB66_33:                              ;   Parent Loop BB66_30 Depth=1
                                        ; =>  This Inner Loop Header: Depth=2
	ds_load_b32 v34, v32
	v_add_co_u32 v26, vcc_lo, v26, 32
	v_add_co_ci_u32_e32 v27, vcc_lo, 0, v27, vcc_lo
	s_waitcnt lgkmcnt(1)
	v_dual_max_f32 v33, v33, v33 :: v_dual_add_nc_u32 v32, 0x80, v32
	s_delay_alu instid0(VALU_DEP_2) | instskip(SKIP_3) | instid1(VALU_DEP_1)
	v_cmp_ge_i64_e32 vcc_lo, v[26:27], v[24:25]
	s_or_b32 s29, vcc_lo, s29
	s_waitcnt lgkmcnt(0)
	v_max_f32_e32 v34, v34, v34
	v_max_f32_e32 v33, v33, v34
	ds_store_b32 v21, v33
	s_and_not1_b32 exec_lo, exec_lo, s29
	s_cbranch_execnz .LBB66_33
.LBB66_34:                              ;   in Loop: Header=BB66_30 Depth=1
	s_or_b32 exec_lo, exec_lo, s3
	v_sub_co_u32 v22, vcc_lo, v24, v22
	v_sub_co_ci_u32_e32 v23, vcc_lo, v25, v23, vcc_lo
	s_mov_b32 s3, exec_lo
	s_delay_alu instid0(VALU_DEP_1) | instskip(SKIP_1) | instid1(VALU_DEP_1)
	v_cmp_gt_i64_e32 vcc_lo, 32, v[22:23]
	v_dual_cndmask_b32 v24, 0, v23 :: v_dual_cndmask_b32 v23, 32, v22
	v_cmpx_lt_i64_e64 v[11:12], v[23:24]
	s_cbranch_execz .LBB66_36
; %bb.35:                               ;   in Loop: Header=BB66_30 Depth=1
	v_dual_mov_b32 v22, s27 :: v_dual_add_nc_u32 v25, 64, v21
	v_mov_b32_e32 v26, s27
	flat_load_b32 v27, v[21:22] glc dlc
	s_waitcnt vmcnt(0)
	flat_load_b32 v25, v[25:26] glc dlc
	s_waitcnt vmcnt(0) lgkmcnt(0)
	v_dual_max_f32 v26, v27, v27 :: v_dual_max_f32 v25, v25, v25
	s_delay_alu instid0(VALU_DEP_1)
	v_max_f32_e32 v25, v26, v25
	flat_store_b32 v[21:22], v25 dlc
	s_waitcnt_vscnt null, 0x0
.LBB66_36:                              ;   in Loop: Header=BB66_30 Depth=1
	s_or_b32 exec_lo, exec_lo, s3
	s_delay_alu instid0(SALU_CYCLE_1)
	s_mov_b32 s3, exec_lo
	v_cmpx_lt_i64_e64 v[13:14], v[23:24]
	s_cbranch_execz .LBB66_38
; %bb.37:                               ;   in Loop: Header=BB66_30 Depth=1
	v_dual_mov_b32 v22, s27 :: v_dual_add_nc_u32 v25, 32, v21
	v_mov_b32_e32 v26, s27
	flat_load_b32 v27, v[21:22] glc dlc
	s_waitcnt vmcnt(0)
	flat_load_b32 v25, v[25:26] glc dlc
	s_waitcnt vmcnt(0) lgkmcnt(0)
	v_dual_max_f32 v26, v27, v27 :: v_dual_max_f32 v25, v25, v25
	s_delay_alu instid0(VALU_DEP_1)
	v_max_f32_e32 v25, v26, v25
	flat_store_b32 v[21:22], v25 dlc
	s_waitcnt_vscnt null, 0x0
.LBB66_38:                              ;   in Loop: Header=BB66_30 Depth=1
	s_or_b32 exec_lo, exec_lo, s3
	s_delay_alu instid0(SALU_CYCLE_1)
	s_mov_b32 s3, exec_lo
	v_cmpx_ge_i64_e64 v[15:16], v[23:24]
	s_xor_b32 s3, exec_lo, s3
; %bb.39:                               ;   in Loop: Header=BB66_30 Depth=1
                                        ; implicit-def: $vgpr21
; %bb.40:                               ;   in Loop: Header=BB66_30 Depth=1
	s_delay_alu instid0(SALU_CYCLE_1)
	s_and_not1_saveexec_b32 s3, s3
	s_cbranch_execz .LBB66_42
; %bb.41:                               ;   in Loop: Header=BB66_30 Depth=1
	v_dual_mov_b32 v22, s27 :: v_dual_add_nc_u32 v25, 16, v21
	v_mov_b32_e32 v26, s27
	flat_load_b32 v27, v[21:22] glc dlc
	s_waitcnt vmcnt(0)
	flat_load_b32 v25, v[25:26] glc dlc
	s_waitcnt vmcnt(0) lgkmcnt(0)
	v_dual_max_f32 v26, v27, v27 :: v_dual_max_f32 v25, v25, v25
	s_delay_alu instid0(VALU_DEP_1)
	v_max_f32_e32 v25, v26, v25
	flat_store_b32 v[21:22], v25 dlc
	s_waitcnt_vscnt null, 0x0
.LBB66_42:                              ;   in Loop: Header=BB66_30 Depth=1
	s_or_b32 exec_lo, exec_lo, s3
	v_lshlrev_b32_e32 v21, 2, v31
	s_mov_b32 s3, exec_lo
	v_cmpx_lt_i64_e64 v[17:18], v[23:24]
	s_cbranch_execz .LBB66_44
; %bb.43:                               ;   in Loop: Header=BB66_30 Depth=1
	s_delay_alu instid0(VALU_DEP_2)
	v_dual_mov_b32 v22, s27 :: v_dual_add_nc_u32 v25, 8, v21
	v_mov_b32_e32 v26, s27
	flat_load_b32 v27, v[21:22] glc dlc
	s_waitcnt vmcnt(0)
	flat_load_b32 v25, v[25:26] glc dlc
	s_waitcnt vmcnt(0) lgkmcnt(0)
	v_dual_max_f32 v26, v27, v27 :: v_dual_max_f32 v25, v25, v25
	s_delay_alu instid0(VALU_DEP_1)
	v_max_f32_e32 v25, v26, v25
	flat_store_b32 v[21:22], v25 dlc
	s_waitcnt_vscnt null, 0x0
.LBB66_44:                              ;   in Loop: Header=BB66_30 Depth=1
	s_or_b32 exec_lo, exec_lo, s3
	s_delay_alu instid0(SALU_CYCLE_1)
	s_mov_b32 s3, exec_lo
	v_cmpx_lt_i64_e64 v[19:20], v[23:24]
	s_cbranch_execz .LBB66_28
; %bb.45:                               ;   in Loop: Header=BB66_30 Depth=1
	v_dual_mov_b32 v22, s27 :: v_dual_add_nc_u32 v23, 4, v21
	v_mov_b32_e32 v24, s27
	flat_load_b32 v25, v[21:22] glc dlc
	s_waitcnt vmcnt(0)
	flat_load_b32 v23, v[23:24] glc dlc
	s_waitcnt vmcnt(0) lgkmcnt(0)
	v_dual_max_f32 v24, v25, v25 :: v_dual_max_f32 v23, v23, v23
	s_delay_alu instid0(VALU_DEP_1)
	v_max_f32_e32 v23, v24, v23
	flat_store_b32 v[21:22], v23 dlc
	s_waitcnt_vscnt null, 0x0
	s_branch .LBB66_28
.LBB66_46:
	s_load_b64 s[8:9], s[0:1], 0x40
	v_cmp_lt_i64_e32 vcc_lo, v[7:8], v[5:6]
	v_cmp_eq_u32_e64 s3, 0, v3
	s_waitcnt lgkmcnt(0)
	s_barrier
	buffer_gl0_inv
	s_and_b32 s12, s3, vcc_lo
	s_delay_alu instid0(SALU_CYCLE_1)
	s_and_saveexec_b32 s3, s12
	s_cbranch_execz .LBB66_53
; %bb.47:
	s_load_b64 s[0:1], s[0:1], 0x20
	ds_load_b32 v5, v29
	s_waitcnt lgkmcnt(0)
	s_cmp_eq_u64 s[0:1], 0
	s_cbranch_scc1 .LBB66_49
; %bb.48:
	s_load_b32 s0, s[0:1], 0x0
	v_max_f32_e32 v3, v5, v5
	s_waitcnt lgkmcnt(0)
	v_max_f32_e64 v4, s0, s0
	s_delay_alu instid0(VALU_DEP_1)
	v_min_f32_e32 v5, v3, v4
.LBB66_49:
	s_add_u32 s0, s8, s36
	s_addc_u32 s1, s9, 0
	s_add_u32 s12, s0, -1
	s_addc_u32 s13, s1, -1
	s_delay_alu instid0(SALU_CYCLE_1) | instskip(SKIP_1) | instid1(SALU_CYCLE_1)
	s_or_b64 s[20:21], s[12:13], s[8:9]
	s_mov_b32 s20, 0
	s_cmp_lg_u64 s[20:21], 0
	s_cbranch_scc0 .LBB66_162
; %bb.50:
	s_ashr_i32 s0, s9, 31
	s_delay_alu instid0(SALU_CYCLE_1) | instskip(SKIP_2) | instid1(SALU_CYCLE_1)
	s_add_u32 s22, s8, s0
	s_mov_b32 s1, s0
	s_addc_u32 s23, s9, s0
	s_xor_b64 s[0:1], s[22:23], s[0:1]
	s_delay_alu instid0(SALU_CYCLE_1) | instskip(SKIP_3) | instid1(VALU_DEP_1)
	v_cvt_f32_u32_e32 v3, s0
	v_cvt_f32_u32_e32 v4, s1
	s_sub_u32 s22, 0, s0
	s_subb_u32 s23, 0, s1
	v_fmamk_f32 v3, v4, 0x4f800000, v3
	s_delay_alu instid0(VALU_DEP_1) | instskip(SKIP_2) | instid1(VALU_DEP_1)
	v_rcp_f32_e32 v3, v3
	s_waitcnt_depctr 0xfff
	v_mul_f32_e32 v3, 0x5f7ffffc, v3
	v_mul_f32_e32 v4, 0x2f800000, v3
	s_delay_alu instid0(VALU_DEP_1) | instskip(NEXT) | instid1(VALU_DEP_1)
	v_trunc_f32_e32 v4, v4
	v_fmamk_f32 v3, v4, 0xcf800000, v3
	v_cvt_u32_f32_e32 v4, v4
	s_delay_alu instid0(VALU_DEP_2) | instskip(NEXT) | instid1(VALU_DEP_2)
	v_cvt_u32_f32_e32 v3, v3
	v_readfirstlane_b32 s15, v4
	s_delay_alu instid0(VALU_DEP_2) | instskip(NEXT) | instid1(VALU_DEP_2)
	v_readfirstlane_b32 s21, v3
	s_mul_i32 s24, s22, s15
	s_delay_alu instid0(VALU_DEP_1)
	s_mul_hi_u32 s26, s22, s21
	s_mul_i32 s25, s23, s21
	s_add_i32 s24, s26, s24
	s_mul_i32 s27, s22, s21
	s_add_i32 s24, s24, s25
	s_mul_hi_u32 s26, s21, s27
	s_mul_hi_u32 s28, s15, s27
	s_mul_i32 s25, s15, s27
	s_mul_hi_u32 s27, s21, s24
	s_mul_i32 s21, s21, s24
	s_mul_hi_u32 s29, s15, s24
	s_add_u32 s21, s26, s21
	s_addc_u32 s26, 0, s27
	s_add_u32 s21, s21, s25
	s_mul_i32 s24, s15, s24
	s_addc_u32 s21, s26, s28
	s_addc_u32 s25, s29, 0
	s_add_u32 s21, s21, s24
	s_addc_u32 s24, 0, s25
	v_add_co_u32 v3, s21, v3, s21
	s_delay_alu instid0(VALU_DEP_1) | instskip(SKIP_1) | instid1(VALU_DEP_1)
	s_cmp_lg_u32 s21, 0
	s_addc_u32 s15, s15, s24
	v_readfirstlane_b32 s21, v3
	s_mul_i32 s24, s22, s15
	s_delay_alu instid0(VALU_DEP_1)
	s_mul_hi_u32 s25, s22, s21
	s_mul_i32 s23, s23, s21
	s_add_i32 s24, s25, s24
	s_mul_i32 s22, s22, s21
	s_add_i32 s24, s24, s23
	s_mul_hi_u32 s25, s15, s22
	s_mul_i32 s26, s15, s22
	s_mul_hi_u32 s22, s21, s22
	s_mul_hi_u32 s27, s21, s24
	s_mul_i32 s21, s21, s24
	s_mul_hi_u32 s23, s15, s24
	s_add_u32 s21, s22, s21
	s_addc_u32 s22, 0, s27
	s_add_u32 s21, s21, s26
	s_mul_i32 s24, s15, s24
	s_addc_u32 s21, s22, s25
	s_addc_u32 s22, s23, 0
	s_add_u32 s21, s21, s24
	s_addc_u32 s22, 0, s22
	v_add_co_u32 v3, s21, v3, s21
	s_delay_alu instid0(VALU_DEP_1) | instskip(SKIP_2) | instid1(VALU_DEP_1)
	s_cmp_lg_u32 s21, 0
	s_addc_u32 s15, s15, s22
	s_ashr_i32 s22, s13, 31
	v_readfirstlane_b32 s21, v3
	s_add_u32 s24, s12, s22
	s_mov_b32 s23, s22
	s_addc_u32 s25, s13, s22
	s_delay_alu instid0(SALU_CYCLE_1) | instskip(NEXT) | instid1(SALU_CYCLE_1)
	s_xor_b64 s[24:25], s[24:25], s[22:23]
	s_mul_i32 s26, s24, s15
	s_mul_hi_u32 s27, s24, s21
	s_mul_hi_u32 s23, s24, s15
	;; [unrolled: 1-line block ×3, first 2 shown]
	s_mul_i32 s21, s25, s21
	s_add_u32 s26, s27, s26
	s_addc_u32 s23, 0, s23
	s_mul_hi_u32 s28, s25, s15
	s_add_u32 s21, s26, s21
	s_mul_i32 s15, s25, s15
	s_addc_u32 s21, s23, s29
	s_addc_u32 s23, s28, 0
	s_add_u32 s15, s21, s15
	s_addc_u32 s21, 0, s23
	s_mul_hi_u32 s23, s0, s15
	s_mul_i32 s21, s0, s21
	s_mul_i32 s26, s1, s15
	;; [unrolled: 1-line block ×3, first 2 shown]
	s_add_i32 s21, s23, s21
	v_sub_co_u32 v3, s15, s24, s15
	s_add_i32 s21, s21, s26
	s_delay_alu instid0(SALU_CYCLE_1) | instskip(SKIP_1) | instid1(VALU_DEP_1)
	s_sub_i32 s23, s25, s21
	s_cmp_lg_u32 s15, 0
	v_sub_co_u32 v4, s24, v3, s0
	s_subb_u32 s23, s23, s1
	s_cmp_lg_u32 s24, 0
	s_subb_u32 s26, s23, 0
	s_delay_alu instid0(VALU_DEP_1)
	v_cmp_le_u32_e32 vcc_lo, s0, v4
	s_cmp_ge_u32 s26, s1
	s_cselect_b32 s27, -1, 0
	s_cmp_eq_u32 s26, s1
	v_cndmask_b32_e64 v6, 0, -1, vcc_lo
	s_cselect_b32 vcc_lo, -1, 0
	s_cmp_lg_u32 s24, 0
	v_sub_co_u32 v7, s24, v4, s0
	s_subb_u32 s23, s23, s1
	s_cmp_lg_u32 s24, 0
	v_cndmask_b32_e32 v6, s27, v6, vcc_lo
	s_subb_u32 s23, s23, 0
	s_cmp_lg_u32 s15, 0
	v_cmp_le_u32_e32 vcc_lo, s0, v3
	s_subb_u32 s15, s25, s21
	s_delay_alu instid0(SALU_CYCLE_1)
	s_cmp_ge_u32 s15, s1
	v_cndmask_b32_e64 v8, 0, -1, vcc_lo
	s_cselect_b32 s21, -1, 0
	s_cmp_eq_u32 s15, s1
	v_cmp_ne_u32_e32 vcc_lo, 0, v6
	v_mov_b32_e32 v6, s23
	s_cselect_b32 s0, -1, 0
	s_delay_alu instid0(SALU_CYCLE_1) | instskip(SKIP_1) | instid1(VALU_DEP_3)
	v_cndmask_b32_e64 v8, s21, v8, s0
	v_cndmask_b32_e32 v4, v4, v7, vcc_lo
	v_cndmask_b32_e32 v6, s26, v6, vcc_lo
	s_delay_alu instid0(VALU_DEP_3) | instskip(NEXT) | instid1(VALU_DEP_3)
	v_cmp_ne_u32_e32 vcc_lo, 0, v8
	v_cndmask_b32_e32 v3, v3, v4, vcc_lo
	s_delay_alu instid0(VALU_DEP_3) | instskip(NEXT) | instid1(VALU_DEP_2)
	v_cndmask_b32_e32 v6, s15, v6, vcc_lo
	v_xor_b32_e32 v3, s22, v3
	s_delay_alu instid0(VALU_DEP_2) | instskip(NEXT) | instid1(VALU_DEP_2)
	v_xor_b32_e32 v4, s22, v6
	v_sub_co_u32 v3, vcc_lo, v3, s22
	s_delay_alu instid0(VALU_DEP_2)
	v_subrev_co_ci_u32_e32 v4, vcc_lo, s22, v4, vcc_lo
	s_and_not1_b32 vcc_lo, exec_lo, s20
	s_cbranch_vccnz .LBB66_52
.LBB66_51:
	v_cvt_f32_u32_e32 v3, s8
	s_sub_i32 s0, 0, s8
	s_delay_alu instid0(VALU_DEP_1) | instskip(SKIP_2) | instid1(VALU_DEP_1)
	v_rcp_iflag_f32_e32 v3, v3
	s_waitcnt_depctr 0xfff
	v_mul_f32_e32 v3, 0x4f7ffffe, v3
	v_cvt_u32_f32_e32 v3, v3
	s_delay_alu instid0(VALU_DEP_1) | instskip(NEXT) | instid1(VALU_DEP_1)
	v_mul_lo_u32 v4, s0, v3
	v_mul_hi_u32 v4, v3, v4
	s_delay_alu instid0(VALU_DEP_1) | instskip(NEXT) | instid1(VALU_DEP_1)
	v_add_nc_u32_e32 v3, v3, v4
	v_mul_hi_u32 v3, s12, v3
	s_delay_alu instid0(VALU_DEP_1) | instskip(NEXT) | instid1(VALU_DEP_1)
	v_mul_lo_u32 v3, v3, s8
	v_sub_nc_u32_e32 v3, s12, v3
	s_delay_alu instid0(VALU_DEP_1) | instskip(SKIP_1) | instid1(VALU_DEP_2)
	v_subrev_nc_u32_e32 v4, s8, v3
	v_cmp_le_u32_e32 vcc_lo, s8, v3
	v_cndmask_b32_e32 v3, v3, v4, vcc_lo
	s_delay_alu instid0(VALU_DEP_1) | instskip(SKIP_1) | instid1(VALU_DEP_2)
	v_subrev_nc_u32_e32 v4, s8, v3
	v_cmp_le_u32_e32 vcc_lo, s8, v3
	v_dual_cndmask_b32 v3, v3, v4 :: v_dual_mov_b32 v4, 0
.LBB66_52:
	v_div_scale_f32 v6, null, 0x43e00000, 0x43e00000, v5
	v_div_scale_f32 v9, vcc_lo, v5, 0x43e00000, v5
	s_delay_alu instid0(VALU_DEP_3) | instskip(NEXT) | instid1(VALU_DEP_3)
	v_sub_co_u32 v10, s0, s12, v3
	v_rcp_f32_e32 v7, v6
	v_sub_co_ci_u32_e64 v3, s0, s13, v4, s0
	s_lshl_b64 s[0:1], s[16:17], 2
	s_delay_alu instid0(SALU_CYCLE_1) | instskip(NEXT) | instid1(VALU_DEP_1)
	s_add_u32 s0, s0, s6
	v_mul_lo_u32 v11, v3, v1
	s_addc_u32 s1, s1, s7
	s_waitcnt_depctr 0xfff
	v_fma_f32 v8, -v6, v7, 1.0
	s_delay_alu instid0(VALU_DEP_1) | instskip(NEXT) | instid1(VALU_DEP_1)
	v_fmac_f32_e32 v7, v8, v7
	v_mul_f32_e32 v8, v9, v7
	s_delay_alu instid0(VALU_DEP_1) | instskip(NEXT) | instid1(VALU_DEP_1)
	v_fma_f32 v4, -v6, v8, v9
	v_fmac_f32_e32 v8, v4, v7
	v_mul_lo_u32 v4, v10, v2
	v_mad_u64_u32 v[2:3], null, v10, v1, 0
	s_delay_alu instid0(VALU_DEP_3) | instskip(NEXT) | instid1(VALU_DEP_2)
	v_fma_f32 v1, -v6, v8, v9
	v_add3_u32 v3, v3, v4, v11
	s_delay_alu instid0(VALU_DEP_2) | instskip(NEXT) | instid1(VALU_DEP_1)
	v_div_fmas_f32 v1, v1, v7, v8
	v_div_fixup_f32 v4, v1, 0x43e00000, v5
	s_delay_alu instid0(VALU_DEP_3) | instskip(NEXT) | instid1(VALU_DEP_2)
	v_lshlrev_b64 v[1:2], 2, v[2:3]
	v_max_f32_e32 v3, 0x36924925, v4
	s_delay_alu instid0(VALU_DEP_2) | instskip(NEXT) | instid1(VALU_DEP_3)
	v_add_co_u32 v1, vcc_lo, s0, v1
	v_add_co_ci_u32_e32 v2, vcc_lo, s1, v2, vcc_lo
	global_store_b32 v[1:2], v3, off
.LBB66_53:
	s_or_b32 exec_lo, exec_lo, s3
	s_waitcnt_vscnt null, 0x0
	s_barrier
	buffer_gl0_inv
	s_and_saveexec_b32 s0, s2
	s_cbranch_execz .LBB66_161
; %bb.54:
	s_add_u32 s0, s8, s36
	s_addc_u32 s1, s9, 0
	s_add_u32 s2, s0, -1
	s_addc_u32 s3, s1, -1
	s_delay_alu instid0(SALU_CYCLE_1) | instskip(SKIP_1) | instid1(SALU_CYCLE_1)
	s_or_b64 s[12:13], s[2:3], s[8:9]
	s_mov_b32 s12, 0
	s_cmp_lg_u64 s[12:13], 0
	s_cbranch_scc0 .LBB66_163
; %bb.55:
	s_ashr_i32 s0, s9, 31
	s_delay_alu instid0(SALU_CYCLE_1) | instskip(SKIP_2) | instid1(SALU_CYCLE_1)
	s_add_u32 s20, s8, s0
	s_mov_b32 s1, s0
	s_addc_u32 s21, s9, s0
	s_xor_b64 s[0:1], s[20:21], s[0:1]
	s_delay_alu instid0(SALU_CYCLE_1) | instskip(SKIP_3) | instid1(VALU_DEP_1)
	v_cvt_f32_u32_e32 v1, s0
	v_cvt_f32_u32_e32 v2, s1
	s_sub_u32 s15, 0, s0
	s_subb_u32 s20, 0, s1
	v_fmamk_f32 v1, v2, 0x4f800000, v1
	s_delay_alu instid0(VALU_DEP_1) | instskip(SKIP_2) | instid1(VALU_DEP_1)
	v_rcp_f32_e32 v1, v1
	s_waitcnt_depctr 0xfff
	v_mul_f32_e32 v1, 0x5f7ffffc, v1
	v_mul_f32_e32 v2, 0x2f800000, v1
	s_delay_alu instid0(VALU_DEP_1) | instskip(NEXT) | instid1(VALU_DEP_1)
	v_trunc_f32_e32 v2, v2
	v_fmamk_f32 v1, v2, 0xcf800000, v1
	v_cvt_u32_f32_e32 v2, v2
	s_delay_alu instid0(VALU_DEP_2) | instskip(NEXT) | instid1(VALU_DEP_2)
	v_cvt_u32_f32_e32 v1, v1
	v_readfirstlane_b32 s9, v2
	s_delay_alu instid0(VALU_DEP_2) | instskip(NEXT) | instid1(VALU_DEP_2)
	v_readfirstlane_b32 s13, v1
	s_mul_i32 s21, s15, s9
	s_delay_alu instid0(VALU_DEP_1)
	s_mul_hi_u32 s23, s15, s13
	s_mul_i32 s22, s20, s13
	s_add_i32 s21, s23, s21
	s_mul_i32 s24, s15, s13
	s_add_i32 s21, s21, s22
	s_mul_hi_u32 s23, s13, s24
	s_mul_hi_u32 s25, s9, s24
	s_mul_i32 s22, s9, s24
	s_mul_hi_u32 s24, s13, s21
	s_mul_i32 s13, s13, s21
	s_mul_hi_u32 s26, s9, s21
	s_add_u32 s13, s23, s13
	s_addc_u32 s23, 0, s24
	s_add_u32 s13, s13, s22
	s_mul_i32 s21, s9, s21
	s_addc_u32 s13, s23, s25
	s_addc_u32 s22, s26, 0
	s_add_u32 s13, s13, s21
	s_addc_u32 s21, 0, s22
	v_add_co_u32 v1, s13, v1, s13
	s_delay_alu instid0(VALU_DEP_1) | instskip(SKIP_1) | instid1(VALU_DEP_1)
	s_cmp_lg_u32 s13, 0
	s_addc_u32 s9, s9, s21
	v_readfirstlane_b32 s13, v1
	s_mul_i32 s21, s15, s9
	s_delay_alu instid0(VALU_DEP_1)
	s_mul_hi_u32 s22, s15, s13
	s_mul_i32 s20, s20, s13
	s_add_i32 s21, s22, s21
	s_mul_i32 s15, s15, s13
	s_add_i32 s21, s21, s20
	s_mul_hi_u32 s22, s9, s15
	s_mul_i32 s23, s9, s15
	s_mul_hi_u32 s15, s13, s15
	s_mul_hi_u32 s24, s13, s21
	s_mul_i32 s13, s13, s21
	s_mul_hi_u32 s20, s9, s21
	s_add_u32 s13, s15, s13
	s_addc_u32 s15, 0, s24
	s_add_u32 s13, s13, s23
	s_mul_i32 s21, s9, s21
	s_addc_u32 s13, s15, s22
	s_addc_u32 s15, s20, 0
	s_add_u32 s13, s13, s21
	s_addc_u32 s15, 0, s15
	v_add_co_u32 v1, s13, v1, s13
	s_delay_alu instid0(VALU_DEP_1) | instskip(SKIP_2) | instid1(VALU_DEP_1)
	s_cmp_lg_u32 s13, 0
	s_addc_u32 s9, s9, s15
	s_ashr_i32 s20, s3, 31
	v_readfirstlane_b32 s13, v1
	s_add_u32 s22, s2, s20
	s_mov_b32 s21, s20
	s_addc_u32 s23, s3, s20
	s_delay_alu instid0(SALU_CYCLE_1) | instskip(NEXT) | instid1(SALU_CYCLE_1)
	s_xor_b64 s[22:23], s[22:23], s[20:21]
	s_mul_i32 s21, s22, s9
	s_mul_hi_u32 s24, s22, s13
	s_mul_hi_u32 s15, s22, s9
	;; [unrolled: 1-line block ×3, first 2 shown]
	s_mul_i32 s13, s23, s13
	s_add_u32 s21, s24, s21
	s_addc_u32 s15, 0, s15
	s_mul_hi_u32 s25, s23, s9
	s_add_u32 s13, s21, s13
	s_mul_i32 s9, s23, s9
	s_addc_u32 s13, s15, s26
	s_addc_u32 s15, s25, 0
	s_add_u32 s9, s13, s9
	s_addc_u32 s13, 0, s15
	s_mul_hi_u32 s15, s0, s9
	s_mul_i32 s13, s0, s13
	s_mul_i32 s21, s1, s9
	;; [unrolled: 1-line block ×3, first 2 shown]
	s_add_i32 s13, s15, s13
	v_sub_co_u32 v1, s9, s22, s9
	s_add_i32 s13, s13, s21
	s_delay_alu instid0(SALU_CYCLE_1) | instskip(SKIP_1) | instid1(VALU_DEP_1)
	s_sub_i32 s15, s23, s13
	s_cmp_lg_u32 s9, 0
	v_sub_co_u32 v2, s21, v1, s0
	s_subb_u32 s15, s15, s1
	s_cmp_lg_u32 s21, 0
	s_subb_u32 s22, s15, 0
	s_delay_alu instid0(VALU_DEP_1)
	v_cmp_le_u32_e32 vcc_lo, s0, v2
	s_cmp_ge_u32 s22, s1
	s_cselect_b32 s24, -1, 0
	s_cmp_eq_u32 s22, s1
	v_cndmask_b32_e64 v3, 0, -1, vcc_lo
	s_cselect_b32 vcc_lo, -1, 0
	s_cmp_lg_u32 s21, 0
	v_sub_co_u32 v4, s21, v2, s0
	s_subb_u32 s15, s15, s1
	s_cmp_lg_u32 s21, 0
	v_cndmask_b32_e32 v3, s24, v3, vcc_lo
	s_subb_u32 s15, s15, 0
	s_cmp_lg_u32 s9, 0
	v_cmp_le_u32_e32 vcc_lo, s0, v1
	s_subb_u32 s9, s23, s13
	s_delay_alu instid0(SALU_CYCLE_1)
	s_cmp_ge_u32 s9, s1
	v_cndmask_b32_e64 v5, 0, -1, vcc_lo
	s_cselect_b32 s13, -1, 0
	s_cmp_eq_u32 s9, s1
	v_cmp_ne_u32_e32 vcc_lo, 0, v3
	v_mov_b32_e32 v3, s15
	s_cselect_b32 s0, -1, 0
	s_delay_alu instid0(SALU_CYCLE_1) | instskip(SKIP_1) | instid1(VALU_DEP_3)
	v_cndmask_b32_e64 v5, s13, v5, s0
	v_cndmask_b32_e32 v2, v2, v4, vcc_lo
	v_cndmask_b32_e32 v3, s22, v3, vcc_lo
	s_delay_alu instid0(VALU_DEP_3) | instskip(NEXT) | instid1(VALU_DEP_3)
	v_cmp_ne_u32_e32 vcc_lo, 0, v5
	v_cndmask_b32_e32 v1, v1, v2, vcc_lo
	s_delay_alu instid0(VALU_DEP_3) | instskip(NEXT) | instid1(VALU_DEP_2)
	v_cndmask_b32_e32 v3, s9, v3, vcc_lo
	v_xor_b32_e32 v1, s20, v1
	s_delay_alu instid0(VALU_DEP_2) | instskip(NEXT) | instid1(VALU_DEP_2)
	v_xor_b32_e32 v2, s20, v3
	v_sub_co_u32 v1, vcc_lo, v1, s20
	s_delay_alu instid0(VALU_DEP_2)
	v_subrev_co_ci_u32_e32 v2, vcc_lo, s20, v2, vcc_lo
	s_and_not1_b32 vcc_lo, exec_lo, s12
	s_cbranch_vccnz .LBB66_57
.LBB66_56:
	v_cvt_f32_u32_e32 v1, s8
	s_sub_i32 s0, 0, s8
	s_delay_alu instid0(VALU_DEP_1) | instskip(SKIP_2) | instid1(VALU_DEP_1)
	v_rcp_iflag_f32_e32 v1, v1
	s_waitcnt_depctr 0xfff
	v_mul_f32_e32 v1, 0x4f7ffffe, v1
	v_cvt_u32_f32_e32 v1, v1
	s_delay_alu instid0(VALU_DEP_1) | instskip(NEXT) | instid1(VALU_DEP_1)
	v_mul_lo_u32 v2, s0, v1
	v_mul_hi_u32 v2, v1, v2
	s_delay_alu instid0(VALU_DEP_1) | instskip(NEXT) | instid1(VALU_DEP_1)
	v_add_nc_u32_e32 v1, v1, v2
	v_mul_hi_u32 v1, s2, v1
	s_delay_alu instid0(VALU_DEP_1) | instskip(NEXT) | instid1(VALU_DEP_1)
	v_mul_lo_u32 v1, v1, s8
	v_sub_nc_u32_e32 v1, s2, v1
	s_delay_alu instid0(VALU_DEP_1) | instskip(SKIP_1) | instid1(VALU_DEP_2)
	v_subrev_nc_u32_e32 v2, s8, v1
	v_cmp_le_u32_e32 vcc_lo, s8, v1
	v_cndmask_b32_e32 v1, v1, v2, vcc_lo
	s_delay_alu instid0(VALU_DEP_1) | instskip(SKIP_1) | instid1(VALU_DEP_2)
	v_subrev_nc_u32_e32 v2, s8, v1
	v_cmp_le_u32_e32 vcc_lo, s8, v1
	v_dual_cndmask_b32 v1, v1, v2 :: v_dual_mov_b32 v2, 0
.LBB66_57:
	s_delay_alu instid0(VALU_DEP_1)
	v_sub_co_u32 v7, vcc_lo, s2, v1
	s_add_u32 s0, s4, s18
	s_addc_u32 s1, s5, s19
	s_lshl_b64 s[4:5], s[16:17], 2
	v_sub_co_ci_u32_e32 v8, vcc_lo, s3, v2, vcc_lo
	v_mov_b32_e32 v1, 0
	s_add_u32 s4, s6, s4
	s_addc_u32 s5, s7, s5
	s_mul_i32 s2, s35, 3
	s_lshl_b32 s3, s35, 1
	s_mov_b32 s6, 0
	s_mov_b32 s7, 0x43e00000
	s_add_i32 s8, s35, s35
	s_branch .LBB66_63
.LBB66_58:                              ;   in Loop: Header=BB66_63 Depth=1
	s_or_b32 exec_lo, exec_lo, s16
.LBB66_59:                              ;   in Loop: Header=BB66_63 Depth=1
	s_delay_alu instid0(SALU_CYCLE_1)
	s_or_b32 exec_lo, exec_lo, s15
	v_lshrrev_b32_e32 v5, 24, v14
	v_lshrrev_b32_e32 v11, 24, v12
	v_lshlrev_b32_e32 v12, 24, v3
	v_lshrrev_b32_e32 v9, 24, v9
	v_and_b32_e32 v10, 0xff, v10
	v_and_b32_e32 v5, 0x80, v5
	;; [unrolled: 1-line block ×3, first 2 shown]
	s_delay_alu instid0(VALU_DEP_3) | instskip(NEXT) | instid1(VALU_DEP_3)
	v_and_or_b32 v9, 0x80, v9, v10
	v_and_or_b32 v5, 0xff, v13, v5
	v_and_b32_e32 v13, 0x80000000, v4
	v_lshlrev_b64 v[3:4], 2, v[0:1]
	v_and_or_b32 v6, 0xff, v6, v11
	v_add3_u32 v0, s8, s35, v2
	v_lshlrev_b32_e32 v5, 16, v5
	s_delay_alu instid0(VALU_DEP_3) | instskip(SKIP_1) | instid1(VALU_DEP_3)
	v_lshlrev_b32_e32 v6, 8, v6
	v_add_co_u32 v2, vcc_lo, s0, v3
	v_or3_b32 v5, v13, v12, v5
	v_add_co_ci_u32_e32 v3, vcc_lo, s1, v4, vcc_lo
	v_cmp_le_u32_e32 vcc_lo, s14, v0
	s_delay_alu instid0(VALU_DEP_3)
	v_or3_b32 v4, v5, v6, v9
	s_or_not1_b32 s15, vcc_lo, exec_lo
	global_store_b32 v[2:3], v4, off
.LBB66_60:                              ;   in Loop: Header=BB66_63 Depth=1
	s_or_b32 exec_lo, exec_lo, s13
	s_delay_alu instid0(SALU_CYCLE_1)
	s_or_not1_b32 s13, s15, exec_lo
.LBB66_61:                              ;   in Loop: Header=BB66_63 Depth=1
	s_or_b32 exec_lo, exec_lo, s12
	s_delay_alu instid0(SALU_CYCLE_1)
	s_or_not1_b32 s12, s13, exec_lo
.LBB66_62:                              ;   in Loop: Header=BB66_63 Depth=1
	s_or_b32 exec_lo, exec_lo, s9
	s_delay_alu instid0(SALU_CYCLE_1) | instskip(NEXT) | instid1(SALU_CYCLE_1)
	s_and_b32 s9, exec_lo, s12
	s_or_b32 s6, s9, s6
	s_delay_alu instid0(SALU_CYCLE_1)
	s_and_not1_b32 exec_lo, exec_lo, s6
	s_cbranch_execz .LBB66_161
.LBB66_63:                              ; =>This Inner Loop Header: Depth=1
	v_lshlrev_b64 v[2:3], 3, v[0:1]
	v_bfe_u32 v16, v0, 5, 25
	s_mov_b32 s9, exec_lo
	s_delay_alu instid0(VALU_DEP_1) | instskip(NEXT) | instid1(VALU_DEP_3)
	v_mad_u64_u32 v[11:12], null, v7, v16, 0
	v_add_co_u32 v4, vcc_lo, s30, v2
	s_delay_alu instid0(VALU_DEP_4)
	v_add_co_ci_u32_e32 v5, vcc_lo, s31, v3, vcc_lo
	v_add_co_u32 v14, vcc_lo, s33, v2
	v_add_co_ci_u32_e32 v15, vcc_lo, s34, v3, vcc_lo
	global_load_b64 v[5:6], v[4:5], off
	global_load_b64 v[9:10], v[14:15], off
	v_add_co_u32 v2, vcc_lo, s10, v2
	v_add_co_ci_u32_e32 v3, vcc_lo, s11, v3, vcc_lo
	v_mov_b32_e32 v4, v12
	global_load_b64 v[2:3], v[2:3], off
	s_waitcnt vmcnt(2)
	v_mad_u64_u32 v[12:13], null, v8, v16, v[4:5]
	s_delay_alu instid0(VALU_DEP_1) | instskip(SKIP_2) | instid1(VALU_DEP_2)
	v_lshlrev_b64 v[11:12], 2, v[11:12]
	s_waitcnt vmcnt(0)
	v_lshlrev_b32_e32 v16, 16, v2
	v_add_co_u32 v11, vcc_lo, s4, v11
	s_delay_alu instid0(VALU_DEP_3) | instskip(SKIP_3) | instid1(VALU_DEP_1)
	v_add_co_ci_u32_e32 v12, vcc_lo, s5, v12, vcc_lo
	global_load_b32 v4, v[11:12], off
	v_lshlrev_b32_e32 v11, 16, v5
	v_lshlrev_b32_e32 v12, 16, v9
	v_add_f32_e32 v13, v11, v12
	s_delay_alu instid0(VALU_DEP_1) | instskip(NEXT) | instid1(VALU_DEP_1)
	v_mul_f32_e32 v11, v28, v13
	v_bfe_u32 v12, v11, 16, 1
	s_delay_alu instid0(VALU_DEP_1) | instskip(NEXT) | instid1(VALU_DEP_1)
	v_add3_u32 v12, v11, v12, 0x7fff
	v_and_b32_e32 v12, 0xffff0000, v12
	v_cmp_o_f32_e32 vcc_lo, v11, v11
	s_delay_alu instid0(VALU_DEP_2) | instskip(NEXT) | instid1(VALU_DEP_1)
	v_cndmask_b32_e32 v11, 0x7fc00000, v12, vcc_lo
	v_mul_f32_e32 v11, v11, v16
	s_delay_alu instid0(VALU_DEP_1) | instskip(SKIP_1) | instid1(VALU_DEP_2)
	v_bfe_u32 v12, v11, 16, 1
	v_cmp_o_f32_e32 vcc_lo, v11, v11
	v_add3_u32 v12, v11, v12, 0x7fff
	s_delay_alu instid0(VALU_DEP_1) | instskip(NEXT) | instid1(VALU_DEP_1)
	v_and_b32_e32 v12, 0xffff0000, v12
	v_cndmask_b32_e32 v16, 0x7fc00000, v12, vcc_lo
	v_and_b32_e32 v12, 0xffff0000, v5
	v_alignbit_b32 v5, v6, v5, 16
	v_and_b32_e32 v6, 0xffff0000, v6
	s_delay_alu instid0(VALU_DEP_2) | instskip(SKIP_2) | instid1(VALU_DEP_1)
	v_and_b32_e32 v5, 0xffff0000, v5
	s_waitcnt vmcnt(0)
	v_div_scale_f32 v17, null, v4, v4, v16
	v_rcp_f32_e32 v18, v17
	s_waitcnt_depctr 0xfff
	v_fma_f32 v11, -v17, v18, 1.0
	s_delay_alu instid0(VALU_DEP_1) | instskip(SKIP_3) | instid1(VALU_DEP_3)
	v_fmac_f32_e32 v18, v11, v18
	v_alignbit_b32 v11, v10, v9, 16
	v_and_b32_e32 v9, 0xffff0000, v9
	v_and_b32_e32 v10, 0xffff0000, v10
	v_and_b32_e32 v21, 0xffff0000, v11
	s_delay_alu instid0(VALU_DEP_2) | instskip(SKIP_1) | instid1(VALU_DEP_2)
	v_dual_add_f32 v11, v12, v9 :: v_dual_add_f32 v10, v6, v10
	v_div_scale_f32 v19, vcc_lo, v16, v4, v16
	v_bfe_u32 v6, v11, 16, 1
	s_delay_alu instid0(VALU_DEP_2) | instskip(NEXT) | instid1(VALU_DEP_2)
	v_mul_f32_e32 v20, v19, v18
	v_add3_u32 v6, v11, v6, 0x7fff
	s_delay_alu instid0(VALU_DEP_2) | instskip(NEXT) | instid1(VALU_DEP_2)
	v_fma_f32 v9, -v17, v20, v19
	v_and_b32_e32 v6, 0xffff0000, v6
	s_delay_alu instid0(VALU_DEP_2) | instskip(SKIP_1) | instid1(VALU_DEP_1)
	v_fmac_f32_e32 v20, v9, v18
	v_bfe_u32 v9, v10, 16, 1
	v_add3_u32 v9, v10, v9, 0x7fff
	s_delay_alu instid0(VALU_DEP_1) | instskip(NEXT) | instid1(VALU_DEP_4)
	v_and_b32_e32 v9, 0xffff0000, v9
	v_fma_f32 v17, -v17, v20, v19
	s_delay_alu instid0(VALU_DEP_1) | instskip(SKIP_3) | instid1(VALU_DEP_4)
	v_div_fmas_f32 v17, v17, v18, v20
	v_cmp_o_f32_e32 vcc_lo, v11, v11
	v_add_f32_e32 v12, v5, v21
	v_bfe_u32 v5, v13, 16, 1
	v_div_fixup_f32 v16, v17, v4, v16
	v_cndmask_b32_e32 v17, 0x7fc00000, v6, vcc_lo
	s_delay_alu instid0(VALU_DEP_4) | instskip(NEXT) | instid1(VALU_DEP_4)
	v_bfe_u32 v21, v12, 16, 1
	v_add3_u32 v5, v13, v5, 0x7fff
	v_cmp_o_f32_e32 vcc_lo, v13, v13
	v_minmax_f32 v6, v16, s7, 0xc3e00000
	s_delay_alu instid0(VALU_DEP_4) | instskip(NEXT) | instid1(VALU_DEP_4)
	v_add3_u32 v19, v12, v21, 0x7fff
	v_lshrrev_b32_e32 v5, 16, v5
	s_delay_alu instid0(VALU_DEP_3) | instskip(NEXT) | instid1(VALU_DEP_3)
	v_and_b32_e32 v13, 0x7fffffff, v6
	v_lshrrev_b32_e32 v18, 16, v19
	s_delay_alu instid0(VALU_DEP_3)
	v_cndmask_b32_e32 v5, 0x7fc0, v5, vcc_lo
	v_cmp_o_f32_e32 vcc_lo, v10, v10
	v_cndmask_b32_e32 v9, 0x7fc00000, v9, vcc_lo
	v_cmp_o_f32_e32 vcc_lo, v12, v12
	v_cndmask_b32_e32 v16, 0x7fc0, v18, vcc_lo
	v_or_b32_e32 v18, v5, v17
	v_mov_b32_e32 v5, 0x7f
	s_delay_alu instid0(VALU_DEP_3) | instskip(NEXT) | instid1(VALU_DEP_3)
	v_or3_b32 v17, 0, v16, v9
	v_or3_b32 v16, v18, 0, 0
	v_mov_b32_e32 v9, 0x7f
	global_store_b64 v[14:15], v[16:17], off
	v_cmpx_gt_u32_e32 0x43f00000, v13
	s_cbranch_execz .LBB66_69
; %bb.64:                               ;   in Loop: Header=BB66_63 Depth=1
	s_mov_b32 s12, exec_lo
                                        ; implicit-def: $vgpr9
	v_cmpx_lt_u32_e32 0x3c7fffff, v13
	s_xor_b32 s12, exec_lo, s12
; %bb.65:                               ;   in Loop: Header=BB66_63 Depth=1
	v_bfe_u32 v9, v6, 20, 1
	s_delay_alu instid0(VALU_DEP_1) | instskip(NEXT) | instid1(VALU_DEP_1)
	v_add3_u32 v9, v6, v9, 0x407ffff
	v_lshrrev_b32_e32 v9, 20, v9
; %bb.66:                               ;   in Loop: Header=BB66_63 Depth=1
	s_and_not1_saveexec_b32 s12, s12
; %bb.67:                               ;   in Loop: Header=BB66_63 Depth=1
	v_add_f32_e64 v9, 0x46800000, |v6|
; %bb.68:                               ;   in Loop: Header=BB66_63 Depth=1
	s_or_b32 exec_lo, exec_lo, s12
.LBB66_69:                              ;   in Loop: Header=BB66_63 Depth=1
	s_delay_alu instid0(SALU_CYCLE_1) | instskip(SKIP_2) | instid1(VALU_DEP_1)
	s_or_b32 exec_lo, exec_lo, s9
	v_dual_mul_f32 v11, v28, v11 :: v_dual_and_b32 v14, 0xffff0000, v2
	s_mov_b32 s9, exec_lo
	v_bfe_u32 v13, v11, 16, 1
	v_cmp_o_f32_e32 vcc_lo, v11, v11
	s_delay_alu instid0(VALU_DEP_2) | instskip(NEXT) | instid1(VALU_DEP_1)
	v_add3_u32 v13, v11, v13, 0x7fff
	v_and_b32_e32 v13, 0xffff0000, v13
	s_delay_alu instid0(VALU_DEP_1) | instskip(NEXT) | instid1(VALU_DEP_1)
	v_cndmask_b32_e32 v11, 0x7fc00000, v13, vcc_lo
	v_mul_f32_e32 v11, v11, v14
	s_delay_alu instid0(VALU_DEP_1) | instskip(SKIP_1) | instid1(VALU_DEP_2)
	v_bfe_u32 v13, v11, 16, 1
	v_cmp_o_f32_e32 vcc_lo, v11, v11
	v_add3_u32 v13, v11, v13, 0x7fff
	s_delay_alu instid0(VALU_DEP_1) | instskip(NEXT) | instid1(VALU_DEP_1)
	v_and_b32_e32 v13, 0xffff0000, v13
	v_cndmask_b32_e32 v11, 0x7fc00000, v13, vcc_lo
	s_delay_alu instid0(VALU_DEP_1) | instskip(NEXT) | instid1(VALU_DEP_1)
	v_div_scale_f32 v13, null, v4, v4, v11
	v_rcp_f32_e32 v14, v13
	s_waitcnt_depctr 0xfff
	v_fma_f32 v15, -v13, v14, 1.0
	s_delay_alu instid0(VALU_DEP_1) | instskip(SKIP_1) | instid1(VALU_DEP_1)
	v_fmac_f32_e32 v14, v15, v14
	v_div_scale_f32 v15, vcc_lo, v11, v4, v11
	v_mul_f32_e32 v16, v15, v14
	s_delay_alu instid0(VALU_DEP_1) | instskip(NEXT) | instid1(VALU_DEP_1)
	v_fma_f32 v17, -v13, v16, v15
	v_fmac_f32_e32 v16, v17, v14
	s_delay_alu instid0(VALU_DEP_1) | instskip(NEXT) | instid1(VALU_DEP_1)
	v_fma_f32 v13, -v13, v16, v15
	v_div_fmas_f32 v13, v13, v14, v16
	s_delay_alu instid0(VALU_DEP_1) | instskip(NEXT) | instid1(VALU_DEP_1)
	v_div_fixup_f32 v11, v13, v4, v11
	v_minmax_f32 v11, v11, s7, 0xc3e00000
	s_delay_alu instid0(VALU_DEP_1) | instskip(NEXT) | instid1(VALU_DEP_1)
	v_and_b32_e32 v13, 0x7fffffff, v11
	v_cmpx_gt_u32_e32 0x43f00000, v13
	s_cbranch_execz .LBB66_75
; %bb.70:                               ;   in Loop: Header=BB66_63 Depth=1
	s_mov_b32 s12, exec_lo
                                        ; implicit-def: $vgpr5
	v_cmpx_lt_u32_e32 0x3c7fffff, v13
	s_xor_b32 s12, exec_lo, s12
; %bb.71:                               ;   in Loop: Header=BB66_63 Depth=1
	v_bfe_u32 v5, v11, 20, 1
	s_delay_alu instid0(VALU_DEP_1) | instskip(NEXT) | instid1(VALU_DEP_1)
	v_add3_u32 v5, v11, v5, 0x407ffff
	v_lshrrev_b32_e32 v5, 20, v5
; %bb.72:                               ;   in Loop: Header=BB66_63 Depth=1
	s_and_not1_saveexec_b32 s12, s12
; %bb.73:                               ;   in Loop: Header=BB66_63 Depth=1
	v_add_f32_e64 v5, 0x46800000, |v11|
; %bb.74:                               ;   in Loop: Header=BB66_63 Depth=1
	s_or_b32 exec_lo, exec_lo, s12
.LBB66_75:                              ;   in Loop: Header=BB66_63 Depth=1
	s_delay_alu instid0(SALU_CYCLE_1) | instskip(SKIP_3) | instid1(VALU_DEP_2)
	s_or_b32 exec_lo, exec_lo, s9
	v_mul_f32_e32 v12, v28, v12
	v_alignbit_b32 v2, v3, v2, 16
	s_mov_b32 s9, exec_lo
	v_bfe_u32 v13, v12, 16, 1
	s_delay_alu instid0(VALU_DEP_2) | instskip(NEXT) | instid1(VALU_DEP_2)
	v_and_b32_e32 v2, 0xffff0000, v2
	v_add3_u32 v13, v12, v13, 0x7fff
	s_delay_alu instid0(VALU_DEP_1) | instskip(SKIP_1) | instid1(VALU_DEP_2)
	v_and_b32_e32 v13, 0xffff0000, v13
	v_cmp_o_f32_e32 vcc_lo, v12, v12
	v_cndmask_b32_e32 v12, 0x7fc00000, v13, vcc_lo
	s_delay_alu instid0(VALU_DEP_1) | instskip(NEXT) | instid1(VALU_DEP_1)
	v_mul_f32_e32 v2, v12, v2
	v_bfe_u32 v12, v2, 16, 1
	v_cmp_o_f32_e32 vcc_lo, v2, v2
	s_delay_alu instid0(VALU_DEP_2) | instskip(NEXT) | instid1(VALU_DEP_1)
	v_add3_u32 v12, v2, v12, 0x7fff
	v_and_b32_e32 v12, 0xffff0000, v12
	s_delay_alu instid0(VALU_DEP_1) | instskip(NEXT) | instid1(VALU_DEP_1)
	v_cndmask_b32_e32 v2, 0x7fc00000, v12, vcc_lo
	v_div_scale_f32 v12, null, v4, v4, v2
	v_div_scale_f32 v15, vcc_lo, v2, v4, v2
	s_delay_alu instid0(VALU_DEP_2) | instskip(SKIP_2) | instid1(VALU_DEP_1)
	v_rcp_f32_e32 v13, v12
	s_waitcnt_depctr 0xfff
	v_fma_f32 v14, -v12, v13, 1.0
	v_fmac_f32_e32 v13, v14, v13
	s_delay_alu instid0(VALU_DEP_1) | instskip(NEXT) | instid1(VALU_DEP_1)
	v_mul_f32_e32 v14, v15, v13
	v_fma_f32 v16, -v12, v14, v15
	s_delay_alu instid0(VALU_DEP_1) | instskip(NEXT) | instid1(VALU_DEP_1)
	v_fmac_f32_e32 v14, v16, v13
	v_fma_f32 v12, -v12, v14, v15
	s_delay_alu instid0(VALU_DEP_1) | instskip(NEXT) | instid1(VALU_DEP_1)
	v_div_fmas_f32 v12, v12, v13, v14
	v_div_fixup_f32 v2, v12, v4, v2
	v_mov_b32_e32 v12, 0x7f
	s_delay_alu instid0(VALU_DEP_2) | instskip(SKIP_1) | instid1(VALU_DEP_2)
	v_minmax_f32 v13, v2, s7, 0xc3e00000
	v_mov_b32_e32 v2, 0x7f
	v_and_b32_e32 v14, 0x7fffffff, v13
	s_delay_alu instid0(VALU_DEP_1)
	v_cmpx_gt_u32_e32 0x43f00000, v14
	s_cbranch_execz .LBB66_81
; %bb.76:                               ;   in Loop: Header=BB66_63 Depth=1
	s_mov_b32 s12, exec_lo
                                        ; implicit-def: $vgpr12
	v_cmpx_lt_u32_e32 0x3c7fffff, v14
	s_xor_b32 s12, exec_lo, s12
; %bb.77:                               ;   in Loop: Header=BB66_63 Depth=1
	v_bfe_u32 v12, v13, 20, 1
	s_delay_alu instid0(VALU_DEP_1) | instskip(NEXT) | instid1(VALU_DEP_1)
	v_add3_u32 v12, v13, v12, 0x407ffff
	v_lshrrev_b32_e32 v12, 20, v12
; %bb.78:                               ;   in Loop: Header=BB66_63 Depth=1
	s_and_not1_saveexec_b32 s12, s12
; %bb.79:                               ;   in Loop: Header=BB66_63 Depth=1
	v_add_f32_e64 v12, 0x46800000, |v13|
; %bb.80:                               ;   in Loop: Header=BB66_63 Depth=1
	s_or_b32 exec_lo, exec_lo, s12
.LBB66_81:                              ;   in Loop: Header=BB66_63 Depth=1
	s_delay_alu instid0(SALU_CYCLE_1) | instskip(SKIP_2) | instid1(VALU_DEP_1)
	s_or_b32 exec_lo, exec_lo, s9
	v_dual_mul_f32 v10, v28, v10 :: v_dual_and_b32 v3, 0xffff0000, v3
	s_mov_b32 s9, exec_lo
	v_bfe_u32 v14, v10, 16, 1
	v_cmp_o_f32_e32 vcc_lo, v10, v10
	s_delay_alu instid0(VALU_DEP_2) | instskip(NEXT) | instid1(VALU_DEP_1)
	v_add3_u32 v14, v10, v14, 0x7fff
	v_and_b32_e32 v14, 0xffff0000, v14
	s_delay_alu instid0(VALU_DEP_1) | instskip(NEXT) | instid1(VALU_DEP_1)
	v_cndmask_b32_e32 v10, 0x7fc00000, v14, vcc_lo
	v_mul_f32_e32 v3, v10, v3
	s_delay_alu instid0(VALU_DEP_1) | instskip(SKIP_1) | instid1(VALU_DEP_2)
	v_bfe_u32 v10, v3, 16, 1
	v_cmp_o_f32_e32 vcc_lo, v3, v3
	v_add3_u32 v10, v3, v10, 0x7fff
	s_delay_alu instid0(VALU_DEP_1) | instskip(NEXT) | instid1(VALU_DEP_1)
	v_and_b32_e32 v10, 0xffff0000, v10
	v_cndmask_b32_e32 v3, 0x7fc00000, v10, vcc_lo
	s_delay_alu instid0(VALU_DEP_1) | instskip(NEXT) | instid1(VALU_DEP_1)
	v_div_scale_f32 v10, null, v4, v4, v3
	v_rcp_f32_e32 v14, v10
	s_waitcnt_depctr 0xfff
	v_fma_f32 v15, -v10, v14, 1.0
	s_delay_alu instid0(VALU_DEP_1) | instskip(SKIP_1) | instid1(VALU_DEP_1)
	v_fmac_f32_e32 v14, v15, v14
	v_div_scale_f32 v15, vcc_lo, v3, v4, v3
	v_mul_f32_e32 v16, v15, v14
	s_delay_alu instid0(VALU_DEP_1) | instskip(NEXT) | instid1(VALU_DEP_1)
	v_fma_f32 v17, -v10, v16, v15
	v_fmac_f32_e32 v16, v17, v14
	s_delay_alu instid0(VALU_DEP_1) | instskip(NEXT) | instid1(VALU_DEP_1)
	v_fma_f32 v10, -v10, v16, v15
	v_div_fmas_f32 v10, v10, v14, v16
	s_delay_alu instid0(VALU_DEP_1) | instskip(NEXT) | instid1(VALU_DEP_1)
	v_div_fixup_f32 v3, v10, v4, v3
	v_minmax_f32 v3, v3, s7, 0xc3e00000
	s_delay_alu instid0(VALU_DEP_1) | instskip(NEXT) | instid1(VALU_DEP_1)
	v_and_b32_e32 v4, 0x7fffffff, v3
	v_cmpx_gt_u32_e32 0x43f00000, v4
	s_cbranch_execz .LBB66_87
; %bb.82:                               ;   in Loop: Header=BB66_63 Depth=1
	s_mov_b32 s12, exec_lo
                                        ; implicit-def: $vgpr2
	v_cmpx_lt_u32_e32 0x3c7fffff, v4
	s_xor_b32 s12, exec_lo, s12
; %bb.83:                               ;   in Loop: Header=BB66_63 Depth=1
	v_bfe_u32 v2, v3, 20, 1
	s_delay_alu instid0(VALU_DEP_1) | instskip(NEXT) | instid1(VALU_DEP_1)
	v_add3_u32 v2, v3, v2, 0x407ffff
	v_lshrrev_b32_e32 v2, 20, v2
; %bb.84:                               ;   in Loop: Header=BB66_63 Depth=1
	s_and_not1_saveexec_b32 s12, s12
; %bb.85:                               ;   in Loop: Header=BB66_63 Depth=1
	v_add_f32_e64 v2, 0x46800000, |v3|
; %bb.86:                               ;   in Loop: Header=BB66_63 Depth=1
	s_or_b32 exec_lo, exec_lo, s12
.LBB66_87:                              ;   in Loop: Header=BB66_63 Depth=1
	s_delay_alu instid0(SALU_CYCLE_1)
	s_or_b32 exec_lo, exec_lo, s9
	v_lshrrev_b32_e32 v4, 24, v13
	v_lshrrev_b32_e32 v10, 24, v11
	;; [unrolled: 1-line block ×3, first 2 shown]
	v_lshlrev_b32_e32 v2, 24, v2
	v_and_b32_e32 v11, 0x80000000, v3
	v_and_b32_e32 v4, 0x80, v4
	;; [unrolled: 1-line block ×4, first 2 shown]
	s_mov_b32 s12, -1
	s_mov_b32 s9, exec_lo
	v_and_or_b32 v4, 0xff, v12, v4
	v_and_or_b32 v5, 0xff, v5, v10
	;; [unrolled: 1-line block ×3, first 2 shown]
	s_delay_alu instid0(VALU_DEP_3) | instskip(SKIP_1) | instid1(VALU_DEP_4)
	v_lshlrev_b32_e32 v10, 16, v4
	v_lshlrev_b64 v[3:4], 2, v[0:1]
	v_lshlrev_b32_e32 v5, 8, v5
	s_delay_alu instid0(VALU_DEP_3) | instskip(SKIP_1) | instid1(VALU_DEP_4)
	v_or3_b32 v9, v11, v2, v10
	v_add_nc_u32_e32 v2, s35, v0
	v_add_co_u32 v3, vcc_lo, s0, v3
	v_add_co_ci_u32_e32 v4, vcc_lo, s1, v4, vcc_lo
	s_delay_alu instid0(VALU_DEP_4)
	v_or3_b32 v5, v9, v5, v6
	global_store_b32 v[3:4], v5, off
	v_cmpx_gt_u32_e64 s14, v2
	s_cbranch_execz .LBB66_62
; %bb.88:                               ;   in Loop: Header=BB66_63 Depth=1
	v_bfe_u32 v18, v2, 5, 25
	s_mov_b32 s12, exec_lo
	s_delay_alu instid0(VALU_DEP_1) | instskip(NEXT) | instid1(VALU_DEP_1)
	v_mad_u64_u32 v[13:14], null, v7, v18, 0
	v_dual_mov_b32 v3, v1 :: v_dual_mov_b32 v6, v14
	s_delay_alu instid0(VALU_DEP_1) | instskip(NEXT) | instid1(VALU_DEP_2)
	v_lshlrev_b64 v[4:5], 3, v[2:3]
	v_mad_u64_u32 v[14:15], null, v8, v18, v[6:7]
	s_delay_alu instid0(VALU_DEP_2) | instskip(NEXT) | instid1(VALU_DEP_3)
	v_add_co_u32 v9, vcc_lo, s30, v4
	v_add_co_ci_u32_e32 v10, vcc_lo, s31, v5, vcc_lo
	v_add_co_u32 v16, vcc_lo, s33, v4
	v_add_co_ci_u32_e32 v17, vcc_lo, s34, v5, vcc_lo
	;; [unrolled: 2-line block ×3, first 2 shown]
	global_load_b64 v[9:10], v[9:10], off
	global_load_b64 v[11:12], v[16:17], off
	v_lshlrev_b64 v[13:14], 2, v[13:14]
	global_load_b64 v[4:5], v[4:5], off
	v_add_co_u32 v13, vcc_lo, s4, v13
	v_add_co_ci_u32_e32 v14, vcc_lo, s5, v14, vcc_lo
	global_load_b32 v6, v[13:14], off
	s_waitcnt vmcnt(3)
	v_lshlrev_b32_e32 v13, 16, v9
	s_waitcnt vmcnt(1)
	v_lshlrev_b32_e32 v18, 16, v4
	v_lshlrev_b32_e32 v14, 16, v11
	s_delay_alu instid0(VALU_DEP_1) | instskip(NEXT) | instid1(VALU_DEP_1)
	v_add_f32_e32 v15, v13, v14
	v_mul_f32_e32 v13, v28, v15
	s_delay_alu instid0(VALU_DEP_1) | instskip(NEXT) | instid1(VALU_DEP_1)
	v_bfe_u32 v14, v13, 16, 1
	v_add3_u32 v14, v13, v14, 0x7fff
	s_delay_alu instid0(VALU_DEP_1) | instskip(SKIP_1) | instid1(VALU_DEP_2)
	v_and_b32_e32 v14, 0xffff0000, v14
	v_cmp_o_f32_e32 vcc_lo, v13, v13
	v_cndmask_b32_e32 v13, 0x7fc00000, v14, vcc_lo
	s_delay_alu instid0(VALU_DEP_1) | instskip(NEXT) | instid1(VALU_DEP_1)
	v_mul_f32_e32 v13, v13, v18
	v_bfe_u32 v14, v13, 16, 1
	v_cmp_o_f32_e32 vcc_lo, v13, v13
	s_delay_alu instid0(VALU_DEP_2) | instskip(NEXT) | instid1(VALU_DEP_1)
	v_add3_u32 v14, v13, v14, 0x7fff
	v_and_b32_e32 v14, 0xffff0000, v14
	s_delay_alu instid0(VALU_DEP_1) | instskip(SKIP_3) | instid1(VALU_DEP_3)
	v_cndmask_b32_e32 v18, 0x7fc00000, v14, vcc_lo
	v_and_b32_e32 v14, 0xffff0000, v9
	v_alignbit_b32 v9, v10, v9, 16
	s_waitcnt vmcnt(0)
	v_div_scale_f32 v19, null, v6, v6, v18
	v_div_scale_f32 v21, vcc_lo, v18, v6, v18
	s_delay_alu instid0(VALU_DEP_3) | instskip(NEXT) | instid1(VALU_DEP_3)
	v_and_b32_e32 v9, 0xffff0000, v9
	v_rcp_f32_e32 v20, v19
	s_waitcnt_depctr 0xfff
	v_fma_f32 v13, -v19, v20, 1.0
	s_delay_alu instid0(VALU_DEP_1) | instskip(SKIP_4) | instid1(VALU_DEP_4)
	v_fmac_f32_e32 v20, v13, v20
	v_alignbit_b32 v13, v12, v11, 16
	v_and_b32_e32 v11, 0xffff0000, v11
	v_and_b32_e32 v10, 0xffff0000, v10
	;; [unrolled: 1-line block ×3, first 2 shown]
	v_dual_mul_f32 v22, v21, v20 :: v_dual_and_b32 v23, 0xffff0000, v13
	s_delay_alu instid0(VALU_DEP_4) | instskip(NEXT) | instid1(VALU_DEP_3)
	v_add_f32_e32 v13, v14, v11
	v_add_f32_e32 v12, v10, v12
	s_delay_alu instid0(VALU_DEP_3) | instskip(NEXT) | instid1(VALU_DEP_3)
	v_fma_f32 v11, -v19, v22, v21
	v_bfe_u32 v10, v13, 16, 1
	s_delay_alu instid0(VALU_DEP_2) | instskip(NEXT) | instid1(VALU_DEP_4)
	v_fmac_f32_e32 v22, v11, v20
	v_bfe_u32 v11, v12, 16, 1
	s_delay_alu instid0(VALU_DEP_3) | instskip(NEXT) | instid1(VALU_DEP_2)
	v_add3_u32 v10, v13, v10, 0x7fff
	v_add3_u32 v11, v12, v11, 0x7fff
	s_delay_alu instid0(VALU_DEP_2) | instskip(NEXT) | instid1(VALU_DEP_2)
	v_and_b32_e32 v10, 0xffff0000, v10
	v_and_b32_e32 v11, 0xffff0000, v11
	v_fma_f32 v19, -v19, v22, v21
	s_delay_alu instid0(VALU_DEP_1) | instskip(SKIP_3) | instid1(VALU_DEP_4)
	v_div_fmas_f32 v19, v19, v20, v22
	v_cmp_o_f32_e32 vcc_lo, v13, v13
	v_add_f32_e32 v14, v9, v23
	v_bfe_u32 v9, v15, 16, 1
	v_div_fixup_f32 v18, v19, v6, v18
	v_cndmask_b32_e32 v19, 0x7fc00000, v10, vcc_lo
	s_delay_alu instid0(VALU_DEP_4) | instskip(NEXT) | instid1(VALU_DEP_4)
	v_bfe_u32 v23, v14, 16, 1
	v_add3_u32 v9, v15, v9, 0x7fff
	v_cmp_o_f32_e32 vcc_lo, v15, v15
	v_minmax_f32 v10, v18, s7, 0xc3e00000
	s_delay_alu instid0(VALU_DEP_4) | instskip(NEXT) | instid1(VALU_DEP_4)
	v_add3_u32 v21, v14, v23, 0x7fff
	v_lshrrev_b32_e32 v9, 16, v9
	s_delay_alu instid0(VALU_DEP_3) | instskip(NEXT) | instid1(VALU_DEP_3)
	v_and_b32_e32 v15, 0x7fffffff, v10
	v_lshrrev_b32_e32 v20, 16, v21
	s_delay_alu instid0(VALU_DEP_3)
	v_cndmask_b32_e32 v9, 0x7fc0, v9, vcc_lo
	v_cmp_o_f32_e32 vcc_lo, v12, v12
	v_cndmask_b32_e32 v11, 0x7fc00000, v11, vcc_lo
	v_cmp_o_f32_e32 vcc_lo, v14, v14
	v_cndmask_b32_e32 v18, 0x7fc0, v20, vcc_lo
	v_or_b32_e32 v20, v9, v19
	v_mov_b32_e32 v9, 0x7f
	s_delay_alu instid0(VALU_DEP_3) | instskip(NEXT) | instid1(VALU_DEP_3)
	v_or3_b32 v19, 0, v18, v11
	v_or3_b32 v18, v20, 0, 0
	v_mov_b32_e32 v11, 0x7f
	global_store_b64 v[16:17], v[18:19], off
	v_cmpx_gt_u32_e32 0x43f00000, v15
	s_cbranch_execz .LBB66_94
; %bb.89:                               ;   in Loop: Header=BB66_63 Depth=1
	s_mov_b32 s13, exec_lo
                                        ; implicit-def: $vgpr11
	v_cmpx_lt_u32_e32 0x3c7fffff, v15
	s_xor_b32 s13, exec_lo, s13
; %bb.90:                               ;   in Loop: Header=BB66_63 Depth=1
	v_bfe_u32 v11, v10, 20, 1
	s_delay_alu instid0(VALU_DEP_1) | instskip(NEXT) | instid1(VALU_DEP_1)
	v_add3_u32 v11, v10, v11, 0x407ffff
	v_lshrrev_b32_e32 v11, 20, v11
; %bb.91:                               ;   in Loop: Header=BB66_63 Depth=1
	s_and_not1_saveexec_b32 s13, s13
; %bb.92:                               ;   in Loop: Header=BB66_63 Depth=1
	v_add_f32_e64 v11, 0x46800000, |v10|
; %bb.93:                               ;   in Loop: Header=BB66_63 Depth=1
	s_or_b32 exec_lo, exec_lo, s13
.LBB66_94:                              ;   in Loop: Header=BB66_63 Depth=1
	s_delay_alu instid0(SALU_CYCLE_1) | instskip(SKIP_2) | instid1(VALU_DEP_1)
	s_or_b32 exec_lo, exec_lo, s12
	v_dual_mul_f32 v13, v28, v13 :: v_dual_and_b32 v16, 0xffff0000, v4
	s_mov_b32 s12, exec_lo
	v_bfe_u32 v15, v13, 16, 1
	v_cmp_o_f32_e32 vcc_lo, v13, v13
	s_delay_alu instid0(VALU_DEP_2) | instskip(NEXT) | instid1(VALU_DEP_1)
	v_add3_u32 v15, v13, v15, 0x7fff
	v_and_b32_e32 v15, 0xffff0000, v15
	s_delay_alu instid0(VALU_DEP_1) | instskip(NEXT) | instid1(VALU_DEP_1)
	v_cndmask_b32_e32 v13, 0x7fc00000, v15, vcc_lo
	v_mul_f32_e32 v13, v13, v16
	s_delay_alu instid0(VALU_DEP_1) | instskip(SKIP_1) | instid1(VALU_DEP_2)
	v_bfe_u32 v15, v13, 16, 1
	v_cmp_o_f32_e32 vcc_lo, v13, v13
	v_add3_u32 v15, v13, v15, 0x7fff
	s_delay_alu instid0(VALU_DEP_1) | instskip(NEXT) | instid1(VALU_DEP_1)
	v_and_b32_e32 v15, 0xffff0000, v15
	v_cndmask_b32_e32 v13, 0x7fc00000, v15, vcc_lo
	s_delay_alu instid0(VALU_DEP_1) | instskip(NEXT) | instid1(VALU_DEP_1)
	v_div_scale_f32 v15, null, v6, v6, v13
	v_rcp_f32_e32 v16, v15
	s_waitcnt_depctr 0xfff
	v_fma_f32 v17, -v15, v16, 1.0
	s_delay_alu instid0(VALU_DEP_1) | instskip(SKIP_1) | instid1(VALU_DEP_1)
	v_fmac_f32_e32 v16, v17, v16
	v_div_scale_f32 v17, vcc_lo, v13, v6, v13
	v_mul_f32_e32 v18, v17, v16
	s_delay_alu instid0(VALU_DEP_1) | instskip(NEXT) | instid1(VALU_DEP_1)
	v_fma_f32 v19, -v15, v18, v17
	v_fmac_f32_e32 v18, v19, v16
	s_delay_alu instid0(VALU_DEP_1) | instskip(NEXT) | instid1(VALU_DEP_1)
	v_fma_f32 v15, -v15, v18, v17
	v_div_fmas_f32 v15, v15, v16, v18
	s_delay_alu instid0(VALU_DEP_1) | instskip(NEXT) | instid1(VALU_DEP_1)
	v_div_fixup_f32 v13, v15, v6, v13
	v_minmax_f32 v13, v13, s7, 0xc3e00000
	s_delay_alu instid0(VALU_DEP_1) | instskip(NEXT) | instid1(VALU_DEP_1)
	v_and_b32_e32 v15, 0x7fffffff, v13
	v_cmpx_gt_u32_e32 0x43f00000, v15
	s_cbranch_execz .LBB66_100
; %bb.95:                               ;   in Loop: Header=BB66_63 Depth=1
	s_mov_b32 s13, exec_lo
                                        ; implicit-def: $vgpr9
	v_cmpx_lt_u32_e32 0x3c7fffff, v15
	s_xor_b32 s13, exec_lo, s13
; %bb.96:                               ;   in Loop: Header=BB66_63 Depth=1
	v_bfe_u32 v9, v13, 20, 1
	s_delay_alu instid0(VALU_DEP_1) | instskip(NEXT) | instid1(VALU_DEP_1)
	v_add3_u32 v9, v13, v9, 0x407ffff
	v_lshrrev_b32_e32 v9, 20, v9
; %bb.97:                               ;   in Loop: Header=BB66_63 Depth=1
	s_and_not1_saveexec_b32 s13, s13
; %bb.98:                               ;   in Loop: Header=BB66_63 Depth=1
	v_add_f32_e64 v9, 0x46800000, |v13|
; %bb.99:                               ;   in Loop: Header=BB66_63 Depth=1
	s_or_b32 exec_lo, exec_lo, s13
.LBB66_100:                             ;   in Loop: Header=BB66_63 Depth=1
	s_delay_alu instid0(SALU_CYCLE_1) | instskip(SKIP_3) | instid1(VALU_DEP_2)
	s_or_b32 exec_lo, exec_lo, s12
	v_mul_f32_e32 v14, v28, v14
	v_alignbit_b32 v4, v5, v4, 16
	s_mov_b32 s12, exec_lo
	v_bfe_u32 v15, v14, 16, 1
	s_delay_alu instid0(VALU_DEP_2) | instskip(NEXT) | instid1(VALU_DEP_2)
	v_and_b32_e32 v4, 0xffff0000, v4
	v_add3_u32 v15, v14, v15, 0x7fff
	s_delay_alu instid0(VALU_DEP_1) | instskip(SKIP_1) | instid1(VALU_DEP_2)
	v_and_b32_e32 v15, 0xffff0000, v15
	v_cmp_o_f32_e32 vcc_lo, v14, v14
	v_cndmask_b32_e32 v14, 0x7fc00000, v15, vcc_lo
	s_delay_alu instid0(VALU_DEP_1) | instskip(NEXT) | instid1(VALU_DEP_1)
	v_mul_f32_e32 v4, v14, v4
	v_bfe_u32 v14, v4, 16, 1
	v_cmp_o_f32_e32 vcc_lo, v4, v4
	s_delay_alu instid0(VALU_DEP_2) | instskip(NEXT) | instid1(VALU_DEP_1)
	v_add3_u32 v14, v4, v14, 0x7fff
	v_and_b32_e32 v14, 0xffff0000, v14
	s_delay_alu instid0(VALU_DEP_1) | instskip(NEXT) | instid1(VALU_DEP_1)
	v_cndmask_b32_e32 v4, 0x7fc00000, v14, vcc_lo
	v_div_scale_f32 v14, null, v6, v6, v4
	v_div_scale_f32 v17, vcc_lo, v4, v6, v4
	s_delay_alu instid0(VALU_DEP_2) | instskip(SKIP_2) | instid1(VALU_DEP_1)
	v_rcp_f32_e32 v15, v14
	s_waitcnt_depctr 0xfff
	v_fma_f32 v16, -v14, v15, 1.0
	v_fmac_f32_e32 v15, v16, v15
	s_delay_alu instid0(VALU_DEP_1) | instskip(NEXT) | instid1(VALU_DEP_1)
	v_mul_f32_e32 v16, v17, v15
	v_fma_f32 v18, -v14, v16, v17
	s_delay_alu instid0(VALU_DEP_1) | instskip(NEXT) | instid1(VALU_DEP_1)
	v_fmac_f32_e32 v16, v18, v15
	v_fma_f32 v14, -v14, v16, v17
	s_delay_alu instid0(VALU_DEP_1) | instskip(NEXT) | instid1(VALU_DEP_1)
	v_div_fmas_f32 v14, v14, v15, v16
	v_div_fixup_f32 v4, v14, v6, v4
	v_mov_b32_e32 v14, 0x7f
	s_delay_alu instid0(VALU_DEP_2) | instskip(SKIP_1) | instid1(VALU_DEP_2)
	v_minmax_f32 v15, v4, s7, 0xc3e00000
	v_mov_b32_e32 v4, 0x7f
	v_and_b32_e32 v16, 0x7fffffff, v15
	s_delay_alu instid0(VALU_DEP_1)
	v_cmpx_gt_u32_e32 0x43f00000, v16
	s_cbranch_execz .LBB66_106
; %bb.101:                              ;   in Loop: Header=BB66_63 Depth=1
	s_mov_b32 s13, exec_lo
                                        ; implicit-def: $vgpr14
	v_cmpx_lt_u32_e32 0x3c7fffff, v16
	s_xor_b32 s13, exec_lo, s13
; %bb.102:                              ;   in Loop: Header=BB66_63 Depth=1
	v_bfe_u32 v14, v15, 20, 1
	s_delay_alu instid0(VALU_DEP_1) | instskip(NEXT) | instid1(VALU_DEP_1)
	v_add3_u32 v14, v15, v14, 0x407ffff
	v_lshrrev_b32_e32 v14, 20, v14
; %bb.103:                              ;   in Loop: Header=BB66_63 Depth=1
	s_and_not1_saveexec_b32 s13, s13
; %bb.104:                              ;   in Loop: Header=BB66_63 Depth=1
	v_add_f32_e64 v14, 0x46800000, |v15|
; %bb.105:                              ;   in Loop: Header=BB66_63 Depth=1
	s_or_b32 exec_lo, exec_lo, s13
.LBB66_106:                             ;   in Loop: Header=BB66_63 Depth=1
	s_delay_alu instid0(SALU_CYCLE_1) | instskip(SKIP_2) | instid1(VALU_DEP_1)
	s_or_b32 exec_lo, exec_lo, s12
	v_dual_mul_f32 v12, v28, v12 :: v_dual_and_b32 v5, 0xffff0000, v5
	s_mov_b32 s12, exec_lo
	v_bfe_u32 v16, v12, 16, 1
	v_cmp_o_f32_e32 vcc_lo, v12, v12
	s_delay_alu instid0(VALU_DEP_2) | instskip(NEXT) | instid1(VALU_DEP_1)
	v_add3_u32 v16, v12, v16, 0x7fff
	v_and_b32_e32 v16, 0xffff0000, v16
	s_delay_alu instid0(VALU_DEP_1) | instskip(NEXT) | instid1(VALU_DEP_1)
	v_cndmask_b32_e32 v12, 0x7fc00000, v16, vcc_lo
	v_mul_f32_e32 v5, v12, v5
	s_delay_alu instid0(VALU_DEP_1) | instskip(SKIP_1) | instid1(VALU_DEP_2)
	v_bfe_u32 v12, v5, 16, 1
	v_cmp_o_f32_e32 vcc_lo, v5, v5
	v_add3_u32 v12, v5, v12, 0x7fff
	s_delay_alu instid0(VALU_DEP_1) | instskip(NEXT) | instid1(VALU_DEP_1)
	v_and_b32_e32 v12, 0xffff0000, v12
	v_cndmask_b32_e32 v5, 0x7fc00000, v12, vcc_lo
	s_delay_alu instid0(VALU_DEP_1) | instskip(NEXT) | instid1(VALU_DEP_1)
	v_div_scale_f32 v12, null, v6, v6, v5
	v_rcp_f32_e32 v16, v12
	s_waitcnt_depctr 0xfff
	v_fma_f32 v17, -v12, v16, 1.0
	s_delay_alu instid0(VALU_DEP_1) | instskip(SKIP_1) | instid1(VALU_DEP_1)
	v_fmac_f32_e32 v16, v17, v16
	v_div_scale_f32 v17, vcc_lo, v5, v6, v5
	v_mul_f32_e32 v18, v17, v16
	s_delay_alu instid0(VALU_DEP_1) | instskip(NEXT) | instid1(VALU_DEP_1)
	v_fma_f32 v19, -v12, v18, v17
	v_fmac_f32_e32 v18, v19, v16
	s_delay_alu instid0(VALU_DEP_1) | instskip(NEXT) | instid1(VALU_DEP_1)
	v_fma_f32 v12, -v12, v18, v17
	v_div_fmas_f32 v12, v12, v16, v18
	s_delay_alu instid0(VALU_DEP_1) | instskip(NEXT) | instid1(VALU_DEP_1)
	v_div_fixup_f32 v5, v12, v6, v5
	v_minmax_f32 v5, v5, s7, 0xc3e00000
	s_delay_alu instid0(VALU_DEP_1) | instskip(NEXT) | instid1(VALU_DEP_1)
	v_and_b32_e32 v6, 0x7fffffff, v5
	v_cmpx_gt_u32_e32 0x43f00000, v6
	s_cbranch_execz .LBB66_112
; %bb.107:                              ;   in Loop: Header=BB66_63 Depth=1
	s_mov_b32 s13, exec_lo
                                        ; implicit-def: $vgpr4
	v_cmpx_lt_u32_e32 0x3c7fffff, v6
	s_xor_b32 s13, exec_lo, s13
; %bb.108:                              ;   in Loop: Header=BB66_63 Depth=1
	v_bfe_u32 v4, v5, 20, 1
	s_delay_alu instid0(VALU_DEP_1) | instskip(NEXT) | instid1(VALU_DEP_1)
	v_add3_u32 v4, v5, v4, 0x407ffff
	v_lshrrev_b32_e32 v4, 20, v4
; %bb.109:                              ;   in Loop: Header=BB66_63 Depth=1
	s_and_not1_saveexec_b32 s13, s13
; %bb.110:                              ;   in Loop: Header=BB66_63 Depth=1
	v_add_f32_e64 v4, 0x46800000, |v5|
; %bb.111:                              ;   in Loop: Header=BB66_63 Depth=1
	s_or_b32 exec_lo, exec_lo, s13
.LBB66_112:                             ;   in Loop: Header=BB66_63 Depth=1
	s_delay_alu instid0(SALU_CYCLE_1)
	s_or_b32 exec_lo, exec_lo, s12
	v_lshrrev_b32_e32 v6, 24, v15
	v_lshrrev_b32_e32 v12, 24, v13
	;; [unrolled: 1-line block ×3, first 2 shown]
	v_lshlrev_b32_e32 v13, 24, v4
	v_and_b32_e32 v11, 0xff, v11
	v_and_b32_e32 v6, 0x80, v6
	;; [unrolled: 1-line block ×3, first 2 shown]
	s_mov_b32 s13, -1
	s_mov_b32 s12, exec_lo
	v_and_or_b32 v10, 0x80, v10, v11
	v_and_or_b32 v6, 0xff, v14, v6
	v_and_b32_e32 v14, 0x80000000, v5
	v_and_or_b32 v9, 0xff, v9, v12
	v_lshlrev_b64 v[4:5], 2, v[2:3]
	v_add_nc_u32_e32 v3, s3, v0
	v_lshlrev_b32_e32 v6, 16, v6
	s_delay_alu instid0(VALU_DEP_4) | instskip(NEXT) | instid1(VALU_DEP_4)
	v_lshlrev_b32_e32 v9, 8, v9
	v_add_co_u32 v4, vcc_lo, s0, v4
	s_delay_alu instid0(VALU_DEP_3) | instskip(SKIP_1) | instid1(VALU_DEP_2)
	v_or3_b32 v6, v14, v13, v6
	v_add_co_ci_u32_e32 v5, vcc_lo, s1, v5, vcc_lo
	v_or3_b32 v6, v6, v9, v10
	global_store_b32 v[4:5], v6, off
	v_cmpx_gt_u32_e64 s14, v3
	s_cbranch_execz .LBB66_61
; %bb.113:                              ;   in Loop: Header=BB66_63 Depth=1
	v_bfe_u32 v19, v3, 5, 25
	s_mov_b32 s13, exec_lo
	s_delay_alu instid0(VALU_DEP_1) | instskip(SKIP_1) | instid1(VALU_DEP_1)
	v_mad_u64_u32 v[14:15], null, v7, v19, 0
	v_mov_b32_e32 v4, v1
	v_lshlrev_b64 v[5:6], 3, v[3:4]
	s_delay_alu instid0(VALU_DEP_1) | instskip(NEXT) | instid1(VALU_DEP_2)
	v_add_co_u32 v9, vcc_lo, s30, v5
	v_add_co_ci_u32_e32 v10, vcc_lo, s31, v6, vcc_lo
	v_add_co_u32 v17, vcc_lo, s33, v5
	v_add_co_ci_u32_e32 v18, vcc_lo, s34, v6, vcc_lo
	global_load_b64 v[10:11], v[9:10], off
	global_load_b64 v[12:13], v[17:18], off
	v_mov_b32_e32 v9, v15
	v_add_co_u32 v5, vcc_lo, s10, v5
	v_add_co_ci_u32_e32 v6, vcc_lo, s11, v6, vcc_lo
	global_load_b64 v[5:6], v[5:6], off
	s_waitcnt vmcnt(2)
	v_mad_u64_u32 v[15:16], null, v8, v19, v[9:10]
	s_delay_alu instid0(VALU_DEP_1) | instskip(SKIP_2) | instid1(VALU_DEP_2)
	v_lshlrev_b64 v[14:15], 2, v[14:15]
	s_waitcnt vmcnt(0)
	v_lshlrev_b32_e32 v19, 16, v5
	v_add_co_u32 v14, vcc_lo, s4, v14
	s_delay_alu instid0(VALU_DEP_3) | instskip(SKIP_3) | instid1(VALU_DEP_1)
	v_add_co_ci_u32_e32 v15, vcc_lo, s5, v15, vcc_lo
	global_load_b32 v9, v[14:15], off
	v_lshlrev_b32_e32 v14, 16, v10
	v_lshlrev_b32_e32 v15, 16, v12
	v_add_f32_e32 v16, v14, v15
	s_delay_alu instid0(VALU_DEP_1) | instskip(NEXT) | instid1(VALU_DEP_1)
	v_mul_f32_e32 v14, v28, v16
	v_bfe_u32 v15, v14, 16, 1
	s_delay_alu instid0(VALU_DEP_1) | instskip(NEXT) | instid1(VALU_DEP_1)
	v_add3_u32 v15, v14, v15, 0x7fff
	v_and_b32_e32 v15, 0xffff0000, v15
	v_cmp_o_f32_e32 vcc_lo, v14, v14
	s_delay_alu instid0(VALU_DEP_2) | instskip(NEXT) | instid1(VALU_DEP_1)
	v_cndmask_b32_e32 v14, 0x7fc00000, v15, vcc_lo
	v_mul_f32_e32 v14, v14, v19
	s_delay_alu instid0(VALU_DEP_1) | instskip(SKIP_1) | instid1(VALU_DEP_2)
	v_bfe_u32 v15, v14, 16, 1
	v_cmp_o_f32_e32 vcc_lo, v14, v14
	v_add3_u32 v15, v14, v15, 0x7fff
	s_delay_alu instid0(VALU_DEP_1) | instskip(NEXT) | instid1(VALU_DEP_1)
	v_and_b32_e32 v15, 0xffff0000, v15
	v_cndmask_b32_e32 v19, 0x7fc00000, v15, vcc_lo
	v_and_b32_e32 v15, 0xffff0000, v10
	v_alignbit_b32 v10, v11, v10, 16
	s_delay_alu instid0(VALU_DEP_1) | instskip(SKIP_3) | instid1(VALU_DEP_2)
	v_and_b32_e32 v10, 0xffff0000, v10
	s_waitcnt vmcnt(0)
	v_div_scale_f32 v20, null, v9, v9, v19
	v_div_scale_f32 v22, vcc_lo, v19, v9, v19
	v_rcp_f32_e32 v21, v20
	s_waitcnt_depctr 0xfff
	v_fma_f32 v14, -v20, v21, 1.0
	s_delay_alu instid0(VALU_DEP_1) | instskip(SKIP_4) | instid1(VALU_DEP_4)
	v_fmac_f32_e32 v21, v14, v21
	v_alignbit_b32 v14, v13, v12, 16
	v_and_b32_e32 v12, 0xffff0000, v12
	v_and_b32_e32 v11, 0xffff0000, v11
	;; [unrolled: 1-line block ×3, first 2 shown]
	v_dual_mul_f32 v23, v22, v21 :: v_dual_and_b32 v24, 0xffff0000, v14
	s_delay_alu instid0(VALU_DEP_4) | instskip(NEXT) | instid1(VALU_DEP_3)
	v_add_f32_e32 v14, v15, v12
	v_add_f32_e32 v13, v11, v13
	s_delay_alu instid0(VALU_DEP_3) | instskip(NEXT) | instid1(VALU_DEP_3)
	v_fma_f32 v12, -v20, v23, v22
	v_bfe_u32 v11, v14, 16, 1
	s_delay_alu instid0(VALU_DEP_2) | instskip(NEXT) | instid1(VALU_DEP_4)
	v_fmac_f32_e32 v23, v12, v21
	v_bfe_u32 v12, v13, 16, 1
	s_delay_alu instid0(VALU_DEP_3) | instskip(NEXT) | instid1(VALU_DEP_2)
	v_add3_u32 v11, v14, v11, 0x7fff
	v_add3_u32 v12, v13, v12, 0x7fff
	s_delay_alu instid0(VALU_DEP_2) | instskip(NEXT) | instid1(VALU_DEP_2)
	v_and_b32_e32 v11, 0xffff0000, v11
	v_and_b32_e32 v12, 0xffff0000, v12
	v_fma_f32 v20, -v20, v23, v22
	s_delay_alu instid0(VALU_DEP_1) | instskip(SKIP_3) | instid1(VALU_DEP_4)
	v_div_fmas_f32 v20, v20, v21, v23
	v_cmp_o_f32_e32 vcc_lo, v14, v14
	v_add_f32_e32 v15, v10, v24
	v_bfe_u32 v10, v16, 16, 1
	v_div_fixup_f32 v19, v20, v9, v19
	v_cndmask_b32_e32 v20, 0x7fc00000, v11, vcc_lo
	s_delay_alu instid0(VALU_DEP_4) | instskip(NEXT) | instid1(VALU_DEP_4)
	v_bfe_u32 v24, v15, 16, 1
	v_add3_u32 v10, v16, v10, 0x7fff
	v_cmp_o_f32_e32 vcc_lo, v16, v16
	v_minmax_f32 v11, v19, s7, 0xc3e00000
	s_delay_alu instid0(VALU_DEP_4) | instskip(NEXT) | instid1(VALU_DEP_4)
	v_add3_u32 v22, v15, v24, 0x7fff
	v_lshrrev_b32_e32 v10, 16, v10
	s_delay_alu instid0(VALU_DEP_3) | instskip(NEXT) | instid1(VALU_DEP_3)
	v_and_b32_e32 v16, 0x7fffffff, v11
	v_lshrrev_b32_e32 v21, 16, v22
	s_delay_alu instid0(VALU_DEP_3)
	v_cndmask_b32_e32 v10, 0x7fc0, v10, vcc_lo
	v_cmp_o_f32_e32 vcc_lo, v13, v13
	v_cndmask_b32_e32 v12, 0x7fc00000, v12, vcc_lo
	v_cmp_o_f32_e32 vcc_lo, v15, v15
	v_cndmask_b32_e32 v19, 0x7fc0, v21, vcc_lo
	v_or_b32_e32 v21, v10, v20
	v_mov_b32_e32 v10, 0x7f
	s_delay_alu instid0(VALU_DEP_3) | instskip(NEXT) | instid1(VALU_DEP_3)
	v_or3_b32 v20, 0, v19, v12
	v_or3_b32 v19, v21, 0, 0
	v_mov_b32_e32 v12, 0x7f
	global_store_b64 v[17:18], v[19:20], off
	v_cmpx_gt_u32_e32 0x43f00000, v16
	s_cbranch_execz .LBB66_119
; %bb.114:                              ;   in Loop: Header=BB66_63 Depth=1
	s_mov_b32 s15, exec_lo
                                        ; implicit-def: $vgpr12
	v_cmpx_lt_u32_e32 0x3c7fffff, v16
	s_xor_b32 s15, exec_lo, s15
; %bb.115:                              ;   in Loop: Header=BB66_63 Depth=1
	v_bfe_u32 v12, v11, 20, 1
	s_delay_alu instid0(VALU_DEP_1) | instskip(NEXT) | instid1(VALU_DEP_1)
	v_add3_u32 v12, v11, v12, 0x407ffff
	v_lshrrev_b32_e32 v12, 20, v12
; %bb.116:                              ;   in Loop: Header=BB66_63 Depth=1
	s_and_not1_saveexec_b32 s15, s15
; %bb.117:                              ;   in Loop: Header=BB66_63 Depth=1
	v_add_f32_e64 v12, 0x46800000, |v11|
; %bb.118:                              ;   in Loop: Header=BB66_63 Depth=1
	s_or_b32 exec_lo, exec_lo, s15
.LBB66_119:                             ;   in Loop: Header=BB66_63 Depth=1
	s_delay_alu instid0(SALU_CYCLE_1) | instskip(SKIP_2) | instid1(VALU_DEP_1)
	s_or_b32 exec_lo, exec_lo, s13
	v_dual_mul_f32 v14, v28, v14 :: v_dual_and_b32 v17, 0xffff0000, v5
	s_mov_b32 s13, exec_lo
	v_bfe_u32 v16, v14, 16, 1
	v_cmp_o_f32_e32 vcc_lo, v14, v14
	s_delay_alu instid0(VALU_DEP_2) | instskip(NEXT) | instid1(VALU_DEP_1)
	v_add3_u32 v16, v14, v16, 0x7fff
	v_and_b32_e32 v16, 0xffff0000, v16
	s_delay_alu instid0(VALU_DEP_1) | instskip(NEXT) | instid1(VALU_DEP_1)
	v_cndmask_b32_e32 v14, 0x7fc00000, v16, vcc_lo
	v_mul_f32_e32 v14, v14, v17
	s_delay_alu instid0(VALU_DEP_1) | instskip(SKIP_1) | instid1(VALU_DEP_2)
	v_bfe_u32 v16, v14, 16, 1
	v_cmp_o_f32_e32 vcc_lo, v14, v14
	v_add3_u32 v16, v14, v16, 0x7fff
	s_delay_alu instid0(VALU_DEP_1) | instskip(NEXT) | instid1(VALU_DEP_1)
	v_and_b32_e32 v16, 0xffff0000, v16
	v_cndmask_b32_e32 v14, 0x7fc00000, v16, vcc_lo
	s_delay_alu instid0(VALU_DEP_1) | instskip(NEXT) | instid1(VALU_DEP_1)
	v_div_scale_f32 v16, null, v9, v9, v14
	v_rcp_f32_e32 v17, v16
	s_waitcnt_depctr 0xfff
	v_fma_f32 v18, -v16, v17, 1.0
	s_delay_alu instid0(VALU_DEP_1) | instskip(SKIP_1) | instid1(VALU_DEP_1)
	v_fmac_f32_e32 v17, v18, v17
	v_div_scale_f32 v18, vcc_lo, v14, v9, v14
	v_mul_f32_e32 v19, v18, v17
	s_delay_alu instid0(VALU_DEP_1) | instskip(NEXT) | instid1(VALU_DEP_1)
	v_fma_f32 v20, -v16, v19, v18
	v_fmac_f32_e32 v19, v20, v17
	s_delay_alu instid0(VALU_DEP_1) | instskip(NEXT) | instid1(VALU_DEP_1)
	v_fma_f32 v16, -v16, v19, v18
	v_div_fmas_f32 v16, v16, v17, v19
	s_delay_alu instid0(VALU_DEP_1) | instskip(NEXT) | instid1(VALU_DEP_1)
	v_div_fixup_f32 v14, v16, v9, v14
	v_minmax_f32 v14, v14, s7, 0xc3e00000
	s_delay_alu instid0(VALU_DEP_1) | instskip(NEXT) | instid1(VALU_DEP_1)
	v_and_b32_e32 v16, 0x7fffffff, v14
	v_cmpx_gt_u32_e32 0x43f00000, v16
	s_cbranch_execz .LBB66_125
; %bb.120:                              ;   in Loop: Header=BB66_63 Depth=1
	s_mov_b32 s15, exec_lo
                                        ; implicit-def: $vgpr10
	v_cmpx_lt_u32_e32 0x3c7fffff, v16
	s_xor_b32 s15, exec_lo, s15
; %bb.121:                              ;   in Loop: Header=BB66_63 Depth=1
	v_bfe_u32 v10, v14, 20, 1
	s_delay_alu instid0(VALU_DEP_1) | instskip(NEXT) | instid1(VALU_DEP_1)
	v_add3_u32 v10, v14, v10, 0x407ffff
	v_lshrrev_b32_e32 v10, 20, v10
; %bb.122:                              ;   in Loop: Header=BB66_63 Depth=1
	s_and_not1_saveexec_b32 s15, s15
; %bb.123:                              ;   in Loop: Header=BB66_63 Depth=1
	v_add_f32_e64 v10, 0x46800000, |v14|
; %bb.124:                              ;   in Loop: Header=BB66_63 Depth=1
	s_or_b32 exec_lo, exec_lo, s15
.LBB66_125:                             ;   in Loop: Header=BB66_63 Depth=1
	s_delay_alu instid0(SALU_CYCLE_1) | instskip(SKIP_3) | instid1(VALU_DEP_2)
	s_or_b32 exec_lo, exec_lo, s13
	v_mul_f32_e32 v15, v28, v15
	v_alignbit_b32 v5, v6, v5, 16
	s_mov_b32 s13, exec_lo
	v_bfe_u32 v16, v15, 16, 1
	s_delay_alu instid0(VALU_DEP_2) | instskip(NEXT) | instid1(VALU_DEP_2)
	v_and_b32_e32 v5, 0xffff0000, v5
	v_add3_u32 v16, v15, v16, 0x7fff
	s_delay_alu instid0(VALU_DEP_1) | instskip(SKIP_1) | instid1(VALU_DEP_2)
	v_and_b32_e32 v16, 0xffff0000, v16
	v_cmp_o_f32_e32 vcc_lo, v15, v15
	v_cndmask_b32_e32 v15, 0x7fc00000, v16, vcc_lo
	s_delay_alu instid0(VALU_DEP_1) | instskip(NEXT) | instid1(VALU_DEP_1)
	v_mul_f32_e32 v5, v15, v5
	v_bfe_u32 v15, v5, 16, 1
	v_cmp_o_f32_e32 vcc_lo, v5, v5
	s_delay_alu instid0(VALU_DEP_2) | instskip(NEXT) | instid1(VALU_DEP_1)
	v_add3_u32 v15, v5, v15, 0x7fff
	v_and_b32_e32 v15, 0xffff0000, v15
	s_delay_alu instid0(VALU_DEP_1) | instskip(NEXT) | instid1(VALU_DEP_1)
	v_cndmask_b32_e32 v5, 0x7fc00000, v15, vcc_lo
	v_div_scale_f32 v15, null, v9, v9, v5
	v_div_scale_f32 v18, vcc_lo, v5, v9, v5
	s_delay_alu instid0(VALU_DEP_2) | instskip(SKIP_2) | instid1(VALU_DEP_1)
	v_rcp_f32_e32 v16, v15
	s_waitcnt_depctr 0xfff
	v_fma_f32 v17, -v15, v16, 1.0
	v_fmac_f32_e32 v16, v17, v16
	s_delay_alu instid0(VALU_DEP_1) | instskip(NEXT) | instid1(VALU_DEP_1)
	v_mul_f32_e32 v17, v18, v16
	v_fma_f32 v19, -v15, v17, v18
	s_delay_alu instid0(VALU_DEP_1) | instskip(NEXT) | instid1(VALU_DEP_1)
	v_fmac_f32_e32 v17, v19, v16
	v_fma_f32 v15, -v15, v17, v18
	s_delay_alu instid0(VALU_DEP_1) | instskip(NEXT) | instid1(VALU_DEP_1)
	v_div_fmas_f32 v15, v15, v16, v17
	v_div_fixup_f32 v5, v15, v9, v5
	v_mov_b32_e32 v15, 0x7f
	s_delay_alu instid0(VALU_DEP_2) | instskip(SKIP_1) | instid1(VALU_DEP_2)
	v_minmax_f32 v16, v5, s7, 0xc3e00000
	v_mov_b32_e32 v5, 0x7f
	v_and_b32_e32 v17, 0x7fffffff, v16
	s_delay_alu instid0(VALU_DEP_1)
	v_cmpx_gt_u32_e32 0x43f00000, v17
	s_cbranch_execz .LBB66_131
; %bb.126:                              ;   in Loop: Header=BB66_63 Depth=1
	s_mov_b32 s15, exec_lo
                                        ; implicit-def: $vgpr15
	v_cmpx_lt_u32_e32 0x3c7fffff, v17
	s_xor_b32 s15, exec_lo, s15
; %bb.127:                              ;   in Loop: Header=BB66_63 Depth=1
	v_bfe_u32 v15, v16, 20, 1
	s_delay_alu instid0(VALU_DEP_1) | instskip(NEXT) | instid1(VALU_DEP_1)
	v_add3_u32 v15, v16, v15, 0x407ffff
	v_lshrrev_b32_e32 v15, 20, v15
; %bb.128:                              ;   in Loop: Header=BB66_63 Depth=1
	s_and_not1_saveexec_b32 s15, s15
; %bb.129:                              ;   in Loop: Header=BB66_63 Depth=1
	v_add_f32_e64 v15, 0x46800000, |v16|
; %bb.130:                              ;   in Loop: Header=BB66_63 Depth=1
	s_or_b32 exec_lo, exec_lo, s15
.LBB66_131:                             ;   in Loop: Header=BB66_63 Depth=1
	s_delay_alu instid0(SALU_CYCLE_1) | instskip(SKIP_2) | instid1(VALU_DEP_1)
	s_or_b32 exec_lo, exec_lo, s13
	v_dual_mul_f32 v13, v28, v13 :: v_dual_and_b32 v6, 0xffff0000, v6
	s_mov_b32 s13, exec_lo
	v_bfe_u32 v17, v13, 16, 1
	v_cmp_o_f32_e32 vcc_lo, v13, v13
	s_delay_alu instid0(VALU_DEP_2) | instskip(NEXT) | instid1(VALU_DEP_1)
	v_add3_u32 v17, v13, v17, 0x7fff
	v_and_b32_e32 v17, 0xffff0000, v17
	s_delay_alu instid0(VALU_DEP_1) | instskip(NEXT) | instid1(VALU_DEP_1)
	v_cndmask_b32_e32 v13, 0x7fc00000, v17, vcc_lo
	v_mul_f32_e32 v6, v13, v6
	s_delay_alu instid0(VALU_DEP_1) | instskip(SKIP_1) | instid1(VALU_DEP_2)
	v_bfe_u32 v13, v6, 16, 1
	v_cmp_o_f32_e32 vcc_lo, v6, v6
	v_add3_u32 v13, v6, v13, 0x7fff
	s_delay_alu instid0(VALU_DEP_1) | instskip(NEXT) | instid1(VALU_DEP_1)
	v_and_b32_e32 v13, 0xffff0000, v13
	v_cndmask_b32_e32 v6, 0x7fc00000, v13, vcc_lo
	s_delay_alu instid0(VALU_DEP_1) | instskip(NEXT) | instid1(VALU_DEP_1)
	v_div_scale_f32 v13, null, v9, v9, v6
	v_rcp_f32_e32 v17, v13
	s_waitcnt_depctr 0xfff
	v_fma_f32 v18, -v13, v17, 1.0
	s_delay_alu instid0(VALU_DEP_1) | instskip(SKIP_1) | instid1(VALU_DEP_1)
	v_fmac_f32_e32 v17, v18, v17
	v_div_scale_f32 v18, vcc_lo, v6, v9, v6
	v_mul_f32_e32 v19, v18, v17
	s_delay_alu instid0(VALU_DEP_1) | instskip(NEXT) | instid1(VALU_DEP_1)
	v_fma_f32 v20, -v13, v19, v18
	v_fmac_f32_e32 v19, v20, v17
	s_delay_alu instid0(VALU_DEP_1) | instskip(NEXT) | instid1(VALU_DEP_1)
	v_fma_f32 v13, -v13, v19, v18
	v_div_fmas_f32 v13, v13, v17, v19
	s_delay_alu instid0(VALU_DEP_1) | instskip(NEXT) | instid1(VALU_DEP_1)
	v_div_fixup_f32 v6, v13, v9, v6
	v_minmax_f32 v6, v6, s7, 0xc3e00000
	s_delay_alu instid0(VALU_DEP_1) | instskip(NEXT) | instid1(VALU_DEP_1)
	v_and_b32_e32 v9, 0x7fffffff, v6
	v_cmpx_gt_u32_e32 0x43f00000, v9
	s_cbranch_execz .LBB66_137
; %bb.132:                              ;   in Loop: Header=BB66_63 Depth=1
	s_mov_b32 s15, exec_lo
                                        ; implicit-def: $vgpr5
	v_cmpx_lt_u32_e32 0x3c7fffff, v9
	s_xor_b32 s15, exec_lo, s15
; %bb.133:                              ;   in Loop: Header=BB66_63 Depth=1
	v_bfe_u32 v5, v6, 20, 1
	s_delay_alu instid0(VALU_DEP_1) | instskip(NEXT) | instid1(VALU_DEP_1)
	v_add3_u32 v5, v6, v5, 0x407ffff
	v_lshrrev_b32_e32 v5, 20, v5
; %bb.134:                              ;   in Loop: Header=BB66_63 Depth=1
	s_and_not1_saveexec_b32 s15, s15
; %bb.135:                              ;   in Loop: Header=BB66_63 Depth=1
	v_add_f32_e64 v5, 0x46800000, |v6|
; %bb.136:                              ;   in Loop: Header=BB66_63 Depth=1
	s_or_b32 exec_lo, exec_lo, s15
.LBB66_137:                             ;   in Loop: Header=BB66_63 Depth=1
	s_delay_alu instid0(SALU_CYCLE_1)
	s_or_b32 exec_lo, exec_lo, s13
	v_lshrrev_b32_e32 v9, 24, v16
	v_lshrrev_b32_e32 v13, 24, v14
	;; [unrolled: 1-line block ×3, first 2 shown]
	v_lshlrev_b32_e32 v5, 24, v5
	v_and_b32_e32 v6, 0x80000000, v6
	v_and_b32_e32 v9, 0x80, v9
	;; [unrolled: 1-line block ×4, first 2 shown]
	v_lshlrev_b64 v[3:4], 2, v[3:4]
	v_add_nc_u32_e32 v0, s2, v0
	v_and_or_b32 v9, 0xff, v15, v9
	v_and_or_b32 v10, 0xff, v10, v13
	;; [unrolled: 1-line block ×3, first 2 shown]
	s_mov_b32 s15, -1
	v_add_co_u32 v3, vcc_lo, s0, v3
	v_lshlrev_b32_e32 v9, 16, v9
	v_lshlrev_b32_e32 v10, 8, v10
	v_add_co_ci_u32_e32 v4, vcc_lo, s1, v4, vcc_lo
	s_mov_b32 s13, exec_lo
	s_delay_alu instid0(VALU_DEP_3) | instskip(NEXT) | instid1(VALU_DEP_1)
	v_or3_b32 v5, v6, v5, v9
	v_or3_b32 v5, v5, v10, v11
	global_store_b32 v[3:4], v5, off
	v_cmpx_gt_u32_e64 s14, v0
	s_cbranch_execz .LBB66_60
; %bb.138:                              ;   in Loop: Header=BB66_63 Depth=1
	v_lshlrev_b64 v[3:4], 3, v[0:1]
	v_bfe_u32 v17, v0, 5, 25
	s_mov_b32 s15, exec_lo
	s_delay_alu instid0(VALU_DEP_2) | instskip(NEXT) | instid1(VALU_DEP_3)
	v_add_co_u32 v5, vcc_lo, s30, v3
	v_add_co_ci_u32_e32 v6, vcc_lo, s31, v4, vcc_lo
	v_add_co_u32 v15, vcc_lo, s33, v3
	v_add_co_ci_u32_e32 v16, vcc_lo, s34, v4, vcc_lo
	v_add_co_u32 v3, vcc_lo, s10, v3
	global_load_b64 v[9:10], v[5:6], off
	global_load_b64 v[11:12], v[15:16], off
	v_add_co_ci_u32_e32 v4, vcc_lo, s11, v4, vcc_lo
	v_mad_u64_u32 v[5:6], null, v7, v17, 0
	global_load_b64 v[3:4], v[3:4], off
	v_mad_u64_u32 v[13:14], null, v8, v17, v[6:7]
	s_waitcnt vmcnt(2)
	s_delay_alu instid0(VALU_DEP_1) | instskip(SKIP_2) | instid1(VALU_DEP_2)
	v_dual_mov_b32 v6, v13 :: v_dual_and_b32 v19, 0xffff0000, v9
	s_waitcnt vmcnt(1)
	v_lshlrev_b32_e32 v13, 16, v11
	v_lshlrev_b64 v[5:6], 2, v[5:6]
	v_and_b32_e32 v21, 0xffff0000, v12
	s_waitcnt vmcnt(0)
	v_lshlrev_b32_e32 v17, 16, v3
	s_delay_alu instid0(VALU_DEP_3) | instskip(NEXT) | instid1(VALU_DEP_4)
	v_add_co_u32 v5, vcc_lo, s4, v5
	v_add_co_ci_u32_e32 v6, vcc_lo, s5, v6, vcc_lo
	global_load_b32 v5, v[5:6], off
	v_lshlrev_b32_e32 v6, 16, v9
	v_alignbit_b32 v9, v10, v9, 16
	v_and_b32_e32 v10, 0xffff0000, v10
	s_delay_alu instid0(VALU_DEP_3) | instskip(NEXT) | instid1(VALU_DEP_3)
	v_add_f32_e32 v6, v6, v13
	v_and_b32_e32 v9, 0xffff0000, v9
	s_delay_alu instid0(VALU_DEP_2) | instskip(NEXT) | instid1(VALU_DEP_1)
	v_mul_f32_e32 v13, v28, v6
	v_bfe_u32 v14, v13, 16, 1
	v_cmp_o_f32_e32 vcc_lo, v13, v13
	s_delay_alu instid0(VALU_DEP_2) | instskip(NEXT) | instid1(VALU_DEP_1)
	v_add3_u32 v14, v13, v14, 0x7fff
	v_and_b32_e32 v14, 0xffff0000, v14
	s_delay_alu instid0(VALU_DEP_1) | instskip(NEXT) | instid1(VALU_DEP_1)
	v_cndmask_b32_e32 v13, 0x7fc00000, v14, vcc_lo
	v_mul_f32_e32 v13, v13, v17
	s_delay_alu instid0(VALU_DEP_1) | instskip(SKIP_1) | instid1(VALU_DEP_2)
	v_bfe_u32 v14, v13, 16, 1
	v_cmp_o_f32_e32 vcc_lo, v13, v13
	v_add3_u32 v14, v13, v14, 0x7fff
	s_delay_alu instid0(VALU_DEP_1) | instskip(NEXT) | instid1(VALU_DEP_1)
	v_and_b32_e32 v14, 0xffff0000, v14
	v_cndmask_b32_e32 v14, 0x7fc00000, v14, vcc_lo
	s_waitcnt vmcnt(0)
	s_delay_alu instid0(VALU_DEP_1) | instskip(NEXT) | instid1(VALU_DEP_1)
	v_div_scale_f32 v17, null, v5, v5, v14
	v_rcp_f32_e32 v18, v17
	s_waitcnt_depctr 0xfff
	v_fma_f32 v13, -v17, v18, 1.0
	s_delay_alu instid0(VALU_DEP_1) | instskip(SKIP_1) | instid1(VALU_DEP_1)
	v_fmac_f32_e32 v18, v13, v18
	v_alignbit_b32 v13, v12, v11, 16
	v_and_b32_e32 v13, 0xffff0000, v13
	s_delay_alu instid0(VALU_DEP_1) | instskip(SKIP_3) | instid1(VALU_DEP_3)
	v_add_f32_e32 v13, v9, v13
	v_div_scale_f32 v20, vcc_lo, v14, v5, v14
	v_and_b32_e32 v11, 0xffff0000, v11
	v_bfe_u32 v9, v6, 16, 1
	v_mul_f32_e32 v22, v20, v18
	s_delay_alu instid0(VALU_DEP_3) | instskip(NEXT) | instid1(VALU_DEP_3)
	v_add_f32_e32 v12, v19, v11
	v_add3_u32 v9, v6, v9, 0x7fff
	s_delay_alu instid0(VALU_DEP_3) | instskip(NEXT) | instid1(VALU_DEP_2)
	v_fma_f32 v19, -v17, v22, v20
	v_lshrrev_b32_e32 v9, 16, v9
	s_delay_alu instid0(VALU_DEP_2) | instskip(SKIP_2) | instid1(VALU_DEP_3)
	v_dual_fmac_f32 v22, v19, v18 :: v_dual_add_f32 v11, v10, v21
	v_bfe_u32 v10, v12, 16, 1
	v_bfe_u32 v21, v13, 16, 1
	v_fma_f32 v17, -v17, v22, v20
	s_delay_alu instid0(VALU_DEP_4) | instskip(NEXT) | instid1(VALU_DEP_4)
	v_bfe_u32 v19, v11, 16, 1
	v_add3_u32 v10, v12, v10, 0x7fff
	s_delay_alu instid0(VALU_DEP_4) | instskip(NEXT) | instid1(VALU_DEP_4)
	v_add3_u32 v20, v13, v21, 0x7fff
	v_div_fmas_f32 v17, v17, v18, v22
	v_cmp_o_f32_e32 vcc_lo, v12, v12
	s_delay_alu instid0(VALU_DEP_4) | instskip(SKIP_1) | instid1(VALU_DEP_4)
	v_and_b32_e32 v10, 0xffff0000, v10
	v_add3_u32 v19, v11, v19, 0x7fff
	v_div_fixup_f32 v14, v17, v5, v14
	s_delay_alu instid0(VALU_DEP_3) | instskip(SKIP_1) | instid1(VALU_DEP_4)
	v_cndmask_b32_e32 v10, 0x7fc00000, v10, vcc_lo
	v_cmp_o_f32_e32 vcc_lo, v6, v6
	v_and_b32_e32 v18, 0xffff0000, v19
	v_lshrrev_b32_e32 v19, 16, v20
	v_cndmask_b32_e32 v6, 0x7fc0, v9, vcc_lo
	v_cmp_o_f32_e32 vcc_lo, v11, v11
	v_minmax_f32 v9, v14, s7, 0xc3e00000
	s_delay_alu instid0(VALU_DEP_3) | instskip(SKIP_2) | instid1(VALU_DEP_4)
	v_or_b32_e32 v10, v6, v10
	v_cndmask_b32_e32 v17, 0x7fc00000, v18, vcc_lo
	v_cmp_o_f32_e32 vcc_lo, v13, v13
	v_and_b32_e32 v14, 0x7fffffff, v9
	v_mov_b32_e32 v6, 0x7f
	v_cndmask_b32_e32 v18, 0x7fc0, v19, vcc_lo
	s_delay_alu instid0(VALU_DEP_1)
	v_or3_b32 v18, 0, v18, v17
	v_or3_b32 v17, v10, 0, 0
	v_mov_b32_e32 v10, 0x7f
	global_store_b64 v[15:16], v[17:18], off
	v_cmpx_gt_u32_e32 0x43f00000, v14
	s_cbranch_execz .LBB66_144
; %bb.139:                              ;   in Loop: Header=BB66_63 Depth=1
	s_mov_b32 s16, exec_lo
                                        ; implicit-def: $vgpr10
	v_cmpx_lt_u32_e32 0x3c7fffff, v14
	s_xor_b32 s16, exec_lo, s16
; %bb.140:                              ;   in Loop: Header=BB66_63 Depth=1
	v_bfe_u32 v10, v9, 20, 1
	s_delay_alu instid0(VALU_DEP_1) | instskip(NEXT) | instid1(VALU_DEP_1)
	v_add3_u32 v10, v9, v10, 0x407ffff
	v_lshrrev_b32_e32 v10, 20, v10
; %bb.141:                              ;   in Loop: Header=BB66_63 Depth=1
	s_and_not1_saveexec_b32 s16, s16
; %bb.142:                              ;   in Loop: Header=BB66_63 Depth=1
	v_add_f32_e64 v10, 0x46800000, |v9|
; %bb.143:                              ;   in Loop: Header=BB66_63 Depth=1
	s_or_b32 exec_lo, exec_lo, s16
.LBB66_144:                             ;   in Loop: Header=BB66_63 Depth=1
	s_delay_alu instid0(SALU_CYCLE_1) | instskip(SKIP_2) | instid1(VALU_DEP_1)
	s_or_b32 exec_lo, exec_lo, s15
	v_dual_mul_f32 v12, v28, v12 :: v_dual_and_b32 v15, 0xffff0000, v3
	s_mov_b32 s15, exec_lo
	v_bfe_u32 v14, v12, 16, 1
	v_cmp_o_f32_e32 vcc_lo, v12, v12
	s_delay_alu instid0(VALU_DEP_2) | instskip(NEXT) | instid1(VALU_DEP_1)
	v_add3_u32 v14, v12, v14, 0x7fff
	v_and_b32_e32 v14, 0xffff0000, v14
	s_delay_alu instid0(VALU_DEP_1) | instskip(NEXT) | instid1(VALU_DEP_1)
	v_cndmask_b32_e32 v12, 0x7fc00000, v14, vcc_lo
	v_mul_f32_e32 v12, v12, v15
	s_delay_alu instid0(VALU_DEP_1) | instskip(SKIP_1) | instid1(VALU_DEP_2)
	v_bfe_u32 v14, v12, 16, 1
	v_cmp_o_f32_e32 vcc_lo, v12, v12
	v_add3_u32 v14, v12, v14, 0x7fff
	s_delay_alu instid0(VALU_DEP_1) | instskip(NEXT) | instid1(VALU_DEP_1)
	v_and_b32_e32 v14, 0xffff0000, v14
	v_cndmask_b32_e32 v12, 0x7fc00000, v14, vcc_lo
	s_delay_alu instid0(VALU_DEP_1) | instskip(NEXT) | instid1(VALU_DEP_1)
	v_div_scale_f32 v14, null, v5, v5, v12
	v_rcp_f32_e32 v15, v14
	s_waitcnt_depctr 0xfff
	v_fma_f32 v16, -v14, v15, 1.0
	s_delay_alu instid0(VALU_DEP_1) | instskip(SKIP_1) | instid1(VALU_DEP_1)
	v_fmac_f32_e32 v15, v16, v15
	v_div_scale_f32 v16, vcc_lo, v12, v5, v12
	v_mul_f32_e32 v17, v16, v15
	s_delay_alu instid0(VALU_DEP_1) | instskip(NEXT) | instid1(VALU_DEP_1)
	v_fma_f32 v18, -v14, v17, v16
	v_fmac_f32_e32 v17, v18, v15
	s_delay_alu instid0(VALU_DEP_1) | instskip(NEXT) | instid1(VALU_DEP_1)
	v_fma_f32 v14, -v14, v17, v16
	v_div_fmas_f32 v14, v14, v15, v17
	s_delay_alu instid0(VALU_DEP_1) | instskip(NEXT) | instid1(VALU_DEP_1)
	v_div_fixup_f32 v12, v14, v5, v12
	v_minmax_f32 v12, v12, s7, 0xc3e00000
	s_delay_alu instid0(VALU_DEP_1) | instskip(NEXT) | instid1(VALU_DEP_1)
	v_and_b32_e32 v14, 0x7fffffff, v12
	v_cmpx_gt_u32_e32 0x43f00000, v14
	s_cbranch_execz .LBB66_150
; %bb.145:                              ;   in Loop: Header=BB66_63 Depth=1
	s_mov_b32 s16, exec_lo
                                        ; implicit-def: $vgpr6
	v_cmpx_lt_u32_e32 0x3c7fffff, v14
	s_xor_b32 s16, exec_lo, s16
; %bb.146:                              ;   in Loop: Header=BB66_63 Depth=1
	v_bfe_u32 v6, v12, 20, 1
	s_delay_alu instid0(VALU_DEP_1) | instskip(NEXT) | instid1(VALU_DEP_1)
	v_add3_u32 v6, v12, v6, 0x407ffff
	v_lshrrev_b32_e32 v6, 20, v6
; %bb.147:                              ;   in Loop: Header=BB66_63 Depth=1
	s_and_not1_saveexec_b32 s16, s16
; %bb.148:                              ;   in Loop: Header=BB66_63 Depth=1
	v_add_f32_e64 v6, 0x46800000, |v12|
; %bb.149:                              ;   in Loop: Header=BB66_63 Depth=1
	s_or_b32 exec_lo, exec_lo, s16
.LBB66_150:                             ;   in Loop: Header=BB66_63 Depth=1
	s_delay_alu instid0(SALU_CYCLE_1) | instskip(SKIP_3) | instid1(VALU_DEP_2)
	s_or_b32 exec_lo, exec_lo, s15
	v_mul_f32_e32 v13, v28, v13
	v_alignbit_b32 v3, v4, v3, 16
	s_mov_b32 s15, exec_lo
	v_bfe_u32 v14, v13, 16, 1
	s_delay_alu instid0(VALU_DEP_2) | instskip(NEXT) | instid1(VALU_DEP_2)
	v_and_b32_e32 v3, 0xffff0000, v3
	v_add3_u32 v14, v13, v14, 0x7fff
	s_delay_alu instid0(VALU_DEP_1) | instskip(SKIP_1) | instid1(VALU_DEP_2)
	v_and_b32_e32 v14, 0xffff0000, v14
	v_cmp_o_f32_e32 vcc_lo, v13, v13
	v_cndmask_b32_e32 v13, 0x7fc00000, v14, vcc_lo
	s_delay_alu instid0(VALU_DEP_1) | instskip(NEXT) | instid1(VALU_DEP_1)
	v_mul_f32_e32 v3, v13, v3
	v_bfe_u32 v13, v3, 16, 1
	v_cmp_o_f32_e32 vcc_lo, v3, v3
	s_delay_alu instid0(VALU_DEP_2) | instskip(NEXT) | instid1(VALU_DEP_1)
	v_add3_u32 v13, v3, v13, 0x7fff
	v_and_b32_e32 v13, 0xffff0000, v13
	s_delay_alu instid0(VALU_DEP_1) | instskip(NEXT) | instid1(VALU_DEP_1)
	v_cndmask_b32_e32 v3, 0x7fc00000, v13, vcc_lo
	v_div_scale_f32 v13, null, v5, v5, v3
	v_div_scale_f32 v16, vcc_lo, v3, v5, v3
	s_delay_alu instid0(VALU_DEP_2) | instskip(SKIP_2) | instid1(VALU_DEP_1)
	v_rcp_f32_e32 v14, v13
	s_waitcnt_depctr 0xfff
	v_fma_f32 v15, -v13, v14, 1.0
	v_fmac_f32_e32 v14, v15, v14
	s_delay_alu instid0(VALU_DEP_1) | instskip(NEXT) | instid1(VALU_DEP_1)
	v_mul_f32_e32 v15, v16, v14
	v_fma_f32 v17, -v13, v15, v16
	s_delay_alu instid0(VALU_DEP_1) | instskip(NEXT) | instid1(VALU_DEP_1)
	v_fmac_f32_e32 v15, v17, v14
	v_fma_f32 v13, -v13, v15, v16
	s_delay_alu instid0(VALU_DEP_1) | instskip(NEXT) | instid1(VALU_DEP_1)
	v_div_fmas_f32 v13, v13, v14, v15
	v_div_fixup_f32 v3, v13, v5, v3
	v_mov_b32_e32 v13, 0x7f
	s_delay_alu instid0(VALU_DEP_2) | instskip(SKIP_1) | instid1(VALU_DEP_2)
	v_minmax_f32 v14, v3, s7, 0xc3e00000
	v_mov_b32_e32 v3, 0x7f
	v_and_b32_e32 v15, 0x7fffffff, v14
	s_delay_alu instid0(VALU_DEP_1)
	v_cmpx_gt_u32_e32 0x43f00000, v15
	s_cbranch_execz .LBB66_156
; %bb.151:                              ;   in Loop: Header=BB66_63 Depth=1
	s_mov_b32 s16, exec_lo
                                        ; implicit-def: $vgpr13
	v_cmpx_lt_u32_e32 0x3c7fffff, v15
	s_xor_b32 s16, exec_lo, s16
; %bb.152:                              ;   in Loop: Header=BB66_63 Depth=1
	v_bfe_u32 v13, v14, 20, 1
	s_delay_alu instid0(VALU_DEP_1) | instskip(NEXT) | instid1(VALU_DEP_1)
	v_add3_u32 v13, v14, v13, 0x407ffff
	v_lshrrev_b32_e32 v13, 20, v13
; %bb.153:                              ;   in Loop: Header=BB66_63 Depth=1
	s_and_not1_saveexec_b32 s16, s16
; %bb.154:                              ;   in Loop: Header=BB66_63 Depth=1
	v_add_f32_e64 v13, 0x46800000, |v14|
; %bb.155:                              ;   in Loop: Header=BB66_63 Depth=1
	s_or_b32 exec_lo, exec_lo, s16
.LBB66_156:                             ;   in Loop: Header=BB66_63 Depth=1
	s_delay_alu instid0(SALU_CYCLE_1) | instskip(SKIP_2) | instid1(VALU_DEP_1)
	s_or_b32 exec_lo, exec_lo, s15
	v_dual_mul_f32 v11, v28, v11 :: v_dual_and_b32 v4, 0xffff0000, v4
	s_mov_b32 s15, exec_lo
	v_bfe_u32 v15, v11, 16, 1
	v_cmp_o_f32_e32 vcc_lo, v11, v11
	s_delay_alu instid0(VALU_DEP_2) | instskip(NEXT) | instid1(VALU_DEP_1)
	v_add3_u32 v15, v11, v15, 0x7fff
	v_and_b32_e32 v15, 0xffff0000, v15
	s_delay_alu instid0(VALU_DEP_1) | instskip(NEXT) | instid1(VALU_DEP_1)
	v_cndmask_b32_e32 v11, 0x7fc00000, v15, vcc_lo
	v_mul_f32_e32 v4, v11, v4
	s_delay_alu instid0(VALU_DEP_1) | instskip(SKIP_1) | instid1(VALU_DEP_2)
	v_bfe_u32 v11, v4, 16, 1
	v_cmp_o_f32_e32 vcc_lo, v4, v4
	v_add3_u32 v11, v4, v11, 0x7fff
	s_delay_alu instid0(VALU_DEP_1) | instskip(NEXT) | instid1(VALU_DEP_1)
	v_and_b32_e32 v11, 0xffff0000, v11
	v_cndmask_b32_e32 v4, 0x7fc00000, v11, vcc_lo
	s_delay_alu instid0(VALU_DEP_1) | instskip(NEXT) | instid1(VALU_DEP_1)
	v_div_scale_f32 v11, null, v5, v5, v4
	v_rcp_f32_e32 v15, v11
	s_waitcnt_depctr 0xfff
	v_fma_f32 v16, -v11, v15, 1.0
	s_delay_alu instid0(VALU_DEP_1) | instskip(SKIP_1) | instid1(VALU_DEP_1)
	v_fmac_f32_e32 v15, v16, v15
	v_div_scale_f32 v16, vcc_lo, v4, v5, v4
	v_mul_f32_e32 v17, v16, v15
	s_delay_alu instid0(VALU_DEP_1) | instskip(NEXT) | instid1(VALU_DEP_1)
	v_fma_f32 v18, -v11, v17, v16
	v_fmac_f32_e32 v17, v18, v15
	s_delay_alu instid0(VALU_DEP_1) | instskip(NEXT) | instid1(VALU_DEP_1)
	v_fma_f32 v11, -v11, v17, v16
	v_div_fmas_f32 v11, v11, v15, v17
	s_delay_alu instid0(VALU_DEP_1) | instskip(NEXT) | instid1(VALU_DEP_1)
	v_div_fixup_f32 v4, v11, v5, v4
	v_minmax_f32 v4, v4, s7, 0xc3e00000
	s_delay_alu instid0(VALU_DEP_1) | instskip(NEXT) | instid1(VALU_DEP_1)
	v_and_b32_e32 v5, 0x7fffffff, v4
	v_cmpx_gt_u32_e32 0x43f00000, v5
	s_cbranch_execz .LBB66_59
; %bb.157:                              ;   in Loop: Header=BB66_63 Depth=1
	s_mov_b32 s16, exec_lo
                                        ; implicit-def: $vgpr3
	v_cmpx_lt_u32_e32 0x3c7fffff, v5
	s_xor_b32 s16, exec_lo, s16
; %bb.158:                              ;   in Loop: Header=BB66_63 Depth=1
	v_bfe_u32 v3, v4, 20, 1
	s_delay_alu instid0(VALU_DEP_1) | instskip(NEXT) | instid1(VALU_DEP_1)
	v_add3_u32 v3, v4, v3, 0x407ffff
	v_lshrrev_b32_e32 v3, 20, v3
; %bb.159:                              ;   in Loop: Header=BB66_63 Depth=1
	s_and_not1_saveexec_b32 s16, s16
	s_cbranch_execz .LBB66_58
; %bb.160:                              ;   in Loop: Header=BB66_63 Depth=1
	v_add_f32_e64 v3, 0x46800000, |v4|
	s_branch .LBB66_58
.LBB66_161:
	s_nop 0
	s_sendmsg sendmsg(MSG_DEALLOC_VGPRS)
	s_endpgm
.LBB66_162:
                                        ; implicit-def: $vgpr3_vgpr4
	s_branch .LBB66_51
.LBB66_163:
                                        ; implicit-def: $vgpr1_vgpr2
	s_branch .LBB66_56
	.section	.rodata,"a",@progbits
	.p2align	6, 0x0
	.amdhsa_kernel _ZN4vllm31rms_norm_per_block_quant_kernelIN3c108BFloat16ENS1_13Float8_e4m3fnELb1ELb1ELi128EEEvPT0_PfPKT_S9_PKffiiPS7_l
		.amdhsa_group_segment_fixed_size 4228
		.amdhsa_private_segment_fixed_size 0
		.amdhsa_kernarg_size 328
		.amdhsa_user_sgpr_count 15
		.amdhsa_user_sgpr_dispatch_ptr 0
		.amdhsa_user_sgpr_queue_ptr 0
		.amdhsa_user_sgpr_kernarg_segment_ptr 1
		.amdhsa_user_sgpr_dispatch_id 0
		.amdhsa_user_sgpr_private_segment_size 0
		.amdhsa_wavefront_size32 1
		.amdhsa_uses_dynamic_stack 0
		.amdhsa_enable_private_segment 0
		.amdhsa_system_sgpr_workgroup_id_x 1
		.amdhsa_system_sgpr_workgroup_id_y 0
		.amdhsa_system_sgpr_workgroup_id_z 0
		.amdhsa_system_sgpr_workgroup_info 0
		.amdhsa_system_vgpr_workitem_id 0
		.amdhsa_next_free_vgpr 54
		.amdhsa_next_free_sgpr 43
		.amdhsa_reserve_vcc 1
		.amdhsa_float_round_mode_32 0
		.amdhsa_float_round_mode_16_64 0
		.amdhsa_float_denorm_mode_32 3
		.amdhsa_float_denorm_mode_16_64 3
		.amdhsa_dx10_clamp 1
		.amdhsa_ieee_mode 1
		.amdhsa_fp16_overflow 0
		.amdhsa_workgroup_processor_mode 1
		.amdhsa_memory_ordered 1
		.amdhsa_forward_progress 0
		.amdhsa_shared_vgpr_count 0
		.amdhsa_exception_fp_ieee_invalid_op 0
		.amdhsa_exception_fp_denorm_src 0
		.amdhsa_exception_fp_ieee_div_zero 0
		.amdhsa_exception_fp_ieee_overflow 0
		.amdhsa_exception_fp_ieee_underflow 0
		.amdhsa_exception_fp_ieee_inexact 0
		.amdhsa_exception_int_div_zero 0
	.end_amdhsa_kernel
	.section	.text._ZN4vllm31rms_norm_per_block_quant_kernelIN3c108BFloat16ENS1_13Float8_e4m3fnELb1ELb1ELi128EEEvPT0_PfPKT_S9_PKffiiPS7_l,"axG",@progbits,_ZN4vllm31rms_norm_per_block_quant_kernelIN3c108BFloat16ENS1_13Float8_e4m3fnELb1ELb1ELi128EEEvPT0_PfPKT_S9_PKffiiPS7_l,comdat
.Lfunc_end66:
	.size	_ZN4vllm31rms_norm_per_block_quant_kernelIN3c108BFloat16ENS1_13Float8_e4m3fnELb1ELb1ELi128EEEvPT0_PfPKT_S9_PKffiiPS7_l, .Lfunc_end66-_ZN4vllm31rms_norm_per_block_quant_kernelIN3c108BFloat16ENS1_13Float8_e4m3fnELb1ELb1ELi128EEEvPT0_PfPKT_S9_PKffiiPS7_l
                                        ; -- End function
	.section	.AMDGPU.csdata,"",@progbits
; Kernel info:
; codeLenInByte = 16584
; NumSgprs: 45
; NumVgprs: 54
; ScratchSize: 0
; MemoryBound: 0
; FloatMode: 240
; IeeeMode: 1
; LDSByteSize: 4228 bytes/workgroup (compile time only)
; SGPRBlocks: 5
; VGPRBlocks: 6
; NumSGPRsForWavesPerEU: 45
; NumVGPRsForWavesPerEU: 54
; Occupancy: 16
; WaveLimiterHint : 0
; COMPUTE_PGM_RSRC2:SCRATCH_EN: 0
; COMPUTE_PGM_RSRC2:USER_SGPR: 15
; COMPUTE_PGM_RSRC2:TRAP_HANDLER: 0
; COMPUTE_PGM_RSRC2:TGID_X_EN: 1
; COMPUTE_PGM_RSRC2:TGID_Y_EN: 0
; COMPUTE_PGM_RSRC2:TGID_Z_EN: 0
; COMPUTE_PGM_RSRC2:TIDIG_COMP_CNT: 0
	.section	.text._ZN4vllm31rms_norm_per_block_quant_kernelIN3c108BFloat16ENS1_15Float8_e4m3fnuzELb1ELb1ELi128EEEvPT0_PfPKT_S9_PKffiiPS7_l,"axG",@progbits,_ZN4vllm31rms_norm_per_block_quant_kernelIN3c108BFloat16ENS1_15Float8_e4m3fnuzELb1ELb1ELi128EEEvPT0_PfPKT_S9_PKffiiPS7_l,comdat
	.protected	_ZN4vllm31rms_norm_per_block_quant_kernelIN3c108BFloat16ENS1_15Float8_e4m3fnuzELb1ELb1ELi128EEEvPT0_PfPKT_S9_PKffiiPS7_l ; -- Begin function _ZN4vllm31rms_norm_per_block_quant_kernelIN3c108BFloat16ENS1_15Float8_e4m3fnuzELb1ELb1ELi128EEEvPT0_PfPKT_S9_PKffiiPS7_l
	.globl	_ZN4vllm31rms_norm_per_block_quant_kernelIN3c108BFloat16ENS1_15Float8_e4m3fnuzELb1ELb1ELi128EEEvPT0_PfPKT_S9_PKffiiPS7_l
	.p2align	8
	.type	_ZN4vllm31rms_norm_per_block_quant_kernelIN3c108BFloat16ENS1_15Float8_e4m3fnuzELb1ELb1ELi128EEEvPT0_PfPKT_S9_PKffiiPS7_l,@function
_ZN4vllm31rms_norm_per_block_quant_kernelIN3c108BFloat16ENS1_15Float8_e4m3fnuzELb1ELb1ELi128EEEvPT0_PfPKT_S9_PKffiiPS7_l: ; @_ZN4vllm31rms_norm_per_block_quant_kernelIN3c108BFloat16ENS1_15Float8_e4m3fnuzELb1ELb1ELi128EEEvPT0_PfPKT_S9_PKffiiPS7_l
; %bb.0:
	s_mov_b32 s16, s15
	s_clause 0x3
	s_load_b128 s[12:15], s[0:1], 0x28
	s_load_b256 s[4:11], s[0:1], 0x0
	s_load_b64 s[26:27], s[0:1], 0x38
	s_load_b32 s36, s[0:1], 0x48
	v_mov_b32_e32 v6, 0
	s_mov_b32 s17, 0
	s_waitcnt lgkmcnt(0)
	s_ashr_i32 s3, s14, 31
	s_mul_hi_u32 s15, s14, s16
	s_mul_i32 s3, s3, s16
	s_ashr_i32 s21, s13, 31
	s_mul_i32 s2, s14, s16
	s_add_i32 s3, s15, s3
	s_mul_hi_u32 s14, s13, s16
	s_mul_i32 s15, s21, s16
	s_lshl_b64 s[24:25], s[2:3], 1
	s_mul_i32 s18, s13, s16
	s_add_i32 s19, s14, s15
	s_add_u32 s30, s8, s24
	s_addc_u32 s31, s9, s25
	s_lshl_b64 s[28:29], s[18:19], 1
	s_mov_b32 s20, s13
	s_add_u32 s33, s26, s28
	s_addc_u32 s34, s27, s29
	s_ashr_i32 s14, s13, 2
	s_add_u32 s22, s0, 0x48
	v_cmp_gt_u32_e64 s2, s14, v0
	s_addc_u32 s23, s1, 0
	s_delay_alu instid0(VALU_DEP_1)
	s_and_saveexec_b32 s3, s2
	s_cbranch_execz .LBB67_10
; %bb.1:
	s_cmp_lt_u32 s16, s36
	v_mov_b32_e32 v2, 0
	s_cselect_b32 s13, 12, 18
                                        ; implicit-def: $sgpr15
	v_mov_b32_e32 v1, v0
	s_add_u32 s38, s22, s13
	s_addc_u32 s39, s23, 0
	s_mov_b32 s13, s17
	global_load_u16 v7, v2, s[38:39]
	s_waitcnt vmcnt(0)
	v_lshlrev_b32_e32 v9, 1, v7
	v_mul_lo_u32 v8, v7, 3
	v_add_nc_u32_e32 v10, v7, v7
	v_mov_b32_e32 v6, v2
	s_branch .LBB67_5
.LBB67_2:                               ;   in Loop: Header=BB67_5 Depth=1
	s_or_b32 exec_lo, exec_lo, s38
	s_delay_alu instid0(SALU_CYCLE_1)
	s_or_not1_b32 s38, s39, exec_lo
.LBB67_3:                               ;   in Loop: Header=BB67_5 Depth=1
	s_or_b32 exec_lo, exec_lo, s37
	s_delay_alu instid0(SALU_CYCLE_1) | instskip(SKIP_1) | instid1(SALU_CYCLE_1)
	s_and_not1_b32 s15, s15, exec_lo
	s_and_b32 s37, s38, exec_lo
	s_or_b32 s15, s15, s37
.LBB67_4:                               ;   in Loop: Header=BB67_5 Depth=1
	s_or_b32 exec_lo, exec_lo, s35
	s_delay_alu instid0(SALU_CYCLE_1) | instskip(NEXT) | instid1(SALU_CYCLE_1)
	s_and_b32 s35, exec_lo, s15
	s_or_b32 s13, s35, s13
	s_delay_alu instid0(SALU_CYCLE_1)
	s_and_not1_b32 exec_lo, exec_lo, s13
	s_cbranch_execz .LBB67_9
.LBB67_5:                               ; =>This Inner Loop Header: Depth=1
	v_lshlrev_b64 v[3:4], 3, v[1:2]
	s_or_b32 s15, s15, exec_lo
	s_mov_b32 s35, exec_lo
	s_delay_alu instid0(VALU_DEP_1) | instskip(NEXT) | instid1(VALU_DEP_2)
	v_add_co_u32 v11, vcc_lo, s30, v3
	v_add_co_ci_u32_e32 v12, vcc_lo, s31, v4, vcc_lo
	v_add_co_u32 v3, vcc_lo, s33, v3
	v_add_co_ci_u32_e32 v4, vcc_lo, s34, v4, vcc_lo
	global_load_b64 v[11:12], v[11:12], off
	global_load_b64 v[3:4], v[3:4], off
	s_waitcnt vmcnt(1)
	v_lshlrev_b32_e32 v5, 16, v11
	s_waitcnt vmcnt(0)
	v_lshlrev_b32_e32 v13, 16, v3
	v_and_b32_e32 v14, 0xffff0000, v11
	v_alignbit_b32 v11, v12, v11, 16
	s_delay_alu instid0(VALU_DEP_3) | instskip(NEXT) | instid1(VALU_DEP_1)
	v_add_f32_e32 v5, v5, v13
	v_dual_fmac_f32 v6, v5, v5 :: v_dual_and_b32 v5, 0xffff0000, v12
	v_and_b32_e32 v15, 0xffff0000, v3
	v_alignbit_b32 v3, v4, v3, 16
	s_delay_alu instid0(VALU_DEP_1) | instskip(SKIP_1) | instid1(VALU_DEP_1)
	v_and_b32_e32 v3, 0xffff0000, v3
	v_and_b32_e32 v4, 0xffff0000, v4
	v_dual_add_f32 v4, v5, v4 :: v_dual_and_b32 v11, 0xffff0000, v11
	v_add_f32_e32 v13, v14, v15
	s_delay_alu instid0(VALU_DEP_1) | instskip(NEXT) | instid1(VALU_DEP_1)
	v_dual_add_f32 v3, v11, v3 :: v_dual_fmac_f32 v6, v13, v13
	v_fmac_f32_e32 v6, v3, v3
	s_delay_alu instid0(VALU_DEP_1) | instskip(NEXT) | instid1(VALU_DEP_1)
	v_dual_fmac_f32 v6, v4, v4 :: v_dual_add_nc_u32 v3, v1, v7
	v_cmpx_gt_u32_e64 s14, v3
	s_cbranch_execz .LBB67_4
; %bb.6:                                ;   in Loop: Header=BB67_5 Depth=1
	v_mov_b32_e32 v4, v2
	s_mov_b32 s38, -1
	s_mov_b32 s37, exec_lo
	s_delay_alu instid0(VALU_DEP_1) | instskip(NEXT) | instid1(VALU_DEP_1)
	v_lshlrev_b64 v[4:5], 3, v[3:4]
	v_add_co_u32 v11, vcc_lo, s30, v4
	s_delay_alu instid0(VALU_DEP_2)
	v_add_co_ci_u32_e32 v12, vcc_lo, s31, v5, vcc_lo
	v_add_co_u32 v4, vcc_lo, s33, v4
	v_add_co_ci_u32_e32 v5, vcc_lo, s34, v5, vcc_lo
	global_load_b64 v[11:12], v[11:12], off
	global_load_b64 v[4:5], v[4:5], off
	s_waitcnt vmcnt(1)
	v_lshlrev_b32_e32 v13, 16, v11
	v_and_b32_e32 v15, 0xffff0000, v11
	v_alignbit_b32 v11, v12, v11, 16
	v_and_b32_e32 v12, 0xffff0000, v12
	s_waitcnt vmcnt(0)
	v_lshlrev_b32_e32 v14, 16, v4
	v_and_b32_e32 v16, 0xffff0000, v4
	v_alignbit_b32 v4, v5, v4, 16
	s_delay_alu instid0(VALU_DEP_1) | instskip(SKIP_1) | instid1(VALU_DEP_1)
	v_and_b32_e32 v4, 0xffff0000, v4
	v_and_b32_e32 v5, 0xffff0000, v5
	v_add_f32_e32 v5, v12, v5
	v_add_f32_e32 v13, v13, v14
	s_delay_alu instid0(VALU_DEP_1) | instskip(SKIP_1) | instid1(VALU_DEP_2)
	v_dual_fmac_f32 v6, v13, v13 :: v_dual_and_b32 v11, 0xffff0000, v11
	v_add_f32_e32 v14, v15, v16
	v_add_f32_e32 v4, v11, v4
	s_delay_alu instid0(VALU_DEP_2) | instskip(NEXT) | instid1(VALU_DEP_1)
	v_fmac_f32_e32 v6, v14, v14
	v_fmac_f32_e32 v6, v4, v4
	v_add_nc_u32_e32 v4, v9, v1
	s_delay_alu instid0(VALU_DEP_2) | instskip(NEXT) | instid1(VALU_DEP_2)
	v_fmac_f32_e32 v6, v5, v5
	v_cmpx_gt_u32_e64 s14, v4
	s_cbranch_execz .LBB67_3
; %bb.7:                                ;   in Loop: Header=BB67_5 Depth=1
	v_mov_b32_e32 v5, v2
	v_add_nc_u32_e32 v1, v8, v1
	s_mov_b32 s39, -1
	s_mov_b32 s38, exec_lo
	s_delay_alu instid0(VALU_DEP_2) | instskip(NEXT) | instid1(VALU_DEP_1)
	v_lshlrev_b64 v[4:5], 3, v[4:5]
	v_add_co_u32 v11, vcc_lo, s30, v4
	s_delay_alu instid0(VALU_DEP_2)
	v_add_co_ci_u32_e32 v12, vcc_lo, s31, v5, vcc_lo
	v_add_co_u32 v4, vcc_lo, s33, v4
	v_add_co_ci_u32_e32 v5, vcc_lo, s34, v5, vcc_lo
	global_load_b64 v[11:12], v[11:12], off
	global_load_b64 v[4:5], v[4:5], off
	s_waitcnt vmcnt(1)
	v_and_b32_e32 v15, 0xffff0000, v11
	s_waitcnt vmcnt(0)
	v_lshlrev_b32_e32 v14, 16, v4
	v_and_b32_e32 v16, 0xffff0000, v4
	v_lshlrev_b32_e32 v13, 16, v11
	v_alignbit_b32 v11, v12, v11, 16
	v_alignbit_b32 v4, v5, v4, 16
	s_delay_alu instid0(VALU_DEP_3) | instskip(NEXT) | instid1(VALU_DEP_1)
	v_dual_add_f32 v13, v13, v14 :: v_dual_and_b32 v12, 0xffff0000, v12
	v_fmac_f32_e32 v6, v13, v13
	s_delay_alu instid0(VALU_DEP_4) | instskip(NEXT) | instid1(VALU_DEP_1)
	v_dual_add_f32 v14, v15, v16 :: v_dual_and_b32 v11, 0xffff0000, v11
	v_dual_fmac_f32 v6, v14, v14 :: v_dual_and_b32 v5, 0xffff0000, v5
	s_delay_alu instid0(VALU_DEP_1) | instskip(NEXT) | instid1(VALU_DEP_1)
	v_dual_add_f32 v5, v12, v5 :: v_dual_and_b32 v4, 0xffff0000, v4
	v_add_f32_e32 v4, v11, v4
	s_delay_alu instid0(VALU_DEP_1) | instskip(NEXT) | instid1(VALU_DEP_1)
	v_fmac_f32_e32 v6, v4, v4
	v_fmac_f32_e32 v6, v5, v5
	v_cmpx_gt_u32_e64 s14, v1
	s_xor_b32 s38, exec_lo, s38
	s_cbranch_execz .LBB67_2
; %bb.8:                                ;   in Loop: Header=BB67_5 Depth=1
	v_lshlrev_b64 v[4:5], 3, v[1:2]
	s_delay_alu instid0(VALU_DEP_1) | instskip(NEXT) | instid1(VALU_DEP_2)
	v_add_co_u32 v11, vcc_lo, s30, v4
	v_add_co_ci_u32_e32 v12, vcc_lo, s31, v5, vcc_lo
	v_add_co_u32 v4, vcc_lo, s33, v4
	v_add_co_ci_u32_e32 v5, vcc_lo, s34, v5, vcc_lo
	global_load_b64 v[11:12], v[11:12], off
	global_load_b64 v[4:5], v[4:5], off
	s_waitcnt vmcnt(0)
	v_lshlrev_b32_e32 v13, 16, v4
	v_and_b32_e32 v14, 0xffff0000, v11
	v_alignbit_b32 v15, v5, v4, 16
	v_and_b32_e32 v4, 0xffff0000, v4
	v_lshlrev_b32_e32 v1, 16, v11
	v_alignbit_b32 v11, v12, v11, 16
	v_and_b32_e32 v12, 0xffff0000, v12
	s_delay_alu instid0(VALU_DEP_3) | instskip(NEXT) | instid1(VALU_DEP_1)
	v_dual_add_f32 v4, v14, v4 :: v_dual_add_f32 v1, v1, v13
	v_dual_fmac_f32 v6, v1, v1 :: v_dual_and_b32 v13, 0xffff0000, v15
	s_delay_alu instid0(VALU_DEP_4) | instskip(SKIP_1) | instid1(VALU_DEP_2)
	v_and_b32_e32 v11, 0xffff0000, v11
	v_add3_u32 v1, v10, v7, v3
	v_dual_fmac_f32 v6, v4, v4 :: v_dual_add_f32 v11, v11, v13
	v_and_b32_e32 v5, 0xffff0000, v5
	s_delay_alu instid0(VALU_DEP_3) | instskip(NEXT) | instid1(VALU_DEP_2)
	v_cmp_le_u32_e32 vcc_lo, s14, v1
	v_dual_fmac_f32 v6, v11, v11 :: v_dual_add_f32 v3, v12, v5
	s_or_not1_b32 s39, vcc_lo, exec_lo
	s_delay_alu instid0(VALU_DEP_1)
	v_fmac_f32_e32 v6, v3, v3
	s_branch .LBB67_2
.LBB67_9:
	s_or_b32 exec_lo, exec_lo, s13
.LBB67_10:
	s_delay_alu instid0(SALU_CYCLE_1) | instskip(SKIP_4) | instid1(VALU_DEP_2)
	s_or_b32 exec_lo, exec_lo, s3
	v_mbcnt_lo_u32_b32 v1, -1, 0
	s_load_b32 s3, s[22:23], 0xc
	v_and_b32_e32 v7, 0x3e0, v0
	s_mov_b32 s13, exec_lo
	v_cmp_ne_u32_e32 vcc_lo, 31, v1
	v_add_nc_u32_e32 v3, 1, v1
	v_add_co_ci_u32_e32 v2, vcc_lo, 0, v1, vcc_lo
	v_cmp_gt_u32_e32 vcc_lo, 30, v1
	s_delay_alu instid0(VALU_DEP_2)
	v_lshlrev_b32_e32 v2, 2, v2
	v_cndmask_b32_e64 v5, 0, 1, vcc_lo
	ds_bpermute_b32 v4, v2, v6
	s_waitcnt lgkmcnt(0)
	s_and_b32 s3, s3, 0xffff
	v_lshlrev_b32_e32 v5, 1, v5
	v_sub_nc_u32_e64 v12, s3, v7 clamp
	s_delay_alu instid0(VALU_DEP_1) | instskip(SKIP_1) | instid1(VALU_DEP_4)
	v_cmp_lt_u32_e32 vcc_lo, v3, v12
	v_add_f32_e32 v7, v6, v4
	v_add_lshl_u32 v4, v5, v1, 2
	s_delay_alu instid0(VALU_DEP_2) | instskip(SKIP_2) | instid1(VALU_DEP_1)
	v_cndmask_b32_e32 v7, v6, v7, vcc_lo
	v_cmp_gt_u32_e32 vcc_lo, 28, v1
	v_cndmask_b32_e64 v5, 0, 1, vcc_lo
	v_lshlrev_b32_e32 v8, 2, v5
	ds_bpermute_b32 v6, v4, v7
	v_add_nc_u32_e32 v5, 2, v1
	s_delay_alu instid0(VALU_DEP_1) | instskip(SKIP_3) | instid1(VALU_DEP_2)
	v_cmp_lt_u32_e32 vcc_lo, v5, v12
	s_waitcnt lgkmcnt(0)
	v_add_f32_e32 v9, v7, v6
	v_add_lshl_u32 v6, v8, v1, 2
	v_cndmask_b32_e32 v9, v7, v9, vcc_lo
	v_cmp_gt_u32_e32 vcc_lo, 24, v1
	ds_bpermute_b32 v8, v6, v9
	v_cndmask_b32_e64 v7, 0, 1, vcc_lo
	s_delay_alu instid0(VALU_DEP_1) | instskip(SKIP_1) | instid1(VALU_DEP_1)
	v_lshlrev_b32_e32 v10, 3, v7
	v_add_nc_u32_e32 v7, 4, v1
	v_cmp_lt_u32_e32 vcc_lo, v7, v12
	s_waitcnt lgkmcnt(0)
	v_add_f32_e32 v11, v9, v8
	v_add_lshl_u32 v8, v10, v1, 2
	s_delay_alu instid0(VALU_DEP_2) | instskip(SKIP_3) | instid1(VALU_DEP_1)
	v_cndmask_b32_e32 v11, v9, v11, vcc_lo
	v_cmp_gt_u32_e32 vcc_lo, 16, v1
	ds_bpermute_b32 v10, v8, v11
	v_cndmask_b32_e64 v9, 0, 1, vcc_lo
	v_lshlrev_b32_e32 v13, 4, v9
	v_add_nc_u32_e32 v9, 8, v1
	s_delay_alu instid0(VALU_DEP_1) | instskip(SKIP_3) | instid1(VALU_DEP_2)
	v_cmp_lt_u32_e32 vcc_lo, v9, v12
	s_waitcnt lgkmcnt(0)
	v_add_f32_e32 v14, v11, v10
	v_add_lshl_u32 v10, v13, v1, 2
	v_cndmask_b32_e32 v13, v11, v14, vcc_lo
	v_add_nc_u32_e32 v11, 16, v1
	ds_bpermute_b32 v14, v10, v13
	v_cmp_lt_u32_e32 vcc_lo, v11, v12
	s_waitcnt lgkmcnt(0)
	v_add_f32_e32 v14, v13, v14
	s_delay_alu instid0(VALU_DEP_1)
	v_cndmask_b32_e32 v12, v13, v14, vcc_lo
	v_cmpx_eq_u32_e32 0, v1
	s_cbranch_execz .LBB67_12
; %bb.11:
	v_lshrrev_b32_e32 v13, 3, v0
	s_delay_alu instid0(VALU_DEP_1)
	v_and_b32_e32 v13, 0x7c, v13
	ds_store_b32 v13, v12 offset:4096
.LBB67_12:
	s_or_b32 exec_lo, exec_lo, s13
	s_delay_alu instid0(SALU_CYCLE_1)
	s_mov_b32 s13, exec_lo
	s_waitcnt lgkmcnt(0)
	s_barrier
	buffer_gl0_inv
	v_cmpx_gt_u32_e32 32, v0
	s_cbranch_execz .LBB67_14
; %bb.13:
	v_lshlrev_b32_e32 v1, 2, v1
	s_add_i32 s3, s3, 31
	s_delay_alu instid0(SALU_CYCLE_1) | instskip(NEXT) | instid1(SALU_CYCLE_1)
	s_lshr_b32 s3, s3, 5
	v_cmp_gt_u32_e32 vcc_lo, s3, v3
	ds_load_b32 v1, v1 offset:4096
	s_waitcnt lgkmcnt(0)
	ds_bpermute_b32 v2, v2, v1
	s_waitcnt lgkmcnt(0)
	v_add_f32_e32 v2, v1, v2
	s_delay_alu instid0(VALU_DEP_1) | instskip(SKIP_4) | instid1(VALU_DEP_1)
	v_cndmask_b32_e32 v1, v1, v2, vcc_lo
	v_cmp_gt_u32_e32 vcc_lo, s3, v5
	ds_bpermute_b32 v2, v4, v1
	s_waitcnt lgkmcnt(0)
	v_add_f32_e32 v2, v1, v2
	v_cndmask_b32_e32 v1, v1, v2, vcc_lo
	v_cmp_gt_u32_e32 vcc_lo, s3, v7
	ds_bpermute_b32 v2, v6, v1
	s_waitcnt lgkmcnt(0)
	v_add_f32_e32 v2, v1, v2
	s_delay_alu instid0(VALU_DEP_1) | instskip(SKIP_4) | instid1(VALU_DEP_1)
	v_cndmask_b32_e32 v1, v1, v2, vcc_lo
	v_cmp_gt_u32_e32 vcc_lo, s3, v9
	ds_bpermute_b32 v2, v8, v1
	s_waitcnt lgkmcnt(0)
	v_add_f32_e32 v2, v1, v2
	v_cndmask_b32_e32 v1, v1, v2, vcc_lo
	v_cmp_gt_u32_e32 vcc_lo, s3, v11
	ds_bpermute_b32 v2, v10, v1
	s_waitcnt lgkmcnt(0)
	v_add_f32_e32 v2, v1, v2
	s_delay_alu instid0(VALU_DEP_1)
	v_cndmask_b32_e32 v12, v1, v2, vcc_lo
.LBB67_14:
	s_or_b32 exec_lo, exec_lo, s13
	s_delay_alu instid0(SALU_CYCLE_1)
	s_mov_b32 s3, exec_lo
	v_cmpx_eq_u32_e32 0, v0
	s_cbranch_execz .LBB67_16
; %bb.15:
	v_cvt_f32_i32_e32 v1, s20
	s_delay_alu instid0(VALU_DEP_1) | instskip(SKIP_1) | instid1(VALU_DEP_2)
	v_div_scale_f32 v2, null, v1, v1, v12
	v_div_scale_f32 v5, vcc_lo, v12, v1, v12
	v_rcp_f32_e32 v3, v2
	s_waitcnt_depctr 0xfff
	v_fma_f32 v4, -v2, v3, 1.0
	s_delay_alu instid0(VALU_DEP_1) | instskip(NEXT) | instid1(VALU_DEP_1)
	v_fmac_f32_e32 v3, v4, v3
	v_mul_f32_e32 v4, v5, v3
	s_delay_alu instid0(VALU_DEP_1) | instskip(NEXT) | instid1(VALU_DEP_1)
	v_fma_f32 v6, -v2, v4, v5
	v_fmac_f32_e32 v4, v6, v3
	s_delay_alu instid0(VALU_DEP_1) | instskip(NEXT) | instid1(VALU_DEP_1)
	v_fma_f32 v2, -v2, v4, v5
	v_div_fmas_f32 v2, v2, v3, v4
	s_delay_alu instid0(VALU_DEP_1) | instskip(NEXT) | instid1(VALU_DEP_1)
	v_div_fixup_f32 v1, v2, v1, v12
	v_add_f32_e32 v1, s12, v1
	s_delay_alu instid0(VALU_DEP_1) | instskip(SKIP_1) | instid1(VALU_DEP_2)
	v_mul_f32_e32 v2, 0x4b800000, v1
	v_cmp_gt_f32_e32 vcc_lo, 0x800000, v1
	v_cndmask_b32_e32 v1, v1, v2, vcc_lo
	s_delay_alu instid0(VALU_DEP_1) | instskip(SKIP_2) | instid1(VALU_DEP_1)
	v_rsq_f32_e32 v1, v1
	s_waitcnt_depctr 0xfff
	v_mul_f32_e32 v2, 0x45800000, v1
	v_dual_cndmask_b32 v1, v1, v2 :: v_dual_mov_b32 v2, 0
	ds_store_b32 v2, v1 offset:4224
.LBB67_16:
	s_or_b32 exec_lo, exec_lo, s3
	s_ashr_i32 s3, s20, 31
	v_mov_b32_e32 v4, 0
	s_lshr_b32 s3, s3, 25
	s_waitcnt lgkmcnt(0)
	s_add_i32 s3, s20, s3
	s_barrier
	s_ashr_i32 s12, s3, 7
	s_cmp_lt_u32 s16, s36
	buffer_gl0_inv
	s_cselect_b32 s13, 12, 18
	ds_load_b32 v28, v4 offset:4224
	s_add_u32 s22, s22, s13
	s_addc_u32 s23, s23, 0
	s_abs_i32 s13, s12
	global_load_u16 v1, v4, s[22:23]
	v_cvt_f32_u32_e32 v2, s13
	s_sub_i32 s22, 0, s13
	s_ashr_i32 s3, s3, 31
	s_delay_alu instid0(VALU_DEP_1) | instskip(SKIP_2) | instid1(VALU_DEP_1)
	v_rcp_iflag_f32_e32 v2, v2
	s_waitcnt_depctr 0xfff
	v_mul_f32_e32 v2, 0x4f7ffffe, v2
	v_cvt_u32_f32_e32 v2, v2
	s_delay_alu instid0(VALU_DEP_1) | instskip(NEXT) | instid1(VALU_DEP_1)
	v_readfirstlane_b32 s15, v2
	s_mul_i32 s22, s22, s15
	s_delay_alu instid0(SALU_CYCLE_1) | instskip(NEXT) | instid1(SALU_CYCLE_1)
	s_mul_hi_u32 s22, s15, s22
	s_add_i32 s15, s15, s22
	s_waitcnt vmcnt(0)
	v_readfirstlane_b32 s35, v1
	s_delay_alu instid0(VALU_DEP_1) | instskip(NEXT) | instid1(SALU_CYCLE_1)
	s_mul_hi_u32 s15, s35, s15
	s_mul_i32 s22, s15, s13
	s_add_i32 s23, s15, 1
	s_sub_i32 s22, s35, s22
	s_delay_alu instid0(SALU_CYCLE_1)
	s_sub_i32 s37, s22, s13
	s_cmp_ge_u32 s22, s13
	s_cselect_b32 s15, s23, s15
	s_cselect_b32 s22, s37, s22
	s_add_i32 s23, s15, 1
	s_cmp_ge_u32 s22, s13
	s_cselect_b32 s13, s23, s15
	s_ashr_i32 s15, s14, 31
	s_xor_b32 s13, s13, s3
	s_delay_alu instid0(SALU_CYCLE_1) | instskip(NEXT) | instid1(SALU_CYCLE_1)
	s_sub_i32 s22, s13, s3
	s_abs_i32 s3, s22
	s_ashr_i32 s23, s22, 31
	v_cvt_f32_u32_e32 v1, s3
	s_sub_i32 s13, 0, s3
	s_delay_alu instid0(VALU_DEP_1) | instskip(SKIP_2) | instid1(VALU_DEP_1)
	v_rcp_iflag_f32_e32 v1, v1
	s_waitcnt_depctr 0xfff
	v_mul_f32_e32 v1, 0x4f7ffffe, v1
	v_cvt_u32_f32_e32 v1, v1
	s_delay_alu instid0(VALU_DEP_1) | instskip(SKIP_1) | instid1(VALU_DEP_1)
	v_mul_lo_u32 v2, s13, v1
	s_mov_b32 s13, exec_lo
	v_mul_hi_u32 v2, v1, v2
	s_delay_alu instid0(VALU_DEP_1) | instskip(NEXT) | instid1(VALU_DEP_1)
	v_add_nc_u32_e32 v1, v1, v2
	v_mul_hi_u32 v1, v0, v1
	s_delay_alu instid0(VALU_DEP_1) | instskip(SKIP_1) | instid1(VALU_DEP_2)
	v_mul_lo_u32 v2, v1, s3
	v_add_nc_u32_e32 v3, 1, v1
	v_sub_nc_u32_e32 v2, v0, v2
	s_delay_alu instid0(VALU_DEP_1) | instskip(SKIP_1) | instid1(VALU_DEP_2)
	v_subrev_nc_u32_e32 v5, s3, v2
	v_cmp_le_u32_e32 vcc_lo, s3, v2
	v_dual_cndmask_b32 v2, v2, v5 :: v_dual_cndmask_b32 v1, v1, v3
	s_delay_alu instid0(VALU_DEP_1) | instskip(NEXT) | instid1(VALU_DEP_2)
	v_cmp_le_u32_e32 vcc_lo, s3, v2
	v_add_nc_u32_e32 v3, 1, v1
	s_delay_alu instid0(VALU_DEP_1) | instskip(NEXT) | instid1(VALU_DEP_1)
	v_cndmask_b32_e32 v1, v1, v3, vcc_lo
	v_xor_b32_e32 v1, s23, v1
	s_delay_alu instid0(VALU_DEP_1) | instskip(NEXT) | instid1(VALU_DEP_1)
	v_subrev_nc_u32_e32 v1, s23, v1
	v_ashrrev_i32_e32 v2, 31, v1
	v_mul_lo_u32 v3, v1, s22
	s_delay_alu instid0(VALU_DEP_2) | instskip(NEXT) | instid1(VALU_DEP_2)
	v_lshlrev_b64 v[7:8], 5, v[1:2]
	v_sub_nc_u32_e32 v3, v0, v3
	s_delay_alu instid0(VALU_DEP_2) | instskip(NEXT) | instid1(VALU_DEP_3)
	v_add_co_u32 v5, vcc_lo, v7, 32
	v_add_co_ci_u32_e32 v6, vcc_lo, 0, v8, vcc_lo
	s_delay_alu instid0(VALU_DEP_1) | instskip(SKIP_4) | instid1(VALU_DEP_3)
	v_cmp_gt_i64_e32 vcc_lo, s[14:15], v[5:6]
	v_cndmask_b32_e32 v6, s15, v6, vcc_lo
	v_cndmask_b32_e32 v5, s14, v5, vcc_lo
	v_add_co_u32 v7, vcc_lo, v7, v3
	v_add_co_ci_u32_e32 v8, vcc_lo, 0, v8, vcc_lo
	v_ashrrev_i32_e32 v10, 31, v5
	v_mov_b32_e32 v9, v5
	s_delay_alu instid0(VALU_DEP_1)
	v_cmpx_lt_i64_e64 v[7:8], v[9:10]
	s_cbranch_execz .LBB67_26
; %bb.17:
	v_lshlrev_b64 v[13:14], 8, v[1:2]
	v_lshlrev_b64 v[11:12], 3, v[3:4]
	s_mul_i32 s3, s22, 24
	s_mul_hi_i32 s15, s22, 24
	s_add_u32 s37, s8, s3
	s_delay_alu instid0(VALU_DEP_2) | instskip(SKIP_2) | instid1(VALU_DEP_2)
	v_add_co_u32 v4, vcc_lo, s24, v13
	v_add_co_ci_u32_e32 v15, vcc_lo, s25, v14, vcc_lo
	s_addc_u32 s24, s9, s15
	v_add_co_u32 v17, vcc_lo, s37, v4
	s_lshl_b64 s[38:39], s[22:23], 4
	s_delay_alu instid0(VALU_DEP_2)
	v_add_co_ci_u32_e32 v18, vcc_lo, s24, v15, vcc_lo
	s_lshl_b64 s[24:25], s[22:23], 5
	s_add_u32 s37, s8, s38
	s_addc_u32 s42, s9, s39
	s_lshl_b64 s[40:41], s[22:23], 3
	v_add_co_u32 v19, vcc_lo, s37, v4
	s_add_u32 s37, s8, s40
	v_add_co_ci_u32_e32 v20, vcc_lo, s42, v15, vcc_lo
	s_addc_u32 s42, s9, s41
	v_add_co_u32 v21, vcc_lo, s37, v4
	v_add_co_ci_u32_e32 v22, vcc_lo, s42, v15, vcc_lo
	v_add_co_u32 v23, vcc_lo, s8, v4
	s_add_u32 s8, s10, s3
	v_add_co_ci_u32_e32 v24, vcc_lo, s9, v15, vcc_lo
	s_addc_u32 s9, s11, s15
	v_add_co_u32 v25, vcc_lo, s8, v13
	s_add_u32 s8, s10, s38
	v_add_co_ci_u32_e32 v26, vcc_lo, s9, v14, vcc_lo
	s_addc_u32 s9, s11, s39
	;; [unrolled: 4-line block ×3, first 2 shown]
	v_add_co_u32 v30, vcc_lo, s8, v13
	v_add_co_ci_u32_e32 v31, vcc_lo, s9, v14, vcc_lo
	v_add_co_u32 v32, vcc_lo, s10, v13
	v_add_co_ci_u32_e32 v33, vcc_lo, s11, v14, vcc_lo
	;; [unrolled: 2-line block ×3, first 2 shown]
	s_add_u32 s3, s26, s3
	s_addc_u32 s8, s27, s15
	s_delay_alu instid0(VALU_DEP_2)
	v_add_co_u32 v34, vcc_lo, s3, v4
	s_add_u32 s3, s26, s38
	v_add_co_ci_u32_e32 v35, vcc_lo, s8, v13, vcc_lo
	s_addc_u32 s8, s27, s39
	v_add_co_u32 v36, vcc_lo, s3, v4
	s_add_u32 s3, s26, s40
	v_add_co_ci_u32_e32 v37, vcc_lo, s8, v13, vcc_lo
	s_addc_u32 s8, s27, s41
	v_add_co_u32 v38, vcc_lo, s3, v4
	v_add_co_ci_u32_e32 v39, vcc_lo, s8, v13, vcc_lo
	v_add_co_u32 v40, vcc_lo, s26, v4
	v_add_co_ci_u32_e32 v41, vcc_lo, s27, v13, vcc_lo
	v_mov_b32_e32 v14, v8
	v_dual_mov_b32 v4, 0 :: v_dual_mov_b32 v13, v7
	s_mul_hi_i32 s15, s22, 3
	s_mul_i32 s26, s22, 3
	s_lshl_b64 s[8:9], s[22:23], 1
	s_mov_b32 s27, 0
                                        ; implicit-def: $sgpr28
	s_branch .LBB67_21
.LBB67_18:                              ;   in Loop: Header=BB67_21 Depth=1
	s_or_b32 exec_lo, exec_lo, s38
	s_delay_alu instid0(SALU_CYCLE_1)
	s_or_not1_b32 s3, s3, exec_lo
.LBB67_19:                              ;   in Loop: Header=BB67_21 Depth=1
	s_or_b32 exec_lo, exec_lo, s37
	s_delay_alu instid0(SALU_CYCLE_1) | instskip(SKIP_1) | instid1(SALU_CYCLE_1)
	s_and_not1_b32 s28, s28, exec_lo
	s_and_b32 s3, s3, exec_lo
	s_or_b32 s28, s28, s3
.LBB67_20:                              ;   in Loop: Header=BB67_21 Depth=1
	s_or_b32 exec_lo, exec_lo, s29
	s_delay_alu instid0(SALU_CYCLE_1) | instskip(NEXT) | instid1(SALU_CYCLE_1)
	s_and_b32 s3, exec_lo, s28
	s_or_b32 s27, s3, s27
	s_delay_alu instid0(SALU_CYCLE_1)
	s_and_not1_b32 exec_lo, exec_lo, s27
	s_cbranch_execz .LBB67_25
.LBB67_21:                              ; =>This Inner Loop Header: Depth=1
	v_add_co_u32 v15, vcc_lo, v23, v11
	v_add_co_ci_u32_e32 v16, vcc_lo, v24, v12, vcc_lo
	v_add_co_u32 v42, vcc_lo, v32, v11
	v_add_co_ci_u32_e32 v43, vcc_lo, v33, v12, vcc_lo
	;; [unrolled: 2-line block ×3, first 2 shown]
	global_load_b64 v[15:16], v[15:16], off
	global_load_b64 v[42:43], v[42:43], off
	;; [unrolled: 1-line block ×3, first 2 shown]
	s_or_b32 s28, s28, exec_lo
	s_mov_b32 s29, exec_lo
	s_waitcnt vmcnt(2)
	v_lshlrev_b32_e32 v48, 16, v15
	s_waitcnt vmcnt(0)
	v_and_b32_e32 v50, 0xffff0000, v44
	v_lshlrev_b32_e32 v49, 16, v44
	v_alignbit_b32 v44, v45, v44, 16
	s_delay_alu instid0(VALU_DEP_1) | instskip(SKIP_2) | instid1(VALU_DEP_1)
	v_and_b32_e32 v44, 0xffff0000, v44
	v_and_b32_e32 v46, 0xffff0000, v15
	v_alignbit_b32 v15, v16, v15, 16
	v_and_b32_e32 v15, 0xffff0000, v15
	s_delay_alu instid0(VALU_DEP_1) | instskip(SKIP_2) | instid1(VALU_DEP_2)
	v_dual_add_f32 v15, v15, v44 :: v_dual_add_f32 v46, v46, v50
	v_dual_add_f32 v48, v48, v49 :: v_dual_and_b32 v47, 0xffff0000, v42
	s_waitcnt lgkmcnt(0)
	v_dual_mul_f32 v15, v28, v15 :: v_dual_and_b32 v16, 0xffff0000, v16
	s_delay_alu instid0(VALU_DEP_3) | instskip(NEXT) | instid1(VALU_DEP_3)
	v_dual_mul_f32 v46, v28, v46 :: v_dual_and_b32 v45, 0xffff0000, v45
	v_mul_f32_e32 v48, v28, v48
	s_delay_alu instid0(VALU_DEP_3) | instskip(NEXT) | instid1(VALU_DEP_3)
	v_bfe_u32 v51, v15, 16, 1
	v_dual_add_f32 v16, v16, v45 :: v_dual_lshlrev_b32 v45, 16, v42
	s_delay_alu instid0(VALU_DEP_3) | instskip(SKIP_1) | instid1(VALU_DEP_3)
	v_bfe_u32 v44, v48, 16, 1
	v_alignbit_b32 v42, v43, v42, 16
	v_dual_mul_f32 v16, v28, v16 :: v_dual_and_b32 v43, 0xffff0000, v43
	v_bfe_u32 v49, v46, 16, 1
	s_delay_alu instid0(VALU_DEP_4)
	v_add3_u32 v44, v48, v44, 0x7fff
	v_cmp_o_f32_e32 vcc_lo, v48, v48
	v_and_b32_e32 v42, 0xffff0000, v42
	v_bfe_u32 v50, v16, 16, 1
	v_add3_u32 v49, v46, v49, 0x7fff
	v_and_b32_e32 v44, 0xffff0000, v44
	v_add3_u32 v51, v15, v51, 0x7fff
	s_delay_alu instid0(VALU_DEP_4) | instskip(NEXT) | instid1(VALU_DEP_4)
	v_add3_u32 v50, v16, v50, 0x7fff
	v_and_b32_e32 v49, 0xffff0000, v49
	s_delay_alu instid0(VALU_DEP_4)
	v_cndmask_b32_e32 v44, 0x7fc00000, v44, vcc_lo
	v_cmp_o_f32_e32 vcc_lo, v46, v46
	v_and_b32_e32 v48, 0xffff0000, v51
	v_and_b32_e32 v50, 0xffff0000, v50
	v_cndmask_b32_e32 v46, 0x7fc00000, v49, vcc_lo
	v_cmp_o_f32_e32 vcc_lo, v16, v16
	s_delay_alu instid0(VALU_DEP_3) | instskip(SKIP_1) | instid1(VALU_DEP_4)
	v_cndmask_b32_e32 v16, 0x7fc00000, v50, vcc_lo
	v_cmp_o_f32_e32 vcc_lo, v15, v15
	v_dual_mul_f32 v44, v44, v45 :: v_dual_mul_f32 v45, v46, v47
	s_delay_alu instid0(VALU_DEP_3) | instskip(SKIP_1) | instid1(VALU_DEP_3)
	v_mul_f32_e32 v43, v16, v43
	v_cndmask_b32_e32 v15, 0x7fc00000, v48, vcc_lo
	v_bfe_u32 v46, v44, 16, 1
	s_delay_alu instid0(VALU_DEP_4) | instskip(SKIP_1) | instid1(VALU_DEP_4)
	v_bfe_u32 v16, v45, 16, 1
	v_cmp_o_f32_e32 vcc_lo, v44, v44
	v_mul_f32_e32 v42, v15, v42
	s_delay_alu instid0(VALU_DEP_4) | instskip(NEXT) | instid1(VALU_DEP_4)
	v_add3_u32 v15, v44, v46, 0x7fff
	v_add3_u32 v16, v45, v16, 0x7fff
	v_bfe_u32 v46, v43, 16, 1
	s_delay_alu instid0(VALU_DEP_4) | instskip(NEXT) | instid1(VALU_DEP_4)
	v_bfe_u32 v47, v42, 16, 1
	v_and_b32_e32 v15, 0xffff0000, v15
	s_delay_alu instid0(VALU_DEP_4) | instskip(NEXT) | instid1(VALU_DEP_4)
	v_and_b32_e32 v16, 0xffff0000, v16
	v_add3_u32 v46, v43, v46, 0x7fff
	s_delay_alu instid0(VALU_DEP_4) | instskip(NEXT) | instid1(VALU_DEP_4)
	v_add3_u32 v47, v42, v47, 0x7fff
	v_cndmask_b32_e64 v44, 0x7fc00000, |v15|, vcc_lo
	v_cmp_o_f32_e32 vcc_lo, v45, v45
	s_delay_alu instid0(VALU_DEP_4) | instskip(NEXT) | instid1(VALU_DEP_4)
	v_and_b32_e32 v46, 0xffff0000, v46
	v_and_b32_e32 v47, 0xffff0000, v47
	v_cndmask_b32_e64 v45, 0x7fc00000, |v16|, vcc_lo
	v_add_co_u32 v15, vcc_lo, v13, s22
	v_add_co_ci_u32_e32 v16, vcc_lo, s23, v14, vcc_lo
	v_cmp_o_f32_e32 vcc_lo, v42, v42
	s_delay_alu instid0(VALU_DEP_4) | instskip(SKIP_3) | instid1(VALU_DEP_1)
	v_max3_f32 v4, v4, v44, v45
	v_cndmask_b32_e64 v42, 0x7fc00000, |v47|, vcc_lo
	v_cmp_o_f32_e32 vcc_lo, v43, v43
	v_cndmask_b32_e64 v43, 0x7fc00000, |v46|, vcc_lo
	v_max3_f32 v4, v4, v42, v43
	v_cmpx_lt_i64_e64 v[15:16], v[9:10]
	s_cbranch_execz .LBB67_20
; %bb.22:                               ;   in Loop: Header=BB67_21 Depth=1
	v_add_co_u32 v42, vcc_lo, v21, v11
	v_add_co_ci_u32_e32 v43, vcc_lo, v22, v12, vcc_lo
	v_add_co_u32 v44, vcc_lo, v30, v11
	v_add_co_ci_u32_e32 v45, vcc_lo, v31, v12, vcc_lo
	;; [unrolled: 2-line block ×3, first 2 shown]
	global_load_b64 v[42:43], v[42:43], off
	global_load_b64 v[44:45], v[44:45], off
	;; [unrolled: 1-line block ×3, first 2 shown]
	s_mov_b32 s3, -1
	s_mov_b32 s37, exec_lo
	s_waitcnt vmcnt(2)
	v_lshlrev_b32_e32 v50, 16, v42
	s_waitcnt vmcnt(0)
	v_lshlrev_b32_e32 v51, 16, v46
	v_and_b32_e32 v52, 0xffff0000, v46
	v_alignbit_b32 v46, v47, v46, 16
	v_and_b32_e32 v47, 0xffff0000, v47
	v_and_b32_e32 v48, 0xffff0000, v42
	v_alignbit_b32 v42, v43, v42, 16
	v_and_b32_e32 v43, 0xffff0000, v43
	s_delay_alu instid0(VALU_DEP_1) | instskip(NEXT) | instid1(VALU_DEP_4)
	v_dual_add_f32 v43, v43, v47 :: v_dual_and_b32 v46, 0xffff0000, v46
	v_add_f32_e32 v48, v48, v52
	v_lshlrev_b32_e32 v47, 16, v44
	s_delay_alu instid0(VALU_DEP_3) | instskip(NEXT) | instid1(VALU_DEP_3)
	v_mul_f32_e32 v43, v28, v43
	v_mul_f32_e32 v48, v28, v48
	v_dual_add_f32 v50, v50, v51 :: v_dual_and_b32 v49, 0xffff0000, v44
	v_alignbit_b32 v44, v45, v44, 16
	v_and_b32_e32 v45, 0xffff0000, v45
	v_and_b32_e32 v42, 0xffff0000, v42
	v_bfe_u32 v51, v48, 16, 1
	v_mul_f32_e32 v50, v28, v50
	v_bfe_u32 v52, v43, 16, 1
	v_and_b32_e32 v44, 0xffff0000, v44
	v_add_f32_e32 v42, v42, v46
	v_add3_u32 v51, v48, v51, 0x7fff
	v_bfe_u32 v46, v50, 16, 1
	v_cmp_o_f32_e32 vcc_lo, v50, v50
	v_add3_u32 v52, v43, v52, 0x7fff
	s_delay_alu instid0(VALU_DEP_4) | instskip(NEXT) | instid1(VALU_DEP_4)
	v_dual_mul_f32 v42, v28, v42 :: v_dual_and_b32 v51, 0xffff0000, v51
	v_add3_u32 v46, v50, v46, 0x7fff
	s_delay_alu instid0(VALU_DEP_3) | instskip(NEXT) | instid1(VALU_DEP_3)
	v_and_b32_e32 v52, 0xffff0000, v52
	v_bfe_u32 v53, v42, 16, 1
	s_delay_alu instid0(VALU_DEP_3) | instskip(NEXT) | instid1(VALU_DEP_2)
	v_and_b32_e32 v46, 0xffff0000, v46
	v_add3_u32 v53, v42, v53, 0x7fff
	s_delay_alu instid0(VALU_DEP_2) | instskip(SKIP_1) | instid1(VALU_DEP_3)
	v_cndmask_b32_e32 v46, 0x7fc00000, v46, vcc_lo
	v_cmp_o_f32_e32 vcc_lo, v48, v48
	v_and_b32_e32 v50, 0xffff0000, v53
	s_delay_alu instid0(VALU_DEP_3) | instskip(SKIP_2) | instid1(VALU_DEP_2)
	v_mul_f32_e32 v46, v46, v47
	v_cndmask_b32_e32 v48, 0x7fc00000, v51, vcc_lo
	v_cmp_o_f32_e32 vcc_lo, v43, v43
	v_mul_f32_e32 v47, v48, v49
	v_cndmask_b32_e32 v43, 0x7fc00000, v52, vcc_lo
	v_cmp_o_f32_e32 vcc_lo, v42, v42
	v_bfe_u32 v48, v46, 16, 1
	s_delay_alu instid0(VALU_DEP_3) | instskip(SKIP_2) | instid1(VALU_DEP_2)
	v_dual_mul_f32 v45, v43, v45 :: v_dual_cndmask_b32 v42, 0x7fc00000, v50
	v_bfe_u32 v43, v47, 16, 1
	v_cmp_o_f32_e32 vcc_lo, v46, v46
	v_add3_u32 v43, v47, v43, 0x7fff
	s_delay_alu instid0(VALU_DEP_4) | instskip(SKIP_2) | instid1(VALU_DEP_4)
	v_mul_f32_e32 v44, v42, v44
	v_add3_u32 v42, v46, v48, 0x7fff
	v_bfe_u32 v48, v45, 16, 1
	v_and_b32_e32 v43, 0xffff0000, v43
	s_delay_alu instid0(VALU_DEP_4) | instskip(NEXT) | instid1(VALU_DEP_4)
	v_bfe_u32 v49, v44, 16, 1
	v_and_b32_e32 v42, 0xffff0000, v42
	s_delay_alu instid0(VALU_DEP_4) | instskip(NEXT) | instid1(VALU_DEP_3)
	v_add3_u32 v48, v45, v48, 0x7fff
	v_add3_u32 v49, v44, v49, 0x7fff
	s_delay_alu instid0(VALU_DEP_3) | instskip(SKIP_1) | instid1(VALU_DEP_4)
	v_cndmask_b32_e64 v46, 0x7fc00000, |v42|, vcc_lo
	v_cmp_o_f32_e32 vcc_lo, v47, v47
	v_and_b32_e32 v48, 0xffff0000, v48
	s_delay_alu instid0(VALU_DEP_4) | instskip(SKIP_4) | instid1(VALU_DEP_4)
	v_and_b32_e32 v49, 0xffff0000, v49
	v_cndmask_b32_e64 v47, 0x7fc00000, |v43|, vcc_lo
	v_add_co_u32 v42, vcc_lo, s8, v13
	v_add_co_ci_u32_e32 v43, vcc_lo, s9, v14, vcc_lo
	v_cmp_o_f32_e32 vcc_lo, v44, v44
	v_max3_f32 v4, v4, v46, v47
	v_cndmask_b32_e64 v44, 0x7fc00000, |v49|, vcc_lo
	v_cmp_o_f32_e32 vcc_lo, v45, v45
	v_cndmask_b32_e64 v45, 0x7fc00000, |v48|, vcc_lo
	s_delay_alu instid0(VALU_DEP_1)
	v_max3_f32 v4, v4, v44, v45
	v_cmpx_lt_i64_e64 v[42:43], v[9:10]
	s_cbranch_execz .LBB67_19
; %bb.23:                               ;   in Loop: Header=BB67_21 Depth=1
	v_add_co_u32 v42, vcc_lo, v19, v11
	v_add_co_ci_u32_e32 v43, vcc_lo, v20, v12, vcc_lo
	v_add_co_u32 v44, vcc_lo, v27, v11
	v_add_co_ci_u32_e32 v45, vcc_lo, v29, v12, vcc_lo
	;; [unrolled: 2-line block ×3, first 2 shown]
	global_load_b64 v[42:43], v[42:43], off
	global_load_b64 v[44:45], v[44:45], off
	;; [unrolled: 1-line block ×3, first 2 shown]
	s_waitcnt vmcnt(2)
	v_lshlrev_b32_e32 v50, 16, v42
	s_waitcnt vmcnt(0)
	v_lshlrev_b32_e32 v51, 16, v46
	v_and_b32_e32 v52, 0xffff0000, v46
	v_alignbit_b32 v46, v47, v46, 16
	v_and_b32_e32 v47, 0xffff0000, v47
	v_and_b32_e32 v48, 0xffff0000, v42
	v_alignbit_b32 v42, v43, v42, 16
	v_and_b32_e32 v43, 0xffff0000, v43
	s_delay_alu instid0(VALU_DEP_1) | instskip(NEXT) | instid1(VALU_DEP_4)
	v_dual_add_f32 v43, v43, v47 :: v_dual_and_b32 v46, 0xffff0000, v46
	v_add_f32_e32 v48, v48, v52
	v_lshlrev_b32_e32 v47, 16, v44
	s_delay_alu instid0(VALU_DEP_3) | instskip(NEXT) | instid1(VALU_DEP_3)
	v_mul_f32_e32 v43, v28, v43
	v_mul_f32_e32 v48, v28, v48
	v_dual_add_f32 v50, v50, v51 :: v_dual_and_b32 v49, 0xffff0000, v44
	v_alignbit_b32 v44, v45, v44, 16
	v_and_b32_e32 v45, 0xffff0000, v45
	v_and_b32_e32 v42, 0xffff0000, v42
	v_bfe_u32 v51, v48, 16, 1
	v_mul_f32_e32 v50, v28, v50
	v_bfe_u32 v52, v43, 16, 1
	v_and_b32_e32 v44, 0xffff0000, v44
	v_add_f32_e32 v42, v42, v46
	v_add3_u32 v51, v48, v51, 0x7fff
	v_bfe_u32 v46, v50, 16, 1
	v_cmp_o_f32_e32 vcc_lo, v50, v50
	v_add3_u32 v52, v43, v52, 0x7fff
	s_delay_alu instid0(VALU_DEP_4) | instskip(NEXT) | instid1(VALU_DEP_4)
	v_dual_mul_f32 v42, v28, v42 :: v_dual_and_b32 v51, 0xffff0000, v51
	v_add3_u32 v46, v50, v46, 0x7fff
	s_delay_alu instid0(VALU_DEP_3) | instskip(NEXT) | instid1(VALU_DEP_3)
	v_and_b32_e32 v52, 0xffff0000, v52
	v_bfe_u32 v53, v42, 16, 1
	s_delay_alu instid0(VALU_DEP_3) | instskip(NEXT) | instid1(VALU_DEP_2)
	v_and_b32_e32 v46, 0xffff0000, v46
	v_add3_u32 v53, v42, v53, 0x7fff
	s_delay_alu instid0(VALU_DEP_2) | instskip(SKIP_1) | instid1(VALU_DEP_3)
	v_cndmask_b32_e32 v46, 0x7fc00000, v46, vcc_lo
	v_cmp_o_f32_e32 vcc_lo, v48, v48
	v_and_b32_e32 v50, 0xffff0000, v53
	s_delay_alu instid0(VALU_DEP_3) | instskip(SKIP_2) | instid1(VALU_DEP_2)
	v_mul_f32_e32 v46, v46, v47
	v_cndmask_b32_e32 v48, 0x7fc00000, v51, vcc_lo
	v_cmp_o_f32_e32 vcc_lo, v43, v43
	v_mul_f32_e32 v47, v48, v49
	v_cndmask_b32_e32 v43, 0x7fc00000, v52, vcc_lo
	v_cmp_o_f32_e32 vcc_lo, v42, v42
	v_bfe_u32 v48, v46, 16, 1
	s_delay_alu instid0(VALU_DEP_3) | instskip(SKIP_2) | instid1(VALU_DEP_2)
	v_dual_mul_f32 v43, v43, v45 :: v_dual_cndmask_b32 v42, 0x7fc00000, v50
	v_bfe_u32 v45, v47, 16, 1
	v_cmp_o_f32_e32 vcc_lo, v46, v46
	v_add3_u32 v45, v47, v45, 0x7fff
	s_delay_alu instid0(VALU_DEP_4) | instskip(SKIP_2) | instid1(VALU_DEP_4)
	v_mul_f32_e32 v42, v42, v44
	v_add3_u32 v44, v46, v48, 0x7fff
	v_bfe_u32 v48, v43, 16, 1
	v_and_b32_e32 v45, 0xffff0000, v45
	s_delay_alu instid0(VALU_DEP_4) | instskip(NEXT) | instid1(VALU_DEP_4)
	v_bfe_u32 v49, v42, 16, 1
	v_and_b32_e32 v44, 0xffff0000, v44
	s_delay_alu instid0(VALU_DEP_4) | instskip(NEXT) | instid1(VALU_DEP_3)
	v_add3_u32 v48, v43, v48, 0x7fff
	v_add3_u32 v49, v42, v49, 0x7fff
	s_delay_alu instid0(VALU_DEP_3) | instskip(SKIP_1) | instid1(VALU_DEP_4)
	v_cndmask_b32_e64 v44, 0x7fc00000, |v44|, vcc_lo
	v_cmp_o_f32_e32 vcc_lo, v47, v47
	v_and_b32_e32 v47, 0xffff0000, v48
	s_delay_alu instid0(VALU_DEP_4) | instskip(SKIP_4) | instid1(VALU_DEP_4)
	v_and_b32_e32 v46, 0xffff0000, v49
	v_cndmask_b32_e64 v45, 0x7fc00000, |v45|, vcc_lo
	v_add_co_u32 v13, vcc_lo, s26, v13
	v_add_co_ci_u32_e32 v14, vcc_lo, s15, v14, vcc_lo
	v_cmp_o_f32_e32 vcc_lo, v42, v42
	v_max3_f32 v4, v4, v44, v45
	v_cndmask_b32_e64 v42, 0x7fc00000, |v46|, vcc_lo
	v_cmp_o_f32_e32 vcc_lo, v43, v43
	v_cndmask_b32_e64 v43, 0x7fc00000, |v47|, vcc_lo
	v_cmp_lt_i64_e32 vcc_lo, v[13:14], v[9:10]
                                        ; implicit-def: $vgpr13_vgpr14
	s_delay_alu instid0(VALU_DEP_2) | instskip(SKIP_1) | instid1(SALU_CYCLE_1)
	v_max3_f32 v4, v4, v42, v43
	s_and_saveexec_b32 s38, vcc_lo
	s_xor_b32 s38, exec_lo, s38
	s_cbranch_execz .LBB67_18
; %bb.24:                               ;   in Loop: Header=BB67_21 Depth=1
	v_add_co_u32 v13, vcc_lo, v17, v11
	v_add_co_ci_u32_e32 v14, vcc_lo, v18, v12, vcc_lo
	v_add_co_u32 v42, vcc_lo, v25, v11
	v_add_co_ci_u32_e32 v43, vcc_lo, v26, v12, vcc_lo
	;; [unrolled: 2-line block ×3, first 2 shown]
	global_load_b64 v[13:14], v[13:14], off
	global_load_b64 v[42:43], v[42:43], off
	;; [unrolled: 1-line block ×3, first 2 shown]
	v_add_co_u32 v17, vcc_lo, v17, s24
	v_add_co_ci_u32_e32 v18, vcc_lo, s25, v18, vcc_lo
	v_add_co_u32 v19, vcc_lo, v19, s24
	v_add_co_ci_u32_e32 v20, vcc_lo, s25, v20, vcc_lo
	;; [unrolled: 2-line block ×10, first 2 shown]
	s_add_u32 s3, s22, s22
	s_addc_u32 s39, s23, s23
	s_add_u32 s3, s3, s22
	s_addc_u32 s39, s39, s23
	s_waitcnt vmcnt(2)
	v_lshlrev_b32_e32 v48, 16, v13
	s_waitcnt vmcnt(0)
	v_and_b32_e32 v50, 0xffff0000, v44
	v_lshlrev_b32_e32 v49, 16, v44
	v_alignbit_b32 v44, v45, v44, 16
	s_delay_alu instid0(VALU_DEP_1) | instskip(SKIP_2) | instid1(VALU_DEP_1)
	v_and_b32_e32 v44, 0xffff0000, v44
	v_and_b32_e32 v46, 0xffff0000, v13
	v_alignbit_b32 v13, v14, v13, 16
	v_and_b32_e32 v13, 0xffff0000, v13
	s_delay_alu instid0(VALU_DEP_1) | instskip(SKIP_1) | instid1(VALU_DEP_2)
	v_dual_add_f32 v13, v13, v44 :: v_dual_add_f32 v46, v46, v50
	v_dual_add_f32 v48, v48, v49 :: v_dual_and_b32 v47, 0xffff0000, v42
	v_dual_mul_f32 v13, v28, v13 :: v_dual_and_b32 v14, 0xffff0000, v14
	s_delay_alu instid0(VALU_DEP_3) | instskip(NEXT) | instid1(VALU_DEP_3)
	v_dual_mul_f32 v46, v28, v46 :: v_dual_and_b32 v45, 0xffff0000, v45
	v_mul_f32_e32 v48, v28, v48
	s_delay_alu instid0(VALU_DEP_3) | instskip(NEXT) | instid1(VALU_DEP_3)
	v_bfe_u32 v51, v13, 16, 1
	v_dual_add_f32 v14, v14, v45 :: v_dual_lshlrev_b32 v45, 16, v42
	s_delay_alu instid0(VALU_DEP_3) | instskip(SKIP_2) | instid1(VALU_DEP_4)
	v_bfe_u32 v44, v48, 16, 1
	v_bfe_u32 v49, v46, 16, 1
	v_alignbit_b32 v42, v43, v42, 16
	v_dual_mul_f32 v14, v28, v14 :: v_dual_and_b32 v43, 0xffff0000, v43
	s_delay_alu instid0(VALU_DEP_4) | instskip(NEXT) | instid1(VALU_DEP_4)
	v_add3_u32 v44, v48, v44, 0x7fff
	v_add3_u32 v49, v46, v49, 0x7fff
	v_cmp_o_f32_e32 vcc_lo, v48, v48
	s_delay_alu instid0(VALU_DEP_4)
	v_bfe_u32 v50, v14, 16, 1
	v_and_b32_e32 v42, 0xffff0000, v42
	v_and_b32_e32 v44, 0xffff0000, v44
	;; [unrolled: 1-line block ×3, first 2 shown]
	v_add3_u32 v51, v13, v51, 0x7fff
	v_add3_u32 v50, v14, v50, 0x7fff
	s_delay_alu instid0(VALU_DEP_4) | instskip(SKIP_1) | instid1(VALU_DEP_4)
	v_cndmask_b32_e32 v44, 0x7fc00000, v44, vcc_lo
	v_cmp_o_f32_e32 vcc_lo, v46, v46
	v_and_b32_e32 v48, 0xffff0000, v51
	s_delay_alu instid0(VALU_DEP_4) | instskip(SKIP_2) | instid1(VALU_DEP_3)
	v_and_b32_e32 v50, 0xffff0000, v50
	v_cndmask_b32_e32 v46, 0x7fc00000, v49, vcc_lo
	v_cmp_o_f32_e32 vcc_lo, v14, v14
	v_cndmask_b32_e32 v14, 0x7fc00000, v50, vcc_lo
	v_cmp_o_f32_e32 vcc_lo, v13, v13
	s_delay_alu instid0(VALU_DEP_4) | instskip(NEXT) | instid1(VALU_DEP_3)
	v_dual_mul_f32 v44, v44, v45 :: v_dual_mul_f32 v45, v46, v47
	v_mul_f32_e32 v43, v14, v43
	v_cndmask_b32_e32 v13, 0x7fc00000, v48, vcc_lo
	s_delay_alu instid0(VALU_DEP_3) | instskip(NEXT) | instid1(VALU_DEP_4)
	v_bfe_u32 v14, v44, 16, 1
	v_bfe_u32 v46, v45, 16, 1
	v_cmp_o_f32_e32 vcc_lo, v44, v44
	s_delay_alu instid0(VALU_DEP_4) | instskip(NEXT) | instid1(VALU_DEP_4)
	v_mul_f32_e32 v42, v13, v42
	v_add3_u32 v14, v44, v14, 0x7fff
	v_bfe_u32 v13, v43, 16, 1
	v_add3_u32 v46, v45, v46, 0x7fff
	s_delay_alu instid0(VALU_DEP_4) | instskip(NEXT) | instid1(VALU_DEP_4)
	v_bfe_u32 v47, v42, 16, 1
	v_and_b32_e32 v14, 0xffff0000, v14
	s_delay_alu instid0(VALU_DEP_4) | instskip(NEXT) | instid1(VALU_DEP_4)
	v_add3_u32 v13, v43, v13, 0x7fff
	v_and_b32_e32 v46, 0xffff0000, v46
	s_delay_alu instid0(VALU_DEP_4) | instskip(NEXT) | instid1(VALU_DEP_4)
	v_add3_u32 v47, v42, v47, 0x7fff
	v_cndmask_b32_e64 v44, 0x7fc00000, |v14|, vcc_lo
	v_cmp_o_f32_e32 vcc_lo, v45, v45
	v_and_b32_e32 v48, 0xffff0000, v13
	v_cndmask_b32_e64 v45, 0x7fc00000, |v46|, vcc_lo
	v_add_co_u32 v13, vcc_lo, s3, v15
	v_add_co_ci_u32_e32 v14, vcc_lo, s39, v16, vcc_lo
	v_cmp_o_f32_e32 vcc_lo, v43, v43
	v_and_b32_e32 v15, 0xffff0000, v47
	v_max3_f32 v4, v4, v44, v45
	v_add_co_u32 v40, s3, v40, s24
	v_cndmask_b32_e64 v16, 0x7fc00000, |v48|, vcc_lo
	v_cmp_o_f32_e32 vcc_lo, v42, v42
	v_add_co_ci_u32_e64 v41, s3, s25, v41, s3
	v_cndmask_b32_e64 v15, 0x7fc00000, |v15|, vcc_lo
	v_add_co_u32 v38, vcc_lo, v38, s24
	v_add_co_ci_u32_e32 v39, vcc_lo, s25, v39, vcc_lo
	v_cmp_ge_i64_e32 vcc_lo, v[13:14], v[9:10]
	s_delay_alu instid0(VALU_DEP_4)
	v_max3_f32 v4, v4, v15, v16
	s_or_not1_b32 s3, vcc_lo, exec_lo
	s_branch .LBB67_18
.LBB67_25:
	s_or_b32 exec_lo, exec_lo, s27
.LBB67_26:
	s_delay_alu instid0(SALU_CYCLE_1)
	s_or_b32 exec_lo, exec_lo, s13
	s_lshr_b32 s15, s35, 5
	v_lshlrev_b32_e32 v29, 2, v0
	v_cvt_f32_u32_e32 v9, s15
	s_sub_i32 s8, 0, s15
	s_add_i32 s9, s12, s15
	s_delay_alu instid0(SALU_CYCLE_1) | instskip(NEXT) | instid1(VALU_DEP_1)
	s_add_i32 s9, s9, -1
	v_rcp_iflag_f32_e32 v9, v9
	s_abs_i32 s13, s9
	s_ashr_i32 s9, s9, 31
	ds_store_b32 v29, v4
	s_waitcnt lgkmcnt(0)
	s_barrier
	buffer_gl0_inv
	v_mul_f32_e32 v9, 0x4f7ffffe, v9
	s_delay_alu instid0(VALU_DEP_1) | instskip(NEXT) | instid1(VALU_DEP_1)
	v_cvt_u32_f32_e32 v9, v9
	v_readfirstlane_b32 s3, v9
	s_delay_alu instid0(VALU_DEP_1) | instskip(NEXT) | instid1(SALU_CYCLE_1)
	s_mul_i32 s8, s8, s3
	s_mul_hi_u32 s8, s3, s8
	s_delay_alu instid0(SALU_CYCLE_1) | instskip(NEXT) | instid1(SALU_CYCLE_1)
	s_add_i32 s3, s3, s8
	s_mul_hi_u32 s3, s13, s3
	s_delay_alu instid0(SALU_CYCLE_1) | instskip(NEXT) | instid1(SALU_CYCLE_1)
	s_mul_i32 s8, s3, s15
	s_sub_i32 s8, s13, s8
	s_add_i32 s13, s3, 1
	s_sub_i32 s24, s8, s15
	s_cmp_ge_u32 s8, s15
	s_cselect_b32 s3, s13, s3
	s_cselect_b32 s8, s24, s8
	s_add_i32 s13, s3, 1
	s_cmp_ge_u32 s8, s15
	s_cselect_b32 s3, s13, s3
	s_delay_alu instid0(SALU_CYCLE_1) | instskip(NEXT) | instid1(SALU_CYCLE_1)
	s_xor_b32 s3, s3, s9
	s_sub_i32 s8, s3, s9
	s_delay_alu instid0(SALU_CYCLE_1) | instskip(NEXT) | instid1(SALU_CYCLE_1)
	s_ashr_i32 s9, s8, 31
	v_cmp_lt_i64_e64 s3, s[8:9], 1
	s_delay_alu instid0(VALU_DEP_1)
	s_and_b32 vcc_lo, exec_lo, s3
	s_cbranch_vccnz .LBB67_46
; %bb.27:
	v_lshrrev_b32_e32 v9, 5, v0
	v_and_b32_e32 v4, 31, v0
	s_ashr_i32 s13, s12, 31
	s_mov_b64 s[24:25], 0
	s_mov_b64 s[26:27], src_shared_base
	v_mul_lo_u32 v19, s22, v9
	v_add_co_u32 v11, s3, v4, 16
	s_delay_alu instid0(VALU_DEP_1) | instskip(SKIP_1) | instid1(VALU_DEP_1)
	v_add_co_ci_u32_e64 v12, null, 0, 0, s3
	v_add_co_u32 v13, s3, v4, 8
	v_add_co_ci_u32_e64 v14, null, 0, 0, s3
	v_add_co_u32 v15, s3, v4, 4
	v_dual_mov_b32 v10, 0 :: v_dual_lshlrev_b32 v21, 2, v19
	v_lshlrev_b32_e32 v22, 2, v4
	v_add_co_ci_u32_e64 v16, null, 0, 0, s3
	v_add_co_u32 v17, s3, v4, 2
	s_delay_alu instid0(VALU_DEP_1) | instskip(SKIP_1) | instid1(VALU_DEP_1)
	v_add_co_ci_u32_e64 v18, null, 0, 0, s3
	v_add_co_u32 v19, s3, v4, 1
	v_add_co_ci_u32_e64 v20, null, 0, 0, s3
	v_add3_u32 v30, v21, v22, 0x80
	s_mul_i32 s3, s22, s15
	s_delay_alu instid0(SALU_CYCLE_1)
	s_lshl_b32 s28, s3, 2
	s_branch .LBB67_30
.LBB67_28:                              ;   in Loop: Header=BB67_30 Depth=1
	s_or_b32 exec_lo, exec_lo, s3
	v_mov_b32_e32 v22, s27
	flat_load_b32 v21, v[21:22] glc dlc
	s_waitcnt vmcnt(0)
.LBB67_29:                              ;   in Loop: Header=BB67_30 Depth=1
	s_or_b32 exec_lo, exec_lo, s26
	s_add_u32 s24, s24, 1
	v_add_nc_u32_e32 v30, s28, v30
	s_addc_u32 s25, s25, 0
	s_delay_alu instid0(SALU_CYCLE_1)
	s_cmp_eq_u64 s[24:25], s[8:9]
	s_cbranch_scc1 .LBB67_46
.LBB67_30:                              ; =>This Loop Header: Depth=1
                                        ;     Child Loop BB67_33 Depth 2
	s_waitcnt lgkmcnt(0)
	v_mad_u64_u32 v[21:22], null, s24, s15, v[9:10]
	s_mov_b32 s26, exec_lo
	s_delay_alu instid0(VALU_DEP_1) | instskip(NEXT) | instid1(VALU_DEP_1)
	v_mad_u64_u32 v[23:24], null, s25, s15, v[22:23]
	v_mov_b32_e32 v22, v23
	s_delay_alu instid0(VALU_DEP_1)
	v_cmpx_gt_i64_e64 s[12:13], v[21:22]
	s_cbranch_execz .LBB67_29
; %bb.31:                               ;   in Loop: Header=BB67_30 Depth=1
	v_mul_lo_u32 v24, v22, s22
	v_mul_lo_u32 v25, v21, s23
	v_mad_u64_u32 v[22:23], null, v21, s22, 0
	s_delay_alu instid0(VALU_DEP_1) | instskip(NEXT) | instid1(VALU_DEP_2)
	v_add3_u32 v23, v23, v25, v24
	v_add_co_u32 v24, vcc_lo, v22, s22
	v_add_co_u32 v31, s3, v22, v4
	s_delay_alu instid0(VALU_DEP_3) | instskip(SKIP_2) | instid1(VALU_DEP_2)
	v_add_co_ci_u32_e32 v25, vcc_lo, s23, v23, vcc_lo
	v_add_co_ci_u32_e64 v21, s3, 0, v23, s3
	s_mov_b32 s3, exec_lo
	v_cmp_gt_i64_e32 vcc_lo, s[20:21], v[24:25]
	v_cndmask_b32_e32 v25, s21, v25, vcc_lo
	v_cndmask_b32_e32 v24, s20, v24, vcc_lo
	v_add_co_u32 v26, vcc_lo, v31, 32
	v_add_co_ci_u32_e32 v27, vcc_lo, 0, v21, vcc_lo
	v_lshlrev_b32_e32 v21, 2, v31
	s_delay_alu instid0(VALU_DEP_2)
	v_cmpx_lt_i64_e64 v[26:27], v[24:25]
	s_cbranch_execz .LBB67_34
; %bb.32:                               ;   in Loop: Header=BB67_30 Depth=1
	ds_load_b32 v33, v21
	v_mov_b32_e32 v32, v30
	s_mov_b32 s29, 0
.LBB67_33:                              ;   Parent Loop BB67_30 Depth=1
                                        ; =>  This Inner Loop Header: Depth=2
	ds_load_b32 v34, v32
	v_add_co_u32 v26, vcc_lo, v26, 32
	v_add_co_ci_u32_e32 v27, vcc_lo, 0, v27, vcc_lo
	s_waitcnt lgkmcnt(1)
	v_dual_max_f32 v33, v33, v33 :: v_dual_add_nc_u32 v32, 0x80, v32
	s_delay_alu instid0(VALU_DEP_2) | instskip(SKIP_3) | instid1(VALU_DEP_1)
	v_cmp_ge_i64_e32 vcc_lo, v[26:27], v[24:25]
	s_or_b32 s29, vcc_lo, s29
	s_waitcnt lgkmcnt(0)
	v_max_f32_e32 v34, v34, v34
	v_max_f32_e32 v33, v33, v34
	ds_store_b32 v21, v33
	s_and_not1_b32 exec_lo, exec_lo, s29
	s_cbranch_execnz .LBB67_33
.LBB67_34:                              ;   in Loop: Header=BB67_30 Depth=1
	s_or_b32 exec_lo, exec_lo, s3
	v_sub_co_u32 v22, vcc_lo, v24, v22
	v_sub_co_ci_u32_e32 v23, vcc_lo, v25, v23, vcc_lo
	s_mov_b32 s3, exec_lo
	s_delay_alu instid0(VALU_DEP_1) | instskip(SKIP_1) | instid1(VALU_DEP_1)
	v_cmp_gt_i64_e32 vcc_lo, 32, v[22:23]
	v_dual_cndmask_b32 v24, 0, v23 :: v_dual_cndmask_b32 v23, 32, v22
	v_cmpx_lt_i64_e64 v[11:12], v[23:24]
	s_cbranch_execz .LBB67_36
; %bb.35:                               ;   in Loop: Header=BB67_30 Depth=1
	v_dual_mov_b32 v22, s27 :: v_dual_add_nc_u32 v25, 64, v21
	v_mov_b32_e32 v26, s27
	flat_load_b32 v27, v[21:22] glc dlc
	s_waitcnt vmcnt(0)
	flat_load_b32 v25, v[25:26] glc dlc
	s_waitcnt vmcnt(0) lgkmcnt(0)
	v_dual_max_f32 v26, v27, v27 :: v_dual_max_f32 v25, v25, v25
	s_delay_alu instid0(VALU_DEP_1)
	v_max_f32_e32 v25, v26, v25
	flat_store_b32 v[21:22], v25 dlc
	s_waitcnt_vscnt null, 0x0
.LBB67_36:                              ;   in Loop: Header=BB67_30 Depth=1
	s_or_b32 exec_lo, exec_lo, s3
	s_delay_alu instid0(SALU_CYCLE_1)
	s_mov_b32 s3, exec_lo
	v_cmpx_lt_i64_e64 v[13:14], v[23:24]
	s_cbranch_execz .LBB67_38
; %bb.37:                               ;   in Loop: Header=BB67_30 Depth=1
	v_dual_mov_b32 v22, s27 :: v_dual_add_nc_u32 v25, 32, v21
	v_mov_b32_e32 v26, s27
	flat_load_b32 v27, v[21:22] glc dlc
	s_waitcnt vmcnt(0)
	flat_load_b32 v25, v[25:26] glc dlc
	s_waitcnt vmcnt(0) lgkmcnt(0)
	v_dual_max_f32 v26, v27, v27 :: v_dual_max_f32 v25, v25, v25
	s_delay_alu instid0(VALU_DEP_1)
	v_max_f32_e32 v25, v26, v25
	flat_store_b32 v[21:22], v25 dlc
	s_waitcnt_vscnt null, 0x0
.LBB67_38:                              ;   in Loop: Header=BB67_30 Depth=1
	s_or_b32 exec_lo, exec_lo, s3
	s_delay_alu instid0(SALU_CYCLE_1)
	s_mov_b32 s3, exec_lo
	v_cmpx_ge_i64_e64 v[15:16], v[23:24]
	s_xor_b32 s3, exec_lo, s3
; %bb.39:                               ;   in Loop: Header=BB67_30 Depth=1
                                        ; implicit-def: $vgpr21
; %bb.40:                               ;   in Loop: Header=BB67_30 Depth=1
	s_delay_alu instid0(SALU_CYCLE_1)
	s_and_not1_saveexec_b32 s3, s3
	s_cbranch_execz .LBB67_42
; %bb.41:                               ;   in Loop: Header=BB67_30 Depth=1
	v_dual_mov_b32 v22, s27 :: v_dual_add_nc_u32 v25, 16, v21
	v_mov_b32_e32 v26, s27
	flat_load_b32 v27, v[21:22] glc dlc
	s_waitcnt vmcnt(0)
	flat_load_b32 v25, v[25:26] glc dlc
	s_waitcnt vmcnt(0) lgkmcnt(0)
	v_dual_max_f32 v26, v27, v27 :: v_dual_max_f32 v25, v25, v25
	s_delay_alu instid0(VALU_DEP_1)
	v_max_f32_e32 v25, v26, v25
	flat_store_b32 v[21:22], v25 dlc
	s_waitcnt_vscnt null, 0x0
.LBB67_42:                              ;   in Loop: Header=BB67_30 Depth=1
	s_or_b32 exec_lo, exec_lo, s3
	v_lshlrev_b32_e32 v21, 2, v31
	s_mov_b32 s3, exec_lo
	v_cmpx_lt_i64_e64 v[17:18], v[23:24]
	s_cbranch_execz .LBB67_44
; %bb.43:                               ;   in Loop: Header=BB67_30 Depth=1
	s_delay_alu instid0(VALU_DEP_2)
	v_dual_mov_b32 v22, s27 :: v_dual_add_nc_u32 v25, 8, v21
	v_mov_b32_e32 v26, s27
	flat_load_b32 v27, v[21:22] glc dlc
	s_waitcnt vmcnt(0)
	flat_load_b32 v25, v[25:26] glc dlc
	s_waitcnt vmcnt(0) lgkmcnt(0)
	v_dual_max_f32 v26, v27, v27 :: v_dual_max_f32 v25, v25, v25
	s_delay_alu instid0(VALU_DEP_1)
	v_max_f32_e32 v25, v26, v25
	flat_store_b32 v[21:22], v25 dlc
	s_waitcnt_vscnt null, 0x0
.LBB67_44:                              ;   in Loop: Header=BB67_30 Depth=1
	s_or_b32 exec_lo, exec_lo, s3
	s_delay_alu instid0(SALU_CYCLE_1)
	s_mov_b32 s3, exec_lo
	v_cmpx_lt_i64_e64 v[19:20], v[23:24]
	s_cbranch_execz .LBB67_28
; %bb.45:                               ;   in Loop: Header=BB67_30 Depth=1
	v_dual_mov_b32 v22, s27 :: v_dual_add_nc_u32 v23, 4, v21
	v_mov_b32_e32 v24, s27
	flat_load_b32 v25, v[21:22] glc dlc
	s_waitcnt vmcnt(0)
	flat_load_b32 v23, v[23:24] glc dlc
	s_waitcnt vmcnt(0) lgkmcnt(0)
	v_dual_max_f32 v24, v25, v25 :: v_dual_max_f32 v23, v23, v23
	s_delay_alu instid0(VALU_DEP_1)
	v_max_f32_e32 v23, v24, v23
	flat_store_b32 v[21:22], v23 dlc
	s_waitcnt_vscnt null, 0x0
	s_branch .LBB67_28
.LBB67_46:
	s_load_b64 s[8:9], s[0:1], 0x40
	v_cmp_lt_i64_e32 vcc_lo, v[7:8], v[5:6]
	v_cmp_eq_u32_e64 s3, 0, v3
	s_waitcnt lgkmcnt(0)
	s_barrier
	buffer_gl0_inv
	s_and_b32 s12, s3, vcc_lo
	s_delay_alu instid0(SALU_CYCLE_1)
	s_and_saveexec_b32 s3, s12
	s_cbranch_execz .LBB67_53
; %bb.47:
	s_load_b64 s[0:1], s[0:1], 0x20
	ds_load_b32 v5, v29
	s_waitcnt lgkmcnt(0)
	s_cmp_eq_u64 s[0:1], 0
	s_cbranch_scc1 .LBB67_49
; %bb.48:
	s_load_b32 s0, s[0:1], 0x0
	v_max_f32_e32 v3, v5, v5
	s_waitcnt lgkmcnt(0)
	v_max_f32_e64 v4, s0, s0
	s_delay_alu instid0(VALU_DEP_1)
	v_min_f32_e32 v5, v3, v4
.LBB67_49:
	s_add_u32 s0, s8, s36
	s_addc_u32 s1, s9, 0
	s_add_u32 s12, s0, -1
	s_addc_u32 s13, s1, -1
	s_delay_alu instid0(SALU_CYCLE_1) | instskip(SKIP_1) | instid1(SALU_CYCLE_1)
	s_or_b64 s[20:21], s[12:13], s[8:9]
	s_mov_b32 s20, 0
	s_cmp_lg_u64 s[20:21], 0
	s_cbranch_scc0 .LBB67_194
; %bb.50:
	s_ashr_i32 s0, s9, 31
	s_delay_alu instid0(SALU_CYCLE_1) | instskip(SKIP_2) | instid1(SALU_CYCLE_1)
	s_add_u32 s22, s8, s0
	s_mov_b32 s1, s0
	s_addc_u32 s23, s9, s0
	s_xor_b64 s[0:1], s[22:23], s[0:1]
	s_delay_alu instid0(SALU_CYCLE_1) | instskip(SKIP_3) | instid1(VALU_DEP_1)
	v_cvt_f32_u32_e32 v3, s0
	v_cvt_f32_u32_e32 v4, s1
	s_sub_u32 s22, 0, s0
	s_subb_u32 s23, 0, s1
	v_fmamk_f32 v3, v4, 0x4f800000, v3
	s_delay_alu instid0(VALU_DEP_1) | instskip(SKIP_2) | instid1(VALU_DEP_1)
	v_rcp_f32_e32 v3, v3
	s_waitcnt_depctr 0xfff
	v_mul_f32_e32 v3, 0x5f7ffffc, v3
	v_mul_f32_e32 v4, 0x2f800000, v3
	s_delay_alu instid0(VALU_DEP_1) | instskip(NEXT) | instid1(VALU_DEP_1)
	v_trunc_f32_e32 v4, v4
	v_fmamk_f32 v3, v4, 0xcf800000, v3
	v_cvt_u32_f32_e32 v4, v4
	s_delay_alu instid0(VALU_DEP_2) | instskip(NEXT) | instid1(VALU_DEP_2)
	v_cvt_u32_f32_e32 v3, v3
	v_readfirstlane_b32 s15, v4
	s_delay_alu instid0(VALU_DEP_2) | instskip(NEXT) | instid1(VALU_DEP_2)
	v_readfirstlane_b32 s21, v3
	s_mul_i32 s24, s22, s15
	s_delay_alu instid0(VALU_DEP_1)
	s_mul_hi_u32 s26, s22, s21
	s_mul_i32 s25, s23, s21
	s_add_i32 s24, s26, s24
	s_mul_i32 s27, s22, s21
	s_add_i32 s24, s24, s25
	s_mul_hi_u32 s26, s21, s27
	s_mul_hi_u32 s28, s15, s27
	s_mul_i32 s25, s15, s27
	s_mul_hi_u32 s27, s21, s24
	s_mul_i32 s21, s21, s24
	s_mul_hi_u32 s29, s15, s24
	s_add_u32 s21, s26, s21
	s_addc_u32 s26, 0, s27
	s_add_u32 s21, s21, s25
	s_mul_i32 s24, s15, s24
	s_addc_u32 s21, s26, s28
	s_addc_u32 s25, s29, 0
	s_add_u32 s21, s21, s24
	s_addc_u32 s24, 0, s25
	v_add_co_u32 v3, s21, v3, s21
	s_delay_alu instid0(VALU_DEP_1) | instskip(SKIP_1) | instid1(VALU_DEP_1)
	s_cmp_lg_u32 s21, 0
	s_addc_u32 s15, s15, s24
	v_readfirstlane_b32 s21, v3
	s_mul_i32 s24, s22, s15
	s_delay_alu instid0(VALU_DEP_1)
	s_mul_hi_u32 s25, s22, s21
	s_mul_i32 s23, s23, s21
	s_add_i32 s24, s25, s24
	s_mul_i32 s22, s22, s21
	s_add_i32 s24, s24, s23
	s_mul_hi_u32 s25, s15, s22
	s_mul_i32 s26, s15, s22
	s_mul_hi_u32 s22, s21, s22
	s_mul_hi_u32 s27, s21, s24
	s_mul_i32 s21, s21, s24
	s_mul_hi_u32 s23, s15, s24
	s_add_u32 s21, s22, s21
	s_addc_u32 s22, 0, s27
	s_add_u32 s21, s21, s26
	s_mul_i32 s24, s15, s24
	s_addc_u32 s21, s22, s25
	s_addc_u32 s22, s23, 0
	s_add_u32 s21, s21, s24
	s_addc_u32 s22, 0, s22
	v_add_co_u32 v3, s21, v3, s21
	s_delay_alu instid0(VALU_DEP_1) | instskip(SKIP_2) | instid1(VALU_DEP_1)
	s_cmp_lg_u32 s21, 0
	s_addc_u32 s15, s15, s22
	s_ashr_i32 s22, s13, 31
	v_readfirstlane_b32 s21, v3
	s_add_u32 s24, s12, s22
	s_mov_b32 s23, s22
	s_addc_u32 s25, s13, s22
	s_delay_alu instid0(SALU_CYCLE_1) | instskip(NEXT) | instid1(SALU_CYCLE_1)
	s_xor_b64 s[24:25], s[24:25], s[22:23]
	s_mul_i32 s26, s24, s15
	s_mul_hi_u32 s27, s24, s21
	s_mul_hi_u32 s23, s24, s15
	;; [unrolled: 1-line block ×3, first 2 shown]
	s_mul_i32 s21, s25, s21
	s_add_u32 s26, s27, s26
	s_addc_u32 s23, 0, s23
	s_mul_hi_u32 s28, s25, s15
	s_add_u32 s21, s26, s21
	s_mul_i32 s15, s25, s15
	s_addc_u32 s21, s23, s29
	s_addc_u32 s23, s28, 0
	s_add_u32 s15, s21, s15
	s_addc_u32 s21, 0, s23
	s_mul_hi_u32 s23, s0, s15
	s_mul_i32 s21, s0, s21
	s_mul_i32 s26, s1, s15
	s_mul_i32 s15, s0, s15
	s_add_i32 s21, s23, s21
	v_sub_co_u32 v3, s15, s24, s15
	s_add_i32 s21, s21, s26
	s_delay_alu instid0(SALU_CYCLE_1) | instskip(SKIP_1) | instid1(VALU_DEP_1)
	s_sub_i32 s23, s25, s21
	s_cmp_lg_u32 s15, 0
	v_sub_co_u32 v4, s24, v3, s0
	s_subb_u32 s23, s23, s1
	s_cmp_lg_u32 s24, 0
	s_subb_u32 s26, s23, 0
	s_delay_alu instid0(VALU_DEP_1)
	v_cmp_le_u32_e32 vcc_lo, s0, v4
	s_cmp_ge_u32 s26, s1
	s_cselect_b32 s27, -1, 0
	s_cmp_eq_u32 s26, s1
	v_cndmask_b32_e64 v6, 0, -1, vcc_lo
	s_cselect_b32 vcc_lo, -1, 0
	s_cmp_lg_u32 s24, 0
	v_sub_co_u32 v7, s24, v4, s0
	s_subb_u32 s23, s23, s1
	s_cmp_lg_u32 s24, 0
	v_cndmask_b32_e32 v6, s27, v6, vcc_lo
	s_subb_u32 s23, s23, 0
	s_cmp_lg_u32 s15, 0
	v_cmp_le_u32_e32 vcc_lo, s0, v3
	s_subb_u32 s15, s25, s21
	s_delay_alu instid0(SALU_CYCLE_1)
	s_cmp_ge_u32 s15, s1
	v_cndmask_b32_e64 v8, 0, -1, vcc_lo
	s_cselect_b32 s21, -1, 0
	s_cmp_eq_u32 s15, s1
	v_cmp_ne_u32_e32 vcc_lo, 0, v6
	v_mov_b32_e32 v6, s23
	s_cselect_b32 s0, -1, 0
	s_delay_alu instid0(SALU_CYCLE_1) | instskip(SKIP_1) | instid1(VALU_DEP_3)
	v_cndmask_b32_e64 v8, s21, v8, s0
	v_cndmask_b32_e32 v4, v4, v7, vcc_lo
	v_cndmask_b32_e32 v6, s26, v6, vcc_lo
	s_delay_alu instid0(VALU_DEP_3) | instskip(NEXT) | instid1(VALU_DEP_3)
	v_cmp_ne_u32_e32 vcc_lo, 0, v8
	v_cndmask_b32_e32 v3, v3, v4, vcc_lo
	s_delay_alu instid0(VALU_DEP_3) | instskip(NEXT) | instid1(VALU_DEP_2)
	v_cndmask_b32_e32 v6, s15, v6, vcc_lo
	v_xor_b32_e32 v3, s22, v3
	s_delay_alu instid0(VALU_DEP_2) | instskip(NEXT) | instid1(VALU_DEP_2)
	v_xor_b32_e32 v4, s22, v6
	v_sub_co_u32 v3, vcc_lo, v3, s22
	s_delay_alu instid0(VALU_DEP_2)
	v_subrev_co_ci_u32_e32 v4, vcc_lo, s22, v4, vcc_lo
	s_and_not1_b32 vcc_lo, exec_lo, s20
	s_cbranch_vccnz .LBB67_52
.LBB67_51:
	v_cvt_f32_u32_e32 v3, s8
	s_sub_i32 s0, 0, s8
	s_delay_alu instid0(VALU_DEP_1) | instskip(SKIP_2) | instid1(VALU_DEP_1)
	v_rcp_iflag_f32_e32 v3, v3
	s_waitcnt_depctr 0xfff
	v_mul_f32_e32 v3, 0x4f7ffffe, v3
	v_cvt_u32_f32_e32 v3, v3
	s_delay_alu instid0(VALU_DEP_1) | instskip(NEXT) | instid1(VALU_DEP_1)
	v_mul_lo_u32 v4, s0, v3
	v_mul_hi_u32 v4, v3, v4
	s_delay_alu instid0(VALU_DEP_1) | instskip(NEXT) | instid1(VALU_DEP_1)
	v_add_nc_u32_e32 v3, v3, v4
	v_mul_hi_u32 v3, s12, v3
	s_delay_alu instid0(VALU_DEP_1) | instskip(NEXT) | instid1(VALU_DEP_1)
	v_mul_lo_u32 v3, v3, s8
	v_sub_nc_u32_e32 v3, s12, v3
	s_delay_alu instid0(VALU_DEP_1) | instskip(SKIP_1) | instid1(VALU_DEP_2)
	v_subrev_nc_u32_e32 v4, s8, v3
	v_cmp_le_u32_e32 vcc_lo, s8, v3
	v_cndmask_b32_e32 v3, v3, v4, vcc_lo
	s_delay_alu instid0(VALU_DEP_1) | instskip(SKIP_1) | instid1(VALU_DEP_2)
	v_subrev_nc_u32_e32 v4, s8, v3
	v_cmp_le_u32_e32 vcc_lo, s8, v3
	v_dual_cndmask_b32 v3, v3, v4 :: v_dual_mov_b32 v4, 0
.LBB67_52:
	v_div_scale_f32 v6, null, 0x43600000, 0x43600000, v5
	v_div_scale_f32 v9, vcc_lo, v5, 0x43600000, v5
	s_delay_alu instid0(VALU_DEP_3) | instskip(NEXT) | instid1(VALU_DEP_3)
	v_sub_co_u32 v10, s0, s12, v3
	v_rcp_f32_e32 v7, v6
	v_sub_co_ci_u32_e64 v3, s0, s13, v4, s0
	s_lshl_b64 s[0:1], s[16:17], 2
	s_delay_alu instid0(SALU_CYCLE_1) | instskip(NEXT) | instid1(VALU_DEP_1)
	s_add_u32 s0, s0, s6
	v_mul_lo_u32 v11, v3, v1
	s_addc_u32 s1, s1, s7
	s_waitcnt_depctr 0xfff
	v_fma_f32 v8, -v6, v7, 1.0
	s_delay_alu instid0(VALU_DEP_1) | instskip(NEXT) | instid1(VALU_DEP_1)
	v_fmac_f32_e32 v7, v8, v7
	v_mul_f32_e32 v8, v9, v7
	s_delay_alu instid0(VALU_DEP_1) | instskip(NEXT) | instid1(VALU_DEP_1)
	v_fma_f32 v4, -v6, v8, v9
	v_fmac_f32_e32 v8, v4, v7
	v_mul_lo_u32 v4, v10, v2
	v_mad_u64_u32 v[2:3], null, v10, v1, 0
	s_delay_alu instid0(VALU_DEP_3) | instskip(NEXT) | instid1(VALU_DEP_2)
	v_fma_f32 v1, -v6, v8, v9
	v_add3_u32 v3, v3, v4, v11
	s_delay_alu instid0(VALU_DEP_2) | instskip(NEXT) | instid1(VALU_DEP_1)
	v_div_fmas_f32 v1, v1, v7, v8
	v_div_fixup_f32 v4, v1, 0x43600000, v5
	s_delay_alu instid0(VALU_DEP_3) | instskip(NEXT) | instid1(VALU_DEP_2)
	v_lshlrev_b64 v[1:2], 2, v[2:3]
	v_max_f32_e32 v3, 0x37124925, v4
	s_delay_alu instid0(VALU_DEP_2) | instskip(NEXT) | instid1(VALU_DEP_3)
	v_add_co_u32 v1, vcc_lo, s0, v1
	v_add_co_ci_u32_e32 v2, vcc_lo, s1, v2, vcc_lo
	global_store_b32 v[1:2], v3, off
.LBB67_53:
	s_or_b32 exec_lo, exec_lo, s3
	s_waitcnt_vscnt null, 0x0
	s_barrier
	buffer_gl0_inv
	s_and_saveexec_b32 s0, s2
	s_cbranch_execz .LBB67_193
; %bb.54:
	s_add_u32 s0, s8, s36
	s_addc_u32 s1, s9, 0
	s_add_u32 s2, s0, -1
	s_addc_u32 s3, s1, -1
	s_delay_alu instid0(SALU_CYCLE_1) | instskip(SKIP_1) | instid1(SALU_CYCLE_1)
	s_or_b64 s[12:13], s[2:3], s[8:9]
	s_mov_b32 s12, 0
	s_cmp_lg_u64 s[12:13], 0
	s_cbranch_scc0 .LBB67_195
; %bb.55:
	s_ashr_i32 s0, s9, 31
	s_delay_alu instid0(SALU_CYCLE_1) | instskip(SKIP_2) | instid1(SALU_CYCLE_1)
	s_add_u32 s20, s8, s0
	s_mov_b32 s1, s0
	s_addc_u32 s21, s9, s0
	s_xor_b64 s[0:1], s[20:21], s[0:1]
	s_delay_alu instid0(SALU_CYCLE_1) | instskip(SKIP_3) | instid1(VALU_DEP_1)
	v_cvt_f32_u32_e32 v1, s0
	v_cvt_f32_u32_e32 v2, s1
	s_sub_u32 s15, 0, s0
	s_subb_u32 s20, 0, s1
	v_fmamk_f32 v1, v2, 0x4f800000, v1
	s_delay_alu instid0(VALU_DEP_1) | instskip(SKIP_2) | instid1(VALU_DEP_1)
	v_rcp_f32_e32 v1, v1
	s_waitcnt_depctr 0xfff
	v_mul_f32_e32 v1, 0x5f7ffffc, v1
	v_mul_f32_e32 v2, 0x2f800000, v1
	s_delay_alu instid0(VALU_DEP_1) | instskip(NEXT) | instid1(VALU_DEP_1)
	v_trunc_f32_e32 v2, v2
	v_fmamk_f32 v1, v2, 0xcf800000, v1
	v_cvt_u32_f32_e32 v2, v2
	s_delay_alu instid0(VALU_DEP_2) | instskip(NEXT) | instid1(VALU_DEP_2)
	v_cvt_u32_f32_e32 v1, v1
	v_readfirstlane_b32 s9, v2
	s_delay_alu instid0(VALU_DEP_2) | instskip(NEXT) | instid1(VALU_DEP_2)
	v_readfirstlane_b32 s13, v1
	s_mul_i32 s21, s15, s9
	s_delay_alu instid0(VALU_DEP_1)
	s_mul_hi_u32 s23, s15, s13
	s_mul_i32 s22, s20, s13
	s_add_i32 s21, s23, s21
	s_mul_i32 s24, s15, s13
	s_add_i32 s21, s21, s22
	s_mul_hi_u32 s23, s13, s24
	s_mul_hi_u32 s25, s9, s24
	s_mul_i32 s22, s9, s24
	s_mul_hi_u32 s24, s13, s21
	s_mul_i32 s13, s13, s21
	s_mul_hi_u32 s26, s9, s21
	s_add_u32 s13, s23, s13
	s_addc_u32 s23, 0, s24
	s_add_u32 s13, s13, s22
	s_mul_i32 s21, s9, s21
	s_addc_u32 s13, s23, s25
	s_addc_u32 s22, s26, 0
	s_add_u32 s13, s13, s21
	s_addc_u32 s21, 0, s22
	v_add_co_u32 v1, s13, v1, s13
	s_delay_alu instid0(VALU_DEP_1) | instskip(SKIP_1) | instid1(VALU_DEP_1)
	s_cmp_lg_u32 s13, 0
	s_addc_u32 s9, s9, s21
	v_readfirstlane_b32 s13, v1
	s_mul_i32 s21, s15, s9
	s_delay_alu instid0(VALU_DEP_1)
	s_mul_hi_u32 s22, s15, s13
	s_mul_i32 s20, s20, s13
	s_add_i32 s21, s22, s21
	s_mul_i32 s15, s15, s13
	s_add_i32 s21, s21, s20
	s_mul_hi_u32 s22, s9, s15
	s_mul_i32 s23, s9, s15
	s_mul_hi_u32 s15, s13, s15
	s_mul_hi_u32 s24, s13, s21
	s_mul_i32 s13, s13, s21
	s_mul_hi_u32 s20, s9, s21
	s_add_u32 s13, s15, s13
	s_addc_u32 s15, 0, s24
	s_add_u32 s13, s13, s23
	s_mul_i32 s21, s9, s21
	s_addc_u32 s13, s15, s22
	s_addc_u32 s15, s20, 0
	s_add_u32 s13, s13, s21
	s_addc_u32 s15, 0, s15
	v_add_co_u32 v1, s13, v1, s13
	s_delay_alu instid0(VALU_DEP_1) | instskip(SKIP_2) | instid1(VALU_DEP_1)
	s_cmp_lg_u32 s13, 0
	s_addc_u32 s9, s9, s15
	s_ashr_i32 s20, s3, 31
	v_readfirstlane_b32 s13, v1
	s_add_u32 s22, s2, s20
	s_mov_b32 s21, s20
	s_addc_u32 s23, s3, s20
	s_delay_alu instid0(SALU_CYCLE_1) | instskip(NEXT) | instid1(SALU_CYCLE_1)
	s_xor_b64 s[22:23], s[22:23], s[20:21]
	s_mul_i32 s21, s22, s9
	s_mul_hi_u32 s24, s22, s13
	s_mul_hi_u32 s15, s22, s9
	;; [unrolled: 1-line block ×3, first 2 shown]
	s_mul_i32 s13, s23, s13
	s_add_u32 s21, s24, s21
	s_addc_u32 s15, 0, s15
	s_mul_hi_u32 s25, s23, s9
	s_add_u32 s13, s21, s13
	s_mul_i32 s9, s23, s9
	s_addc_u32 s13, s15, s26
	s_addc_u32 s15, s25, 0
	s_add_u32 s9, s13, s9
	s_addc_u32 s13, 0, s15
	s_mul_hi_u32 s15, s0, s9
	s_mul_i32 s13, s0, s13
	s_mul_i32 s21, s1, s9
	;; [unrolled: 1-line block ×3, first 2 shown]
	s_add_i32 s13, s15, s13
	v_sub_co_u32 v1, s9, s22, s9
	s_add_i32 s13, s13, s21
	s_delay_alu instid0(SALU_CYCLE_1) | instskip(SKIP_1) | instid1(VALU_DEP_1)
	s_sub_i32 s15, s23, s13
	s_cmp_lg_u32 s9, 0
	v_sub_co_u32 v2, s21, v1, s0
	s_subb_u32 s15, s15, s1
	s_cmp_lg_u32 s21, 0
	s_subb_u32 s22, s15, 0
	s_delay_alu instid0(VALU_DEP_1)
	v_cmp_le_u32_e32 vcc_lo, s0, v2
	s_cmp_ge_u32 s22, s1
	s_cselect_b32 s24, -1, 0
	s_cmp_eq_u32 s22, s1
	v_cndmask_b32_e64 v3, 0, -1, vcc_lo
	s_cselect_b32 vcc_lo, -1, 0
	s_cmp_lg_u32 s21, 0
	v_sub_co_u32 v4, s21, v2, s0
	s_subb_u32 s15, s15, s1
	s_cmp_lg_u32 s21, 0
	v_cndmask_b32_e32 v3, s24, v3, vcc_lo
	s_subb_u32 s15, s15, 0
	s_cmp_lg_u32 s9, 0
	v_cmp_le_u32_e32 vcc_lo, s0, v1
	s_subb_u32 s9, s23, s13
	s_delay_alu instid0(SALU_CYCLE_1)
	s_cmp_ge_u32 s9, s1
	v_cndmask_b32_e64 v5, 0, -1, vcc_lo
	s_cselect_b32 s13, -1, 0
	s_cmp_eq_u32 s9, s1
	v_cmp_ne_u32_e32 vcc_lo, 0, v3
	v_mov_b32_e32 v3, s15
	s_cselect_b32 s0, -1, 0
	s_delay_alu instid0(SALU_CYCLE_1) | instskip(SKIP_1) | instid1(VALU_DEP_3)
	v_cndmask_b32_e64 v5, s13, v5, s0
	v_cndmask_b32_e32 v2, v2, v4, vcc_lo
	v_cndmask_b32_e32 v3, s22, v3, vcc_lo
	s_delay_alu instid0(VALU_DEP_3) | instskip(NEXT) | instid1(VALU_DEP_3)
	v_cmp_ne_u32_e32 vcc_lo, 0, v5
	v_cndmask_b32_e32 v1, v1, v2, vcc_lo
	s_delay_alu instid0(VALU_DEP_3) | instskip(NEXT) | instid1(VALU_DEP_2)
	v_cndmask_b32_e32 v3, s9, v3, vcc_lo
	v_xor_b32_e32 v1, s20, v1
	s_delay_alu instid0(VALU_DEP_2) | instskip(NEXT) | instid1(VALU_DEP_2)
	v_xor_b32_e32 v2, s20, v3
	v_sub_co_u32 v1, vcc_lo, v1, s20
	s_delay_alu instid0(VALU_DEP_2)
	v_subrev_co_ci_u32_e32 v2, vcc_lo, s20, v2, vcc_lo
	s_and_not1_b32 vcc_lo, exec_lo, s12
	s_cbranch_vccnz .LBB67_57
.LBB67_56:
	v_cvt_f32_u32_e32 v1, s8
	s_sub_i32 s0, 0, s8
	s_delay_alu instid0(VALU_DEP_1) | instskip(SKIP_2) | instid1(VALU_DEP_1)
	v_rcp_iflag_f32_e32 v1, v1
	s_waitcnt_depctr 0xfff
	v_mul_f32_e32 v1, 0x4f7ffffe, v1
	v_cvt_u32_f32_e32 v1, v1
	s_delay_alu instid0(VALU_DEP_1) | instskip(NEXT) | instid1(VALU_DEP_1)
	v_mul_lo_u32 v2, s0, v1
	v_mul_hi_u32 v2, v1, v2
	s_delay_alu instid0(VALU_DEP_1) | instskip(NEXT) | instid1(VALU_DEP_1)
	v_add_nc_u32_e32 v1, v1, v2
	v_mul_hi_u32 v1, s2, v1
	s_delay_alu instid0(VALU_DEP_1) | instskip(NEXT) | instid1(VALU_DEP_1)
	v_mul_lo_u32 v1, v1, s8
	v_sub_nc_u32_e32 v1, s2, v1
	s_delay_alu instid0(VALU_DEP_1) | instskip(SKIP_1) | instid1(VALU_DEP_2)
	v_subrev_nc_u32_e32 v2, s8, v1
	v_cmp_le_u32_e32 vcc_lo, s8, v1
	v_cndmask_b32_e32 v1, v1, v2, vcc_lo
	s_delay_alu instid0(VALU_DEP_1) | instskip(SKIP_1) | instid1(VALU_DEP_2)
	v_subrev_nc_u32_e32 v2, s8, v1
	v_cmp_le_u32_e32 vcc_lo, s8, v1
	v_dual_cndmask_b32 v1, v1, v2 :: v_dual_mov_b32 v2, 0
.LBB67_57:
	s_delay_alu instid0(VALU_DEP_1)
	v_sub_co_u32 v7, vcc_lo, s2, v1
	s_add_u32 s0, s4, s18
	s_addc_u32 s1, s5, s19
	s_lshl_b64 s[4:5], s[16:17], 2
	v_sub_co_ci_u32_e32 v8, vcc_lo, s3, v2, vcc_lo
	v_mov_b32_e32 v1, 0
	s_add_u32 s4, s6, s4
	s_addc_u32 s5, s7, s5
	s_mul_i32 s2, s35, 3
	s_lshl_b32 s3, s35, 1
	s_mov_b32 s6, 0
	s_mov_b32 s7, 0x43600000
	s_branch .LBB67_63
.LBB67_58:                              ;   in Loop: Header=BB67_63 Depth=1
	s_or_b32 exec_lo, exec_lo, s16
.LBB67_59:                              ;   in Loop: Header=BB67_63 Depth=1
	s_delay_alu instid0(SALU_CYCLE_1)
	s_or_b32 exec_lo, exec_lo, s13
	v_lshlrev_b64 v[4:5], 2, v[0:1]
	v_lshlrev_b32_e32 v10, 16, v11
	v_lshlrev_b32_e32 v9, 8, v9
	s_add_i32 s13, s35, s35
	v_and_b32_e32 v6, 0xff, v6
	v_add3_u32 v0, s13, s35, v2
	v_perm_b32 v10, v3, v10, 0x4020c0c
	v_and_b32_e32 v9, 0xff00, v9
	v_add_co_u32 v2, vcc_lo, s0, v4
	v_add_co_ci_u32_e32 v3, vcc_lo, s1, v5, vcc_lo
	v_cmp_le_u32_e32 vcc_lo, s14, v0
	s_delay_alu instid0(VALU_DEP_4)
	v_or3_b32 v4, v10, v9, v6
	s_or_not1_b32 s13, vcc_lo, exec_lo
	global_store_b32 v[2:3], v4, off
.LBB67_60:                              ;   in Loop: Header=BB67_63 Depth=1
	s_or_b32 exec_lo, exec_lo, s12
	s_delay_alu instid0(SALU_CYCLE_1)
	s_or_not1_b32 s12, s13, exec_lo
.LBB67_61:                              ;   in Loop: Header=BB67_63 Depth=1
	s_or_b32 exec_lo, exec_lo, s9
	s_delay_alu instid0(SALU_CYCLE_1)
	s_or_not1_b32 s9, s12, exec_lo
.LBB67_62:                              ;   in Loop: Header=BB67_63 Depth=1
	s_or_b32 exec_lo, exec_lo, s8
	s_delay_alu instid0(SALU_CYCLE_1) | instskip(NEXT) | instid1(SALU_CYCLE_1)
	s_and_b32 s8, exec_lo, s9
	s_or_b32 s6, s8, s6
	s_delay_alu instid0(SALU_CYCLE_1)
	s_and_not1_b32 exec_lo, exec_lo, s6
	s_cbranch_execz .LBB67_193
.LBB67_63:                              ; =>This Inner Loop Header: Depth=1
	v_lshlrev_b64 v[2:3], 3, v[0:1]
	v_bfe_u32 v16, v0, 5, 25
	s_mov_b32 s8, exec_lo
	s_delay_alu instid0(VALU_DEP_1) | instskip(NEXT) | instid1(VALU_DEP_3)
	v_mad_u64_u32 v[11:12], null, v7, v16, 0
	v_add_co_u32 v4, vcc_lo, s30, v2
	s_delay_alu instid0(VALU_DEP_4)
	v_add_co_ci_u32_e32 v5, vcc_lo, s31, v3, vcc_lo
	v_add_co_u32 v14, vcc_lo, s33, v2
	v_add_co_ci_u32_e32 v15, vcc_lo, s34, v3, vcc_lo
	global_load_b64 v[5:6], v[4:5], off
	global_load_b64 v[9:10], v[14:15], off
	v_add_co_u32 v2, vcc_lo, s10, v2
	v_add_co_ci_u32_e32 v3, vcc_lo, s11, v3, vcc_lo
	v_mov_b32_e32 v4, v12
	global_load_b64 v[2:3], v[2:3], off
	s_waitcnt vmcnt(2)
	v_mad_u64_u32 v[12:13], null, v8, v16, v[4:5]
	v_and_b32_e32 v18, 0xffff0000, v5
	s_delay_alu instid0(VALU_DEP_2) | instskip(SKIP_2) | instid1(VALU_DEP_2)
	v_lshlrev_b64 v[11:12], 2, v[11:12]
	s_waitcnt vmcnt(0)
	v_lshlrev_b32_e32 v16, 16, v2
	v_add_co_u32 v11, vcc_lo, s4, v11
	s_delay_alu instid0(VALU_DEP_3)
	v_add_co_ci_u32_e32 v12, vcc_lo, s5, v12, vcc_lo
	global_load_b32 v4, v[11:12], off
	v_lshlrev_b32_e32 v11, 16, v5
	v_lshlrev_b32_e32 v12, 16, v9
	v_alignbit_b32 v5, v6, v5, 16
	v_and_b32_e32 v6, 0xffff0000, v6
	s_delay_alu instid0(VALU_DEP_2) | instskip(NEXT) | instid1(VALU_DEP_1)
	v_dual_add_f32 v12, v11, v12 :: v_dual_and_b32 v5, 0xffff0000, v5
	v_mul_f32_e32 v11, v28, v12
	s_delay_alu instid0(VALU_DEP_1) | instskip(SKIP_1) | instid1(VALU_DEP_2)
	v_bfe_u32 v13, v11, 16, 1
	v_cmp_o_f32_e32 vcc_lo, v11, v11
	v_add3_u32 v13, v11, v13, 0x7fff
	s_delay_alu instid0(VALU_DEP_1) | instskip(NEXT) | instid1(VALU_DEP_1)
	v_and_b32_e32 v13, 0xffff0000, v13
	v_cndmask_b32_e32 v11, 0x7fc00000, v13, vcc_lo
	s_delay_alu instid0(VALU_DEP_1) | instskip(NEXT) | instid1(VALU_DEP_1)
	v_mul_f32_e32 v11, v11, v16
	v_bfe_u32 v13, v11, 16, 1
	v_cmp_o_f32_e32 vcc_lo, v11, v11
	s_delay_alu instid0(VALU_DEP_2) | instskip(NEXT) | instid1(VALU_DEP_1)
	v_add3_u32 v13, v11, v13, 0x7fff
	v_and_b32_e32 v13, 0xffff0000, v13
	s_delay_alu instid0(VALU_DEP_1) | instskip(SKIP_1) | instid1(VALU_DEP_1)
	v_cndmask_b32_e32 v13, 0x7fc00000, v13, vcc_lo
	s_waitcnt vmcnt(0)
	v_div_scale_f32 v16, null, v4, v4, v13
	v_div_scale_f32 v19, vcc_lo, v13, v4, v13
	s_delay_alu instid0(VALU_DEP_2) | instskip(SKIP_2) | instid1(VALU_DEP_1)
	v_rcp_f32_e32 v17, v16
	s_waitcnt_depctr 0xfff
	v_fma_f32 v11, -v16, v17, 1.0
	v_fmac_f32_e32 v17, v11, v17
	v_alignbit_b32 v11, v10, v9, 16
	v_and_b32_e32 v9, 0xffff0000, v9
	v_and_b32_e32 v10, 0xffff0000, v10
	s_delay_alu instid0(VALU_DEP_3) | instskip(NEXT) | instid1(VALU_DEP_3)
	v_dual_mul_f32 v20, v19, v17 :: v_dual_and_b32 v21, 0xffff0000, v11
	v_add_f32_e32 v11, v18, v9
	s_delay_alu instid0(VALU_DEP_3) | instskip(NEXT) | instid1(VALU_DEP_3)
	v_add_f32_e32 v9, v6, v10
	v_fma_f32 v18, -v16, v20, v19
	s_delay_alu instid0(VALU_DEP_4) | instskip(NEXT) | instid1(VALU_DEP_4)
	v_add_f32_e32 v10, v5, v21
	v_bfe_u32 v6, v11, 16, 1
	v_bfe_u32 v5, v12, 16, 1
	s_delay_alu instid0(VALU_DEP_4) | instskip(SKIP_1) | instid1(VALU_DEP_4)
	v_fmac_f32_e32 v20, v18, v17
	v_bfe_u32 v18, v9, 16, 1
	v_add3_u32 v6, v11, v6, 0x7fff
	s_delay_alu instid0(VALU_DEP_4)
	v_add3_u32 v5, v12, v5, 0x7fff
	v_bfe_u32 v21, v10, 16, 1
	v_fma_f32 v16, -v16, v20, v19
	v_add3_u32 v18, v9, v18, 0x7fff
	v_and_b32_e32 v6, 0xffff0000, v6
	v_lshrrev_b32_e32 v5, 16, v5
	v_add3_u32 v19, v10, v21, 0x7fff
	v_div_fmas_f32 v16, v16, v17, v20
	v_and_b32_e32 v17, 0xffff0000, v18
	v_cmp_o_f32_e32 vcc_lo, v11, v11
	s_delay_alu instid0(VALU_DEP_4) | instskip(NEXT) | instid1(VALU_DEP_4)
	v_lshrrev_b32_e32 v18, 16, v19
	v_div_fixup_f32 v13, v16, v4, v13
	v_cndmask_b32_e32 v6, 0x7fc00000, v6, vcc_lo
	v_cmp_o_f32_e32 vcc_lo, v12, v12
	s_delay_alu instid0(VALU_DEP_3) | instskip(SKIP_2) | instid1(VALU_DEP_3)
	v_minmax_f32 v12, v13, s7, 0xc3600000
	v_cndmask_b32_e32 v5, 0x7fc0, v5, vcc_lo
	v_cmp_o_f32_e32 vcc_lo, v9, v9
	v_and_b32_e32 v13, 0x7fffffff, v12
	s_delay_alu instid0(VALU_DEP_3) | instskip(SKIP_4) | instid1(VALU_DEP_1)
	v_or_b32_e32 v6, v5, v6
	v_cndmask_b32_e32 v16, 0x7fc00000, v17, vcc_lo
	v_cmp_o_f32_e32 vcc_lo, v10, v10
	v_mov_b32_e32 v5, 0x80
	v_cndmask_b32_e32 v17, 0x7fc0, v18, vcc_lo
	v_or3_b32 v17, 0, v17, v16
	v_or3_b32 v16, v6, 0, 0
	v_mov_b32_e32 v6, 0x80
	global_store_b64 v[14:15], v[16:17], off
	v_cmpx_gt_u32_e32 0x43800000, v13
	s_cbranch_execz .LBB67_69
; %bb.64:                               ;   in Loop: Header=BB67_63 Depth=1
	v_cmp_lt_u32_e32 vcc_lo, 0x3bffffff, v13
	s_mov_b32 s9, 0
                                        ; implicit-def: $vgpr13
	s_and_saveexec_b32 s12, vcc_lo
	s_delay_alu instid0(SALU_CYCLE_1)
	s_xor_b32 s12, exec_lo, s12
	s_cbranch_execnz .LBB67_160
; %bb.65:                               ;   in Loop: Header=BB67_63 Depth=1
	s_or_saveexec_b32 s12, s12
                                        ; implicit-def: $sgpr13
	s_delay_alu instid0(SALU_CYCLE_1)
	s_xor_b32 exec_lo, exec_lo, s12
	s_cbranch_execnz .LBB67_161
.LBB67_66:                              ;   in Loop: Header=BB67_63 Depth=1
	s_or_b32 exec_lo, exec_lo, s12
	v_mov_b32_e32 v6, s13
	s_and_saveexec_b32 s12, s9
.LBB67_67:                              ;   in Loop: Header=BB67_63 Depth=1
	v_lshrrev_b32_e32 v6, 24, v12
	s_delay_alu instid0(VALU_DEP_1)
	v_and_or_b32 v6, 0x80, v6, v13
.LBB67_68:                              ;   in Loop: Header=BB67_63 Depth=1
	s_or_b32 exec_lo, exec_lo, s12
.LBB67_69:                              ;   in Loop: Header=BB67_63 Depth=1
	s_delay_alu instid0(SALU_CYCLE_1) | instskip(SKIP_3) | instid1(VALU_DEP_2)
	s_or_b32 exec_lo, exec_lo, s8
	v_mul_f32_e32 v11, v28, v11
	v_and_b32_e32 v13, 0xffff0000, v2
	s_mov_b32 s8, exec_lo
	v_bfe_u32 v12, v11, 16, 1
	s_delay_alu instid0(VALU_DEP_1) | instskip(NEXT) | instid1(VALU_DEP_1)
	v_add3_u32 v12, v11, v12, 0x7fff
	v_and_b32_e32 v12, 0xffff0000, v12
	v_cmp_o_f32_e32 vcc_lo, v11, v11
	s_delay_alu instid0(VALU_DEP_2) | instskip(NEXT) | instid1(VALU_DEP_1)
	v_cndmask_b32_e32 v11, 0x7fc00000, v12, vcc_lo
	v_mul_f32_e32 v11, v11, v13
	s_delay_alu instid0(VALU_DEP_1) | instskip(NEXT) | instid1(VALU_DEP_1)
	v_bfe_u32 v12, v11, 16, 1
	v_add3_u32 v12, v11, v12, 0x7fff
	s_delay_alu instid0(VALU_DEP_1) | instskip(SKIP_1) | instid1(VALU_DEP_2)
	v_and_b32_e32 v12, 0xffff0000, v12
	v_cmp_o_f32_e32 vcc_lo, v11, v11
	v_cndmask_b32_e32 v11, 0x7fc00000, v12, vcc_lo
	s_delay_alu instid0(VALU_DEP_1) | instskip(NEXT) | instid1(VALU_DEP_1)
	v_div_scale_f32 v12, null, v4, v4, v11
	v_rcp_f32_e32 v13, v12
	s_waitcnt_depctr 0xfff
	v_fma_f32 v14, -v12, v13, 1.0
	s_delay_alu instid0(VALU_DEP_1) | instskip(SKIP_1) | instid1(VALU_DEP_1)
	v_fmac_f32_e32 v13, v14, v13
	v_div_scale_f32 v14, vcc_lo, v11, v4, v11
	v_mul_f32_e32 v15, v14, v13
	s_delay_alu instid0(VALU_DEP_1) | instskip(NEXT) | instid1(VALU_DEP_1)
	v_fma_f32 v16, -v12, v15, v14
	v_fmac_f32_e32 v15, v16, v13
	s_delay_alu instid0(VALU_DEP_1) | instskip(NEXT) | instid1(VALU_DEP_1)
	v_fma_f32 v12, -v12, v15, v14
	v_div_fmas_f32 v12, v12, v13, v15
	s_delay_alu instid0(VALU_DEP_1) | instskip(NEXT) | instid1(VALU_DEP_1)
	v_div_fixup_f32 v11, v12, v4, v11
	v_minmax_f32 v11, v11, s7, 0xc3600000
	s_delay_alu instid0(VALU_DEP_1) | instskip(NEXT) | instid1(VALU_DEP_1)
	v_and_b32_e32 v12, 0x7fffffff, v11
	v_cmpx_gt_u32_e32 0x43800000, v12
	s_cbranch_execz .LBB67_75
; %bb.70:                               ;   in Loop: Header=BB67_63 Depth=1
	v_cmp_lt_u32_e32 vcc_lo, 0x3bffffff, v12
	s_mov_b32 s9, 0
                                        ; implicit-def: $vgpr12
	s_and_saveexec_b32 s12, vcc_lo
	s_delay_alu instid0(SALU_CYCLE_1)
	s_xor_b32 s12, exec_lo, s12
	s_cbranch_execnz .LBB67_162
; %bb.71:                               ;   in Loop: Header=BB67_63 Depth=1
	s_or_saveexec_b32 s12, s12
                                        ; implicit-def: $sgpr13
	s_delay_alu instid0(SALU_CYCLE_1)
	s_xor_b32 exec_lo, exec_lo, s12
	s_cbranch_execnz .LBB67_163
.LBB67_72:                              ;   in Loop: Header=BB67_63 Depth=1
	s_or_b32 exec_lo, exec_lo, s12
	v_mov_b32_e32 v5, s13
	s_and_saveexec_b32 s12, s9
.LBB67_73:                              ;   in Loop: Header=BB67_63 Depth=1
	v_lshrrev_b32_e32 v5, 24, v11
	s_delay_alu instid0(VALU_DEP_1)
	v_and_or_b32 v5, 0x80, v5, v12
.LBB67_74:                              ;   in Loop: Header=BB67_63 Depth=1
	s_or_b32 exec_lo, exec_lo, s12
.LBB67_75:                              ;   in Loop: Header=BB67_63 Depth=1
	s_delay_alu instid0(SALU_CYCLE_1) | instskip(SKIP_3) | instid1(VALU_DEP_2)
	s_or_b32 exec_lo, exec_lo, s8
	v_mul_f32_e32 v10, v28, v10
	v_alignbit_b32 v2, v3, v2, 16
	s_mov_b32 s8, exec_lo
	v_bfe_u32 v11, v10, 16, 1
	s_delay_alu instid0(VALU_DEP_2) | instskip(NEXT) | instid1(VALU_DEP_2)
	v_and_b32_e32 v2, 0xffff0000, v2
	v_add3_u32 v11, v10, v11, 0x7fff
	s_delay_alu instid0(VALU_DEP_1) | instskip(SKIP_1) | instid1(VALU_DEP_2)
	v_and_b32_e32 v11, 0xffff0000, v11
	v_cmp_o_f32_e32 vcc_lo, v10, v10
	v_cndmask_b32_e32 v10, 0x7fc00000, v11, vcc_lo
	s_delay_alu instid0(VALU_DEP_1) | instskip(NEXT) | instid1(VALU_DEP_1)
	v_mul_f32_e32 v2, v10, v2
	v_bfe_u32 v10, v2, 16, 1
	v_cmp_o_f32_e32 vcc_lo, v2, v2
	s_delay_alu instid0(VALU_DEP_2) | instskip(NEXT) | instid1(VALU_DEP_1)
	v_add3_u32 v10, v2, v10, 0x7fff
	v_and_b32_e32 v10, 0xffff0000, v10
	s_delay_alu instid0(VALU_DEP_1) | instskip(NEXT) | instid1(VALU_DEP_1)
	v_cndmask_b32_e32 v2, 0x7fc00000, v10, vcc_lo
	v_div_scale_f32 v10, null, v4, v4, v2
	v_div_scale_f32 v13, vcc_lo, v2, v4, v2
	s_delay_alu instid0(VALU_DEP_2) | instskip(SKIP_2) | instid1(VALU_DEP_1)
	v_rcp_f32_e32 v11, v10
	s_waitcnt_depctr 0xfff
	v_fma_f32 v12, -v10, v11, 1.0
	v_fmac_f32_e32 v11, v12, v11
	s_delay_alu instid0(VALU_DEP_1) | instskip(NEXT) | instid1(VALU_DEP_1)
	v_mul_f32_e32 v12, v13, v11
	v_fma_f32 v14, -v10, v12, v13
	s_delay_alu instid0(VALU_DEP_1) | instskip(NEXT) | instid1(VALU_DEP_1)
	v_fmac_f32_e32 v12, v14, v11
	v_fma_f32 v10, -v10, v12, v13
	s_delay_alu instid0(VALU_DEP_1) | instskip(NEXT) | instid1(VALU_DEP_1)
	v_div_fmas_f32 v10, v10, v11, v12
	v_div_fixup_f32 v2, v10, v4, v2
	v_mov_b32_e32 v10, 0x80
	s_delay_alu instid0(VALU_DEP_2) | instskip(SKIP_1) | instid1(VALU_DEP_2)
	v_minmax_f32 v11, v2, s7, 0xc3600000
	v_mov_b32_e32 v2, 0x80
	v_and_b32_e32 v12, 0x7fffffff, v11
	s_delay_alu instid0(VALU_DEP_1)
	v_cmpx_gt_u32_e32 0x43800000, v12
	s_cbranch_execz .LBB67_81
; %bb.76:                               ;   in Loop: Header=BB67_63 Depth=1
	v_cmp_lt_u32_e32 vcc_lo, 0x3bffffff, v12
	s_mov_b32 s9, 0
                                        ; implicit-def: $vgpr12
	s_and_saveexec_b32 s12, vcc_lo
	s_delay_alu instid0(SALU_CYCLE_1)
	s_xor_b32 s12, exec_lo, s12
	s_cbranch_execnz .LBB67_164
; %bb.77:                               ;   in Loop: Header=BB67_63 Depth=1
	s_or_saveexec_b32 s12, s12
                                        ; implicit-def: $sgpr13
	s_delay_alu instid0(SALU_CYCLE_1)
	s_xor_b32 exec_lo, exec_lo, s12
	s_cbranch_execnz .LBB67_165
.LBB67_78:                              ;   in Loop: Header=BB67_63 Depth=1
	s_or_b32 exec_lo, exec_lo, s12
	v_mov_b32_e32 v10, s13
	s_and_saveexec_b32 s12, s9
.LBB67_79:                              ;   in Loop: Header=BB67_63 Depth=1
	v_lshrrev_b32_e32 v10, 24, v11
	s_delay_alu instid0(VALU_DEP_1)
	v_and_or_b32 v10, 0x80, v10, v12
.LBB67_80:                              ;   in Loop: Header=BB67_63 Depth=1
	s_or_b32 exec_lo, exec_lo, s12
.LBB67_81:                              ;   in Loop: Header=BB67_63 Depth=1
	s_delay_alu instid0(SALU_CYCLE_1) | instskip(SKIP_3) | instid1(VALU_DEP_2)
	s_or_b32 exec_lo, exec_lo, s8
	v_mul_f32_e32 v9, v28, v9
	v_and_b32_e32 v3, 0xffff0000, v3
	s_mov_b32 s8, exec_lo
	v_bfe_u32 v11, v9, 16, 1
	v_cmp_o_f32_e32 vcc_lo, v9, v9
	s_delay_alu instid0(VALU_DEP_2) | instskip(NEXT) | instid1(VALU_DEP_1)
	v_add3_u32 v11, v9, v11, 0x7fff
	v_and_b32_e32 v11, 0xffff0000, v11
	s_delay_alu instid0(VALU_DEP_1) | instskip(NEXT) | instid1(VALU_DEP_1)
	v_cndmask_b32_e32 v9, 0x7fc00000, v11, vcc_lo
	v_mul_f32_e32 v3, v9, v3
	s_delay_alu instid0(VALU_DEP_1) | instskip(SKIP_1) | instid1(VALU_DEP_2)
	v_bfe_u32 v9, v3, 16, 1
	v_cmp_o_f32_e32 vcc_lo, v3, v3
	v_add3_u32 v9, v3, v9, 0x7fff
	s_delay_alu instid0(VALU_DEP_1) | instskip(NEXT) | instid1(VALU_DEP_1)
	v_and_b32_e32 v9, 0xffff0000, v9
	v_cndmask_b32_e32 v3, 0x7fc00000, v9, vcc_lo
	s_delay_alu instid0(VALU_DEP_1) | instskip(NEXT) | instid1(VALU_DEP_1)
	v_div_scale_f32 v9, null, v4, v4, v3
	v_rcp_f32_e32 v11, v9
	s_waitcnt_depctr 0xfff
	v_fma_f32 v12, -v9, v11, 1.0
	s_delay_alu instid0(VALU_DEP_1) | instskip(SKIP_1) | instid1(VALU_DEP_1)
	v_fmac_f32_e32 v11, v12, v11
	v_div_scale_f32 v12, vcc_lo, v3, v4, v3
	v_mul_f32_e32 v13, v12, v11
	s_delay_alu instid0(VALU_DEP_1) | instskip(NEXT) | instid1(VALU_DEP_1)
	v_fma_f32 v14, -v9, v13, v12
	v_fmac_f32_e32 v13, v14, v11
	s_delay_alu instid0(VALU_DEP_1) | instskip(NEXT) | instid1(VALU_DEP_1)
	v_fma_f32 v9, -v9, v13, v12
	v_div_fmas_f32 v9, v9, v11, v13
	s_delay_alu instid0(VALU_DEP_1) | instskip(NEXT) | instid1(VALU_DEP_1)
	v_div_fixup_f32 v3, v9, v4, v3
	v_minmax_f32 v3, v3, s7, 0xc3600000
	s_delay_alu instid0(VALU_DEP_1) | instskip(NEXT) | instid1(VALU_DEP_1)
	v_and_b32_e32 v4, 0x7fffffff, v3
	v_cmpx_gt_u32_e32 0x43800000, v4
	s_cbranch_execz .LBB67_87
; %bb.82:                               ;   in Loop: Header=BB67_63 Depth=1
	v_cmp_lt_u32_e32 vcc_lo, 0x3bffffff, v4
	s_mov_b32 s9, 0
                                        ; implicit-def: $vgpr4
	s_and_saveexec_b32 s12, vcc_lo
	s_delay_alu instid0(SALU_CYCLE_1)
	s_xor_b32 s12, exec_lo, s12
	s_cbranch_execnz .LBB67_166
; %bb.83:                               ;   in Loop: Header=BB67_63 Depth=1
	s_or_saveexec_b32 s12, s12
                                        ; implicit-def: $sgpr13
	s_delay_alu instid0(SALU_CYCLE_1)
	s_xor_b32 exec_lo, exec_lo, s12
	s_cbranch_execnz .LBB67_167
.LBB67_84:                              ;   in Loop: Header=BB67_63 Depth=1
	s_or_b32 exec_lo, exec_lo, s12
	v_mov_b32_e32 v2, s13
	s_and_saveexec_b32 s12, s9
.LBB67_85:                              ;   in Loop: Header=BB67_63 Depth=1
	v_lshrrev_b32_e32 v2, 24, v3
	s_delay_alu instid0(VALU_DEP_1)
	v_and_or_b32 v2, 0x80, v2, v4
.LBB67_86:                              ;   in Loop: Header=BB67_63 Depth=1
	s_or_b32 exec_lo, exec_lo, s12
.LBB67_87:                              ;   in Loop: Header=BB67_63 Depth=1
	s_delay_alu instid0(SALU_CYCLE_1)
	s_or_b32 exec_lo, exec_lo, s8
	v_lshlrev_b32_e32 v9, 16, v10
	v_lshlrev_b32_e32 v5, 8, v5
	v_lshlrev_b64 v[3:4], 2, v[0:1]
	v_and_b32_e32 v6, 0xff, v6
	s_mov_b32 s9, -1
	v_perm_b32 v9, v2, v9, 0x4020c0c
	v_and_b32_e32 v5, 0xff00, v5
	v_add_nc_u32_e32 v2, s35, v0
	v_add_co_u32 v3, vcc_lo, s0, v3
	v_add_co_ci_u32_e32 v4, vcc_lo, s1, v4, vcc_lo
	s_delay_alu instid0(VALU_DEP_4)
	v_or3_b32 v5, v9, v5, v6
	s_mov_b32 s8, exec_lo
	global_store_b32 v[3:4], v5, off
	v_cmpx_gt_u32_e64 s14, v2
	s_cbranch_execz .LBB67_62
; %bb.88:                               ;   in Loop: Header=BB67_63 Depth=1
	v_bfe_u32 v18, v2, 5, 25
	s_mov_b32 s9, exec_lo
	s_delay_alu instid0(VALU_DEP_1) | instskip(NEXT) | instid1(VALU_DEP_1)
	v_mad_u64_u32 v[13:14], null, v7, v18, 0
	v_dual_mov_b32 v3, v1 :: v_dual_mov_b32 v6, v14
	s_delay_alu instid0(VALU_DEP_1) | instskip(NEXT) | instid1(VALU_DEP_2)
	v_lshlrev_b64 v[4:5], 3, v[2:3]
	v_mad_u64_u32 v[14:15], null, v8, v18, v[6:7]
	s_delay_alu instid0(VALU_DEP_2) | instskip(NEXT) | instid1(VALU_DEP_3)
	v_add_co_u32 v9, vcc_lo, s30, v4
	v_add_co_ci_u32_e32 v10, vcc_lo, s31, v5, vcc_lo
	v_add_co_u32 v16, vcc_lo, s33, v4
	v_add_co_ci_u32_e32 v17, vcc_lo, s34, v5, vcc_lo
	;; [unrolled: 2-line block ×3, first 2 shown]
	global_load_b64 v[9:10], v[9:10], off
	global_load_b64 v[11:12], v[16:17], off
	v_lshlrev_b64 v[13:14], 2, v[13:14]
	global_load_b64 v[4:5], v[4:5], off
	v_add_co_u32 v13, vcc_lo, s4, v13
	v_add_co_ci_u32_e32 v14, vcc_lo, s5, v14, vcc_lo
	global_load_b32 v6, v[13:14], off
	s_waitcnt vmcnt(3)
	v_lshlrev_b32_e32 v13, 16, v9
	v_and_b32_e32 v20, 0xffff0000, v9
	v_alignbit_b32 v9, v10, v9, 16
	v_and_b32_e32 v10, 0xffff0000, v10
	s_waitcnt vmcnt(1)
	v_lshlrev_b32_e32 v18, 16, v4
	v_lshlrev_b32_e32 v14, 16, v11
	s_delay_alu instid0(VALU_DEP_1) | instskip(NEXT) | instid1(VALU_DEP_1)
	v_add_f32_e32 v14, v13, v14
	v_mul_f32_e32 v13, v28, v14
	s_delay_alu instid0(VALU_DEP_1) | instskip(SKIP_1) | instid1(VALU_DEP_2)
	v_bfe_u32 v15, v13, 16, 1
	v_cmp_o_f32_e32 vcc_lo, v13, v13
	v_add3_u32 v15, v13, v15, 0x7fff
	s_delay_alu instid0(VALU_DEP_1) | instskip(NEXT) | instid1(VALU_DEP_1)
	v_and_b32_e32 v15, 0xffff0000, v15
	v_cndmask_b32_e32 v13, 0x7fc00000, v15, vcc_lo
	s_delay_alu instid0(VALU_DEP_1) | instskip(NEXT) | instid1(VALU_DEP_1)
	v_mul_f32_e32 v13, v13, v18
	v_bfe_u32 v15, v13, 16, 1
	v_cmp_o_f32_e32 vcc_lo, v13, v13
	s_delay_alu instid0(VALU_DEP_2) | instskip(NEXT) | instid1(VALU_DEP_1)
	v_add3_u32 v15, v13, v15, 0x7fff
	v_and_b32_e32 v15, 0xffff0000, v15
	s_delay_alu instid0(VALU_DEP_1) | instskip(SKIP_1) | instid1(VALU_DEP_1)
	v_cndmask_b32_e32 v15, 0x7fc00000, v15, vcc_lo
	s_waitcnt vmcnt(0)
	v_div_scale_f32 v18, null, v6, v6, v15
	v_div_scale_f32 v21, vcc_lo, v15, v6, v15
	s_delay_alu instid0(VALU_DEP_2) | instskip(SKIP_2) | instid1(VALU_DEP_1)
	v_rcp_f32_e32 v19, v18
	s_waitcnt_depctr 0xfff
	v_fma_f32 v13, -v18, v19, 1.0
	v_fmac_f32_e32 v19, v13, v19
	v_alignbit_b32 v13, v12, v11, 16
	v_and_b32_e32 v11, 0xffff0000, v11
	v_and_b32_e32 v12, 0xffff0000, v12
	s_delay_alu instid0(VALU_DEP_3) | instskip(NEXT) | instid1(VALU_DEP_3)
	v_dual_mul_f32 v22, v21, v19 :: v_dual_and_b32 v23, 0xffff0000, v13
	v_add_f32_e32 v13, v20, v11
	s_delay_alu instid0(VALU_DEP_2) | instskip(NEXT) | instid1(VALU_DEP_1)
	v_fma_f32 v20, -v18, v22, v21
	v_dual_fmac_f32 v22, v20, v19 :: v_dual_and_b32 v9, 0xffff0000, v9
	s_delay_alu instid0(VALU_DEP_1) | instskip(NEXT) | instid1(VALU_DEP_4)
	v_dual_add_f32 v11, v10, v12 :: v_dual_add_f32 v12, v9, v23
	v_bfe_u32 v10, v13, 16, 1
	v_bfe_u32 v9, v14, 16, 1
	s_delay_alu instid0(VALU_DEP_4) | instskip(NEXT) | instid1(VALU_DEP_4)
	v_fma_f32 v18, -v18, v22, v21
	v_bfe_u32 v20, v11, 16, 1
	v_bfe_u32 v23, v12, 16, 1
	v_add3_u32 v10, v13, v10, 0x7fff
	v_add3_u32 v9, v14, v9, 0x7fff
	v_div_fmas_f32 v18, v18, v19, v22
	v_cmp_o_f32_e32 vcc_lo, v13, v13
	v_add3_u32 v20, v11, v20, 0x7fff
	v_and_b32_e32 v10, 0xffff0000, v10
	v_lshrrev_b32_e32 v9, 16, v9
	v_add3_u32 v21, v12, v23, 0x7fff
	v_div_fixup_f32 v15, v18, v6, v15
	v_and_b32_e32 v19, 0xffff0000, v20
	v_cndmask_b32_e32 v10, 0x7fc00000, v10, vcc_lo
	v_cmp_o_f32_e32 vcc_lo, v14, v14
	v_lshrrev_b32_e32 v20, 16, v21
	v_minmax_f32 v14, v15, s7, 0xc3600000
	v_cndmask_b32_e32 v9, 0x7fc0, v9, vcc_lo
	v_cmp_o_f32_e32 vcc_lo, v11, v11
	s_delay_alu instid0(VALU_DEP_3) | instskip(NEXT) | instid1(VALU_DEP_3)
	v_and_b32_e32 v15, 0x7fffffff, v14
	v_or_b32_e32 v10, v9, v10
	v_cndmask_b32_e32 v18, 0x7fc00000, v19, vcc_lo
	v_cmp_o_f32_e32 vcc_lo, v12, v12
	v_mov_b32_e32 v9, 0x80
	v_cndmask_b32_e32 v19, 0x7fc0, v20, vcc_lo
	s_delay_alu instid0(VALU_DEP_1)
	v_or3_b32 v19, 0, v19, v18
	v_or3_b32 v18, v10, 0, 0
	v_mov_b32_e32 v10, 0x80
	global_store_b64 v[16:17], v[18:19], off
	v_cmpx_gt_u32_e32 0x43800000, v15
	s_cbranch_execz .LBB67_94
; %bb.89:                               ;   in Loop: Header=BB67_63 Depth=1
	v_cmp_lt_u32_e32 vcc_lo, 0x3bffffff, v15
	s_mov_b32 s12, 0
                                        ; implicit-def: $vgpr15
	s_and_saveexec_b32 s13, vcc_lo
	s_delay_alu instid0(SALU_CYCLE_1)
	s_xor_b32 s13, exec_lo, s13
	s_cbranch_execnz .LBB67_168
; %bb.90:                               ;   in Loop: Header=BB67_63 Depth=1
	s_or_saveexec_b32 s13, s13
                                        ; implicit-def: $sgpr15
	s_delay_alu instid0(SALU_CYCLE_1)
	s_xor_b32 exec_lo, exec_lo, s13
	s_cbranch_execnz .LBB67_169
.LBB67_91:                              ;   in Loop: Header=BB67_63 Depth=1
	s_or_b32 exec_lo, exec_lo, s13
	v_mov_b32_e32 v10, s15
	s_and_saveexec_b32 s13, s12
.LBB67_92:                              ;   in Loop: Header=BB67_63 Depth=1
	v_lshrrev_b32_e32 v10, 24, v14
	s_delay_alu instid0(VALU_DEP_1)
	v_and_or_b32 v10, 0x80, v10, v15
.LBB67_93:                              ;   in Loop: Header=BB67_63 Depth=1
	s_or_b32 exec_lo, exec_lo, s13
.LBB67_94:                              ;   in Loop: Header=BB67_63 Depth=1
	s_delay_alu instid0(SALU_CYCLE_1) | instskip(SKIP_3) | instid1(VALU_DEP_2)
	s_or_b32 exec_lo, exec_lo, s9
	v_mul_f32_e32 v13, v28, v13
	v_and_b32_e32 v15, 0xffff0000, v4
	s_mov_b32 s9, exec_lo
	v_bfe_u32 v14, v13, 16, 1
	s_delay_alu instid0(VALU_DEP_1) | instskip(NEXT) | instid1(VALU_DEP_1)
	v_add3_u32 v14, v13, v14, 0x7fff
	v_and_b32_e32 v14, 0xffff0000, v14
	v_cmp_o_f32_e32 vcc_lo, v13, v13
	s_delay_alu instid0(VALU_DEP_2) | instskip(NEXT) | instid1(VALU_DEP_1)
	v_cndmask_b32_e32 v13, 0x7fc00000, v14, vcc_lo
	v_mul_f32_e32 v13, v13, v15
	s_delay_alu instid0(VALU_DEP_1) | instskip(NEXT) | instid1(VALU_DEP_1)
	v_bfe_u32 v14, v13, 16, 1
	v_add3_u32 v14, v13, v14, 0x7fff
	s_delay_alu instid0(VALU_DEP_1) | instskip(SKIP_1) | instid1(VALU_DEP_2)
	v_and_b32_e32 v14, 0xffff0000, v14
	v_cmp_o_f32_e32 vcc_lo, v13, v13
	v_cndmask_b32_e32 v13, 0x7fc00000, v14, vcc_lo
	s_delay_alu instid0(VALU_DEP_1) | instskip(NEXT) | instid1(VALU_DEP_1)
	v_div_scale_f32 v14, null, v6, v6, v13
	v_rcp_f32_e32 v15, v14
	s_waitcnt_depctr 0xfff
	v_fma_f32 v16, -v14, v15, 1.0
	s_delay_alu instid0(VALU_DEP_1) | instskip(SKIP_1) | instid1(VALU_DEP_1)
	v_fmac_f32_e32 v15, v16, v15
	v_div_scale_f32 v16, vcc_lo, v13, v6, v13
	v_mul_f32_e32 v17, v16, v15
	s_delay_alu instid0(VALU_DEP_1) | instskip(NEXT) | instid1(VALU_DEP_1)
	v_fma_f32 v18, -v14, v17, v16
	v_fmac_f32_e32 v17, v18, v15
	s_delay_alu instid0(VALU_DEP_1) | instskip(NEXT) | instid1(VALU_DEP_1)
	v_fma_f32 v14, -v14, v17, v16
	v_div_fmas_f32 v14, v14, v15, v17
	s_delay_alu instid0(VALU_DEP_1) | instskip(NEXT) | instid1(VALU_DEP_1)
	v_div_fixup_f32 v13, v14, v6, v13
	v_minmax_f32 v13, v13, s7, 0xc3600000
	s_delay_alu instid0(VALU_DEP_1) | instskip(NEXT) | instid1(VALU_DEP_1)
	v_and_b32_e32 v14, 0x7fffffff, v13
	v_cmpx_gt_u32_e32 0x43800000, v14
	s_cbranch_execz .LBB67_100
; %bb.95:                               ;   in Loop: Header=BB67_63 Depth=1
	v_cmp_lt_u32_e32 vcc_lo, 0x3bffffff, v14
	s_mov_b32 s12, 0
                                        ; implicit-def: $vgpr14
	s_and_saveexec_b32 s13, vcc_lo
	s_delay_alu instid0(SALU_CYCLE_1)
	s_xor_b32 s13, exec_lo, s13
	s_cbranch_execnz .LBB67_170
; %bb.96:                               ;   in Loop: Header=BB67_63 Depth=1
	s_or_saveexec_b32 s13, s13
                                        ; implicit-def: $sgpr15
	s_delay_alu instid0(SALU_CYCLE_1)
	s_xor_b32 exec_lo, exec_lo, s13
	s_cbranch_execnz .LBB67_171
.LBB67_97:                              ;   in Loop: Header=BB67_63 Depth=1
	s_or_b32 exec_lo, exec_lo, s13
	v_mov_b32_e32 v9, s15
	s_and_saveexec_b32 s13, s12
.LBB67_98:                              ;   in Loop: Header=BB67_63 Depth=1
	v_lshrrev_b32_e32 v9, 24, v13
	s_delay_alu instid0(VALU_DEP_1)
	v_and_or_b32 v9, 0x80, v9, v14
.LBB67_99:                              ;   in Loop: Header=BB67_63 Depth=1
	s_or_b32 exec_lo, exec_lo, s13
.LBB67_100:                             ;   in Loop: Header=BB67_63 Depth=1
	s_delay_alu instid0(SALU_CYCLE_1) | instskip(SKIP_3) | instid1(VALU_DEP_2)
	s_or_b32 exec_lo, exec_lo, s9
	v_mul_f32_e32 v12, v28, v12
	v_alignbit_b32 v4, v5, v4, 16
	s_mov_b32 s9, exec_lo
	v_bfe_u32 v13, v12, 16, 1
	s_delay_alu instid0(VALU_DEP_2) | instskip(NEXT) | instid1(VALU_DEP_2)
	v_and_b32_e32 v4, 0xffff0000, v4
	v_add3_u32 v13, v12, v13, 0x7fff
	s_delay_alu instid0(VALU_DEP_1) | instskip(SKIP_1) | instid1(VALU_DEP_2)
	v_and_b32_e32 v13, 0xffff0000, v13
	v_cmp_o_f32_e32 vcc_lo, v12, v12
	v_cndmask_b32_e32 v12, 0x7fc00000, v13, vcc_lo
	s_delay_alu instid0(VALU_DEP_1) | instskip(NEXT) | instid1(VALU_DEP_1)
	v_mul_f32_e32 v4, v12, v4
	v_bfe_u32 v12, v4, 16, 1
	v_cmp_o_f32_e32 vcc_lo, v4, v4
	s_delay_alu instid0(VALU_DEP_2) | instskip(NEXT) | instid1(VALU_DEP_1)
	v_add3_u32 v12, v4, v12, 0x7fff
	v_and_b32_e32 v12, 0xffff0000, v12
	s_delay_alu instid0(VALU_DEP_1) | instskip(NEXT) | instid1(VALU_DEP_1)
	v_cndmask_b32_e32 v4, 0x7fc00000, v12, vcc_lo
	v_div_scale_f32 v12, null, v6, v6, v4
	v_div_scale_f32 v15, vcc_lo, v4, v6, v4
	s_delay_alu instid0(VALU_DEP_2) | instskip(SKIP_2) | instid1(VALU_DEP_1)
	v_rcp_f32_e32 v13, v12
	s_waitcnt_depctr 0xfff
	v_fma_f32 v14, -v12, v13, 1.0
	v_fmac_f32_e32 v13, v14, v13
	s_delay_alu instid0(VALU_DEP_1) | instskip(NEXT) | instid1(VALU_DEP_1)
	v_mul_f32_e32 v14, v15, v13
	v_fma_f32 v16, -v12, v14, v15
	s_delay_alu instid0(VALU_DEP_1) | instskip(NEXT) | instid1(VALU_DEP_1)
	v_fmac_f32_e32 v14, v16, v13
	v_fma_f32 v12, -v12, v14, v15
	s_delay_alu instid0(VALU_DEP_1) | instskip(NEXT) | instid1(VALU_DEP_1)
	v_div_fmas_f32 v12, v12, v13, v14
	v_div_fixup_f32 v4, v12, v6, v4
	v_mov_b32_e32 v12, 0x80
	s_delay_alu instid0(VALU_DEP_2) | instskip(SKIP_1) | instid1(VALU_DEP_2)
	v_minmax_f32 v13, v4, s7, 0xc3600000
	v_mov_b32_e32 v4, 0x80
	v_and_b32_e32 v14, 0x7fffffff, v13
	s_delay_alu instid0(VALU_DEP_1)
	v_cmpx_gt_u32_e32 0x43800000, v14
	s_cbranch_execz .LBB67_106
; %bb.101:                              ;   in Loop: Header=BB67_63 Depth=1
	v_cmp_lt_u32_e32 vcc_lo, 0x3bffffff, v14
	s_mov_b32 s12, 0
                                        ; implicit-def: $vgpr14
	s_and_saveexec_b32 s13, vcc_lo
	s_delay_alu instid0(SALU_CYCLE_1)
	s_xor_b32 s13, exec_lo, s13
	s_cbranch_execnz .LBB67_172
; %bb.102:                              ;   in Loop: Header=BB67_63 Depth=1
	s_or_saveexec_b32 s13, s13
                                        ; implicit-def: $sgpr15
	s_delay_alu instid0(SALU_CYCLE_1)
	s_xor_b32 exec_lo, exec_lo, s13
	s_cbranch_execnz .LBB67_173
.LBB67_103:                             ;   in Loop: Header=BB67_63 Depth=1
	s_or_b32 exec_lo, exec_lo, s13
	v_mov_b32_e32 v12, s15
	s_and_saveexec_b32 s13, s12
.LBB67_104:                             ;   in Loop: Header=BB67_63 Depth=1
	v_lshrrev_b32_e32 v12, 24, v13
	s_delay_alu instid0(VALU_DEP_1)
	v_and_or_b32 v12, 0x80, v12, v14
.LBB67_105:                             ;   in Loop: Header=BB67_63 Depth=1
	s_or_b32 exec_lo, exec_lo, s13
.LBB67_106:                             ;   in Loop: Header=BB67_63 Depth=1
	s_delay_alu instid0(SALU_CYCLE_1) | instskip(SKIP_3) | instid1(VALU_DEP_2)
	s_or_b32 exec_lo, exec_lo, s9
	v_mul_f32_e32 v11, v28, v11
	v_and_b32_e32 v5, 0xffff0000, v5
	s_mov_b32 s9, exec_lo
	v_bfe_u32 v13, v11, 16, 1
	v_cmp_o_f32_e32 vcc_lo, v11, v11
	s_delay_alu instid0(VALU_DEP_2) | instskip(NEXT) | instid1(VALU_DEP_1)
	v_add3_u32 v13, v11, v13, 0x7fff
	v_and_b32_e32 v13, 0xffff0000, v13
	s_delay_alu instid0(VALU_DEP_1) | instskip(NEXT) | instid1(VALU_DEP_1)
	v_cndmask_b32_e32 v11, 0x7fc00000, v13, vcc_lo
	v_mul_f32_e32 v5, v11, v5
	s_delay_alu instid0(VALU_DEP_1) | instskip(SKIP_1) | instid1(VALU_DEP_2)
	v_bfe_u32 v11, v5, 16, 1
	v_cmp_o_f32_e32 vcc_lo, v5, v5
	v_add3_u32 v11, v5, v11, 0x7fff
	s_delay_alu instid0(VALU_DEP_1) | instskip(NEXT) | instid1(VALU_DEP_1)
	v_and_b32_e32 v11, 0xffff0000, v11
	v_cndmask_b32_e32 v5, 0x7fc00000, v11, vcc_lo
	s_delay_alu instid0(VALU_DEP_1) | instskip(NEXT) | instid1(VALU_DEP_1)
	v_div_scale_f32 v11, null, v6, v6, v5
	v_rcp_f32_e32 v13, v11
	s_waitcnt_depctr 0xfff
	v_fma_f32 v14, -v11, v13, 1.0
	s_delay_alu instid0(VALU_DEP_1) | instskip(SKIP_1) | instid1(VALU_DEP_1)
	v_fmac_f32_e32 v13, v14, v13
	v_div_scale_f32 v14, vcc_lo, v5, v6, v5
	v_mul_f32_e32 v15, v14, v13
	s_delay_alu instid0(VALU_DEP_1) | instskip(NEXT) | instid1(VALU_DEP_1)
	v_fma_f32 v16, -v11, v15, v14
	v_fmac_f32_e32 v15, v16, v13
	s_delay_alu instid0(VALU_DEP_1) | instskip(NEXT) | instid1(VALU_DEP_1)
	v_fma_f32 v11, -v11, v15, v14
	v_div_fmas_f32 v11, v11, v13, v15
	s_delay_alu instid0(VALU_DEP_1) | instskip(NEXT) | instid1(VALU_DEP_1)
	v_div_fixup_f32 v5, v11, v6, v5
	v_minmax_f32 v5, v5, s7, 0xc3600000
	s_delay_alu instid0(VALU_DEP_1) | instskip(NEXT) | instid1(VALU_DEP_1)
	v_and_b32_e32 v6, 0x7fffffff, v5
	v_cmpx_gt_u32_e32 0x43800000, v6
	s_cbranch_execz .LBB67_112
; %bb.107:                              ;   in Loop: Header=BB67_63 Depth=1
	v_cmp_lt_u32_e32 vcc_lo, 0x3bffffff, v6
	s_mov_b32 s12, 0
                                        ; implicit-def: $vgpr6
	s_and_saveexec_b32 s13, vcc_lo
	s_delay_alu instid0(SALU_CYCLE_1)
	s_xor_b32 s13, exec_lo, s13
	s_cbranch_execnz .LBB67_174
; %bb.108:                              ;   in Loop: Header=BB67_63 Depth=1
	s_or_saveexec_b32 s13, s13
                                        ; implicit-def: $sgpr15
	s_delay_alu instid0(SALU_CYCLE_1)
	s_xor_b32 exec_lo, exec_lo, s13
	s_cbranch_execnz .LBB67_175
.LBB67_109:                             ;   in Loop: Header=BB67_63 Depth=1
	s_or_b32 exec_lo, exec_lo, s13
	v_mov_b32_e32 v4, s15
	s_and_saveexec_b32 s13, s12
.LBB67_110:                             ;   in Loop: Header=BB67_63 Depth=1
	v_lshrrev_b32_e32 v4, 24, v5
	s_delay_alu instid0(VALU_DEP_1)
	v_and_or_b32 v4, 0x80, v4, v6
.LBB67_111:                             ;   in Loop: Header=BB67_63 Depth=1
	s_or_b32 exec_lo, exec_lo, s13
.LBB67_112:                             ;   in Loop: Header=BB67_63 Depth=1
	s_delay_alu instid0(SALU_CYCLE_1)
	s_or_b32 exec_lo, exec_lo, s9
	v_lshlrev_b32_e32 v11, 16, v12
	v_lshlrev_b32_e32 v9, 8, v9
	v_lshlrev_b64 v[5:6], 2, v[2:3]
	v_and_b32_e32 v10, 0xff, v10
	v_add_nc_u32_e32 v3, s3, v0
	v_perm_b32 v11, v4, v11, 0x4020c0c
	v_and_b32_e32 v9, 0xff00, v9
	s_mov_b32 s12, -1
	v_add_co_u32 v4, vcc_lo, s0, v5
	v_add_co_ci_u32_e32 v5, vcc_lo, s1, v6, vcc_lo
	s_delay_alu instid0(VALU_DEP_3)
	v_or3_b32 v6, v11, v9, v10
	s_mov_b32 s9, exec_lo
	global_store_b32 v[4:5], v6, off
	v_cmpx_gt_u32_e64 s14, v3
	s_cbranch_execz .LBB67_61
; %bb.113:                              ;   in Loop: Header=BB67_63 Depth=1
	v_bfe_u32 v19, v3, 5, 25
	s_mov_b32 s12, exec_lo
	s_delay_alu instid0(VALU_DEP_1) | instskip(SKIP_1) | instid1(VALU_DEP_1)
	v_mad_u64_u32 v[14:15], null, v7, v19, 0
	v_mov_b32_e32 v4, v1
	v_lshlrev_b64 v[5:6], 3, v[3:4]
	s_delay_alu instid0(VALU_DEP_1) | instskip(NEXT) | instid1(VALU_DEP_2)
	v_add_co_u32 v9, vcc_lo, s30, v5
	v_add_co_ci_u32_e32 v10, vcc_lo, s31, v6, vcc_lo
	v_add_co_u32 v17, vcc_lo, s33, v5
	v_add_co_ci_u32_e32 v18, vcc_lo, s34, v6, vcc_lo
	global_load_b64 v[10:11], v[9:10], off
	global_load_b64 v[12:13], v[17:18], off
	v_mov_b32_e32 v9, v15
	v_add_co_u32 v5, vcc_lo, s10, v5
	v_add_co_ci_u32_e32 v6, vcc_lo, s11, v6, vcc_lo
	global_load_b64 v[5:6], v[5:6], off
	s_waitcnt vmcnt(2)
	v_mad_u64_u32 v[15:16], null, v8, v19, v[9:10]
	v_and_b32_e32 v21, 0xffff0000, v10
	s_delay_alu instid0(VALU_DEP_2) | instskip(SKIP_2) | instid1(VALU_DEP_2)
	v_lshlrev_b64 v[14:15], 2, v[14:15]
	s_waitcnt vmcnt(0)
	v_lshlrev_b32_e32 v19, 16, v5
	v_add_co_u32 v14, vcc_lo, s4, v14
	s_delay_alu instid0(VALU_DEP_3)
	v_add_co_ci_u32_e32 v15, vcc_lo, s5, v15, vcc_lo
	global_load_b32 v9, v[14:15], off
	v_lshlrev_b32_e32 v14, 16, v10
	v_lshlrev_b32_e32 v15, 16, v12
	v_alignbit_b32 v10, v11, v10, 16
	v_and_b32_e32 v11, 0xffff0000, v11
	s_delay_alu instid0(VALU_DEP_3) | instskip(NEXT) | instid1(VALU_DEP_1)
	v_add_f32_e32 v15, v14, v15
	v_mul_f32_e32 v14, v28, v15
	s_delay_alu instid0(VALU_DEP_1) | instskip(SKIP_1) | instid1(VALU_DEP_2)
	v_bfe_u32 v16, v14, 16, 1
	v_cmp_o_f32_e32 vcc_lo, v14, v14
	v_add3_u32 v16, v14, v16, 0x7fff
	s_delay_alu instid0(VALU_DEP_1) | instskip(NEXT) | instid1(VALU_DEP_1)
	v_and_b32_e32 v16, 0xffff0000, v16
	v_cndmask_b32_e32 v14, 0x7fc00000, v16, vcc_lo
	s_delay_alu instid0(VALU_DEP_1) | instskip(NEXT) | instid1(VALU_DEP_1)
	v_mul_f32_e32 v14, v14, v19
	v_bfe_u32 v16, v14, 16, 1
	v_cmp_o_f32_e32 vcc_lo, v14, v14
	s_delay_alu instid0(VALU_DEP_2) | instskip(NEXT) | instid1(VALU_DEP_1)
	v_add3_u32 v16, v14, v16, 0x7fff
	v_and_b32_e32 v16, 0xffff0000, v16
	s_delay_alu instid0(VALU_DEP_1) | instskip(SKIP_1) | instid1(VALU_DEP_1)
	v_cndmask_b32_e32 v16, 0x7fc00000, v16, vcc_lo
	s_waitcnt vmcnt(0)
	v_div_scale_f32 v19, null, v9, v9, v16
	v_div_scale_f32 v22, vcc_lo, v16, v9, v16
	s_delay_alu instid0(VALU_DEP_2) | instskip(SKIP_2) | instid1(VALU_DEP_1)
	v_rcp_f32_e32 v20, v19
	s_waitcnt_depctr 0xfff
	v_fma_f32 v14, -v19, v20, 1.0
	v_fmac_f32_e32 v20, v14, v20
	v_alignbit_b32 v14, v13, v12, 16
	v_and_b32_e32 v12, 0xffff0000, v12
	v_and_b32_e32 v13, 0xffff0000, v13
	s_delay_alu instid0(VALU_DEP_3) | instskip(NEXT) | instid1(VALU_DEP_3)
	v_dual_mul_f32 v23, v22, v20 :: v_dual_and_b32 v24, 0xffff0000, v14
	v_add_f32_e32 v14, v21, v12
	s_delay_alu instid0(VALU_DEP_2) | instskip(NEXT) | instid1(VALU_DEP_1)
	v_fma_f32 v21, -v19, v23, v22
	v_dual_fmac_f32 v23, v21, v20 :: v_dual_and_b32 v10, 0xffff0000, v10
	s_delay_alu instid0(VALU_DEP_1) | instskip(NEXT) | instid1(VALU_DEP_4)
	v_dual_add_f32 v12, v11, v13 :: v_dual_add_f32 v13, v10, v24
	v_bfe_u32 v11, v14, 16, 1
	v_bfe_u32 v10, v15, 16, 1
	s_delay_alu instid0(VALU_DEP_4) | instskip(NEXT) | instid1(VALU_DEP_4)
	v_fma_f32 v19, -v19, v23, v22
	v_bfe_u32 v21, v12, 16, 1
	v_bfe_u32 v24, v13, 16, 1
	v_add3_u32 v11, v14, v11, 0x7fff
	v_add3_u32 v10, v15, v10, 0x7fff
	v_div_fmas_f32 v19, v19, v20, v23
	v_cmp_o_f32_e32 vcc_lo, v14, v14
	v_add3_u32 v21, v12, v21, 0x7fff
	v_and_b32_e32 v11, 0xffff0000, v11
	v_lshrrev_b32_e32 v10, 16, v10
	v_add3_u32 v22, v13, v24, 0x7fff
	v_div_fixup_f32 v16, v19, v9, v16
	v_and_b32_e32 v20, 0xffff0000, v21
	v_cndmask_b32_e32 v11, 0x7fc00000, v11, vcc_lo
	v_cmp_o_f32_e32 vcc_lo, v15, v15
	v_lshrrev_b32_e32 v21, 16, v22
	v_minmax_f32 v15, v16, s7, 0xc3600000
	v_cndmask_b32_e32 v10, 0x7fc0, v10, vcc_lo
	v_cmp_o_f32_e32 vcc_lo, v12, v12
	s_delay_alu instid0(VALU_DEP_3) | instskip(NEXT) | instid1(VALU_DEP_3)
	v_and_b32_e32 v16, 0x7fffffff, v15
	v_or_b32_e32 v11, v10, v11
	v_cndmask_b32_e32 v19, 0x7fc00000, v20, vcc_lo
	v_cmp_o_f32_e32 vcc_lo, v13, v13
	v_mov_b32_e32 v10, 0x80
	v_cndmask_b32_e32 v20, 0x7fc0, v21, vcc_lo
	s_delay_alu instid0(VALU_DEP_1)
	v_or3_b32 v20, 0, v20, v19
	v_or3_b32 v19, v11, 0, 0
	v_mov_b32_e32 v11, 0x80
	global_store_b64 v[17:18], v[19:20], off
	v_cmpx_gt_u32_e32 0x43800000, v16
	s_cbranch_execz .LBB67_119
; %bb.114:                              ;   in Loop: Header=BB67_63 Depth=1
	v_cmp_lt_u32_e32 vcc_lo, 0x3bffffff, v16
	s_mov_b32 s13, 0
                                        ; implicit-def: $vgpr16
	s_and_saveexec_b32 s15, vcc_lo
	s_delay_alu instid0(SALU_CYCLE_1)
	s_xor_b32 s15, exec_lo, s15
	s_cbranch_execnz .LBB67_176
; %bb.115:                              ;   in Loop: Header=BB67_63 Depth=1
	s_or_saveexec_b32 s15, s15
                                        ; implicit-def: $sgpr16
	s_delay_alu instid0(SALU_CYCLE_1)
	s_xor_b32 exec_lo, exec_lo, s15
	s_cbranch_execnz .LBB67_177
.LBB67_116:                             ;   in Loop: Header=BB67_63 Depth=1
	s_or_b32 exec_lo, exec_lo, s15
	v_mov_b32_e32 v11, s16
	s_and_saveexec_b32 s15, s13
.LBB67_117:                             ;   in Loop: Header=BB67_63 Depth=1
	v_lshrrev_b32_e32 v11, 24, v15
	s_delay_alu instid0(VALU_DEP_1)
	v_and_or_b32 v11, 0x80, v11, v16
.LBB67_118:                             ;   in Loop: Header=BB67_63 Depth=1
	s_or_b32 exec_lo, exec_lo, s15
.LBB67_119:                             ;   in Loop: Header=BB67_63 Depth=1
	s_delay_alu instid0(SALU_CYCLE_1) | instskip(SKIP_3) | instid1(VALU_DEP_2)
	s_or_b32 exec_lo, exec_lo, s12
	v_mul_f32_e32 v14, v28, v14
	v_and_b32_e32 v16, 0xffff0000, v5
	s_mov_b32 s12, exec_lo
	v_bfe_u32 v15, v14, 16, 1
	s_delay_alu instid0(VALU_DEP_1) | instskip(NEXT) | instid1(VALU_DEP_1)
	v_add3_u32 v15, v14, v15, 0x7fff
	v_and_b32_e32 v15, 0xffff0000, v15
	v_cmp_o_f32_e32 vcc_lo, v14, v14
	s_delay_alu instid0(VALU_DEP_2) | instskip(NEXT) | instid1(VALU_DEP_1)
	v_cndmask_b32_e32 v14, 0x7fc00000, v15, vcc_lo
	v_mul_f32_e32 v14, v14, v16
	s_delay_alu instid0(VALU_DEP_1) | instskip(NEXT) | instid1(VALU_DEP_1)
	v_bfe_u32 v15, v14, 16, 1
	v_add3_u32 v15, v14, v15, 0x7fff
	s_delay_alu instid0(VALU_DEP_1) | instskip(SKIP_1) | instid1(VALU_DEP_2)
	v_and_b32_e32 v15, 0xffff0000, v15
	v_cmp_o_f32_e32 vcc_lo, v14, v14
	v_cndmask_b32_e32 v14, 0x7fc00000, v15, vcc_lo
	s_delay_alu instid0(VALU_DEP_1) | instskip(NEXT) | instid1(VALU_DEP_1)
	v_div_scale_f32 v15, null, v9, v9, v14
	v_rcp_f32_e32 v16, v15
	s_waitcnt_depctr 0xfff
	v_fma_f32 v17, -v15, v16, 1.0
	s_delay_alu instid0(VALU_DEP_1) | instskip(SKIP_1) | instid1(VALU_DEP_1)
	v_fmac_f32_e32 v16, v17, v16
	v_div_scale_f32 v17, vcc_lo, v14, v9, v14
	v_mul_f32_e32 v18, v17, v16
	s_delay_alu instid0(VALU_DEP_1) | instskip(NEXT) | instid1(VALU_DEP_1)
	v_fma_f32 v19, -v15, v18, v17
	v_fmac_f32_e32 v18, v19, v16
	s_delay_alu instid0(VALU_DEP_1) | instskip(NEXT) | instid1(VALU_DEP_1)
	v_fma_f32 v15, -v15, v18, v17
	v_div_fmas_f32 v15, v15, v16, v18
	s_delay_alu instid0(VALU_DEP_1) | instskip(NEXT) | instid1(VALU_DEP_1)
	v_div_fixup_f32 v14, v15, v9, v14
	v_minmax_f32 v14, v14, s7, 0xc3600000
	s_delay_alu instid0(VALU_DEP_1) | instskip(NEXT) | instid1(VALU_DEP_1)
	v_and_b32_e32 v15, 0x7fffffff, v14
	v_cmpx_gt_u32_e32 0x43800000, v15
	s_cbranch_execz .LBB67_125
; %bb.120:                              ;   in Loop: Header=BB67_63 Depth=1
	v_cmp_lt_u32_e32 vcc_lo, 0x3bffffff, v15
	s_mov_b32 s13, 0
                                        ; implicit-def: $vgpr15
	s_and_saveexec_b32 s15, vcc_lo
	s_delay_alu instid0(SALU_CYCLE_1)
	s_xor_b32 s15, exec_lo, s15
	s_cbranch_execnz .LBB67_178
; %bb.121:                              ;   in Loop: Header=BB67_63 Depth=1
	s_or_saveexec_b32 s15, s15
                                        ; implicit-def: $sgpr16
	s_delay_alu instid0(SALU_CYCLE_1)
	s_xor_b32 exec_lo, exec_lo, s15
	s_cbranch_execnz .LBB67_179
.LBB67_122:                             ;   in Loop: Header=BB67_63 Depth=1
	s_or_b32 exec_lo, exec_lo, s15
	v_mov_b32_e32 v10, s16
	s_and_saveexec_b32 s15, s13
.LBB67_123:                             ;   in Loop: Header=BB67_63 Depth=1
	v_lshrrev_b32_e32 v10, 24, v14
	s_delay_alu instid0(VALU_DEP_1)
	v_and_or_b32 v10, 0x80, v10, v15
.LBB67_124:                             ;   in Loop: Header=BB67_63 Depth=1
	s_or_b32 exec_lo, exec_lo, s15
.LBB67_125:                             ;   in Loop: Header=BB67_63 Depth=1
	s_delay_alu instid0(SALU_CYCLE_1) | instskip(SKIP_3) | instid1(VALU_DEP_2)
	s_or_b32 exec_lo, exec_lo, s12
	v_mul_f32_e32 v13, v28, v13
	v_alignbit_b32 v5, v6, v5, 16
	s_mov_b32 s12, exec_lo
	v_bfe_u32 v14, v13, 16, 1
	s_delay_alu instid0(VALU_DEP_2) | instskip(NEXT) | instid1(VALU_DEP_2)
	v_and_b32_e32 v5, 0xffff0000, v5
	v_add3_u32 v14, v13, v14, 0x7fff
	s_delay_alu instid0(VALU_DEP_1) | instskip(SKIP_1) | instid1(VALU_DEP_2)
	v_and_b32_e32 v14, 0xffff0000, v14
	v_cmp_o_f32_e32 vcc_lo, v13, v13
	v_cndmask_b32_e32 v13, 0x7fc00000, v14, vcc_lo
	s_delay_alu instid0(VALU_DEP_1) | instskip(NEXT) | instid1(VALU_DEP_1)
	v_mul_f32_e32 v5, v13, v5
	v_bfe_u32 v13, v5, 16, 1
	v_cmp_o_f32_e32 vcc_lo, v5, v5
	s_delay_alu instid0(VALU_DEP_2) | instskip(NEXT) | instid1(VALU_DEP_1)
	v_add3_u32 v13, v5, v13, 0x7fff
	v_and_b32_e32 v13, 0xffff0000, v13
	s_delay_alu instid0(VALU_DEP_1) | instskip(NEXT) | instid1(VALU_DEP_1)
	v_cndmask_b32_e32 v5, 0x7fc00000, v13, vcc_lo
	v_div_scale_f32 v13, null, v9, v9, v5
	v_div_scale_f32 v16, vcc_lo, v5, v9, v5
	s_delay_alu instid0(VALU_DEP_2) | instskip(SKIP_2) | instid1(VALU_DEP_1)
	v_rcp_f32_e32 v14, v13
	s_waitcnt_depctr 0xfff
	v_fma_f32 v15, -v13, v14, 1.0
	v_fmac_f32_e32 v14, v15, v14
	s_delay_alu instid0(VALU_DEP_1) | instskip(NEXT) | instid1(VALU_DEP_1)
	v_mul_f32_e32 v15, v16, v14
	v_fma_f32 v17, -v13, v15, v16
	s_delay_alu instid0(VALU_DEP_1) | instskip(NEXT) | instid1(VALU_DEP_1)
	v_fmac_f32_e32 v15, v17, v14
	v_fma_f32 v13, -v13, v15, v16
	s_delay_alu instid0(VALU_DEP_1) | instskip(NEXT) | instid1(VALU_DEP_1)
	v_div_fmas_f32 v13, v13, v14, v15
	v_div_fixup_f32 v5, v13, v9, v5
	v_mov_b32_e32 v13, 0x80
	s_delay_alu instid0(VALU_DEP_2) | instskip(SKIP_1) | instid1(VALU_DEP_2)
	v_minmax_f32 v14, v5, s7, 0xc3600000
	v_mov_b32_e32 v5, 0x80
	v_and_b32_e32 v15, 0x7fffffff, v14
	s_delay_alu instid0(VALU_DEP_1)
	v_cmpx_gt_u32_e32 0x43800000, v15
	s_cbranch_execz .LBB67_131
; %bb.126:                              ;   in Loop: Header=BB67_63 Depth=1
	v_cmp_lt_u32_e32 vcc_lo, 0x3bffffff, v15
	s_mov_b32 s13, 0
                                        ; implicit-def: $vgpr15
	s_and_saveexec_b32 s15, vcc_lo
	s_delay_alu instid0(SALU_CYCLE_1)
	s_xor_b32 s15, exec_lo, s15
	s_cbranch_execnz .LBB67_180
; %bb.127:                              ;   in Loop: Header=BB67_63 Depth=1
	s_or_saveexec_b32 s15, s15
                                        ; implicit-def: $sgpr16
	s_delay_alu instid0(SALU_CYCLE_1)
	s_xor_b32 exec_lo, exec_lo, s15
	s_cbranch_execnz .LBB67_181
.LBB67_128:                             ;   in Loop: Header=BB67_63 Depth=1
	s_or_b32 exec_lo, exec_lo, s15
	v_mov_b32_e32 v13, s16
	s_and_saveexec_b32 s15, s13
.LBB67_129:                             ;   in Loop: Header=BB67_63 Depth=1
	v_lshrrev_b32_e32 v13, 24, v14
	s_delay_alu instid0(VALU_DEP_1)
	v_and_or_b32 v13, 0x80, v13, v15
.LBB67_130:                             ;   in Loop: Header=BB67_63 Depth=1
	s_or_b32 exec_lo, exec_lo, s15
.LBB67_131:                             ;   in Loop: Header=BB67_63 Depth=1
	s_delay_alu instid0(SALU_CYCLE_1) | instskip(SKIP_3) | instid1(VALU_DEP_2)
	s_or_b32 exec_lo, exec_lo, s12
	v_mul_f32_e32 v12, v28, v12
	v_and_b32_e32 v6, 0xffff0000, v6
	s_mov_b32 s12, exec_lo
	v_bfe_u32 v14, v12, 16, 1
	v_cmp_o_f32_e32 vcc_lo, v12, v12
	s_delay_alu instid0(VALU_DEP_2) | instskip(NEXT) | instid1(VALU_DEP_1)
	v_add3_u32 v14, v12, v14, 0x7fff
	v_and_b32_e32 v14, 0xffff0000, v14
	s_delay_alu instid0(VALU_DEP_1) | instskip(NEXT) | instid1(VALU_DEP_1)
	v_cndmask_b32_e32 v12, 0x7fc00000, v14, vcc_lo
	v_mul_f32_e32 v6, v12, v6
	s_delay_alu instid0(VALU_DEP_1) | instskip(SKIP_1) | instid1(VALU_DEP_2)
	v_bfe_u32 v12, v6, 16, 1
	v_cmp_o_f32_e32 vcc_lo, v6, v6
	v_add3_u32 v12, v6, v12, 0x7fff
	s_delay_alu instid0(VALU_DEP_1) | instskip(NEXT) | instid1(VALU_DEP_1)
	v_and_b32_e32 v12, 0xffff0000, v12
	v_cndmask_b32_e32 v6, 0x7fc00000, v12, vcc_lo
	s_delay_alu instid0(VALU_DEP_1) | instskip(NEXT) | instid1(VALU_DEP_1)
	v_div_scale_f32 v12, null, v9, v9, v6
	v_rcp_f32_e32 v14, v12
	s_waitcnt_depctr 0xfff
	v_fma_f32 v15, -v12, v14, 1.0
	s_delay_alu instid0(VALU_DEP_1) | instskip(SKIP_1) | instid1(VALU_DEP_1)
	v_fmac_f32_e32 v14, v15, v14
	v_div_scale_f32 v15, vcc_lo, v6, v9, v6
	v_mul_f32_e32 v16, v15, v14
	s_delay_alu instid0(VALU_DEP_1) | instskip(NEXT) | instid1(VALU_DEP_1)
	v_fma_f32 v17, -v12, v16, v15
	v_fmac_f32_e32 v16, v17, v14
	s_delay_alu instid0(VALU_DEP_1) | instskip(NEXT) | instid1(VALU_DEP_1)
	v_fma_f32 v12, -v12, v16, v15
	v_div_fmas_f32 v12, v12, v14, v16
	s_delay_alu instid0(VALU_DEP_1) | instskip(NEXT) | instid1(VALU_DEP_1)
	v_div_fixup_f32 v6, v12, v9, v6
	v_minmax_f32 v6, v6, s7, 0xc3600000
	s_delay_alu instid0(VALU_DEP_1) | instskip(NEXT) | instid1(VALU_DEP_1)
	v_and_b32_e32 v9, 0x7fffffff, v6
	v_cmpx_gt_u32_e32 0x43800000, v9
	s_cbranch_execz .LBB67_137
; %bb.132:                              ;   in Loop: Header=BB67_63 Depth=1
	v_cmp_lt_u32_e32 vcc_lo, 0x3bffffff, v9
	s_mov_b32 s13, 0
                                        ; implicit-def: $vgpr9
	s_and_saveexec_b32 s15, vcc_lo
	s_delay_alu instid0(SALU_CYCLE_1)
	s_xor_b32 s15, exec_lo, s15
	s_cbranch_execnz .LBB67_182
; %bb.133:                              ;   in Loop: Header=BB67_63 Depth=1
	s_or_saveexec_b32 s15, s15
                                        ; implicit-def: $sgpr16
	s_delay_alu instid0(SALU_CYCLE_1)
	s_xor_b32 exec_lo, exec_lo, s15
	s_cbranch_execnz .LBB67_183
.LBB67_134:                             ;   in Loop: Header=BB67_63 Depth=1
	s_or_b32 exec_lo, exec_lo, s15
	v_mov_b32_e32 v5, s16
	s_and_saveexec_b32 s15, s13
.LBB67_135:                             ;   in Loop: Header=BB67_63 Depth=1
	v_lshrrev_b32_e32 v5, 24, v6
	s_delay_alu instid0(VALU_DEP_1)
	v_and_or_b32 v5, 0x80, v5, v9
.LBB67_136:                             ;   in Loop: Header=BB67_63 Depth=1
	s_or_b32 exec_lo, exec_lo, s15
.LBB67_137:                             ;   in Loop: Header=BB67_63 Depth=1
	s_delay_alu instid0(SALU_CYCLE_1)
	s_or_b32 exec_lo, exec_lo, s12
	v_lshlrev_b32_e32 v6, 16, v13
	v_lshlrev_b32_e32 v9, 8, v10
	v_lshlrev_b64 v[3:4], 2, v[3:4]
	v_and_b32_e32 v10, 0xff, v11
	v_add_nc_u32_e32 v0, s2, v0
	v_perm_b32 v5, v5, v6, 0x4020c0c
	v_and_b32_e32 v6, 0xff00, v9
	s_mov_b32 s13, -1
	v_add_co_u32 v3, vcc_lo, s0, v3
	v_add_co_ci_u32_e32 v4, vcc_lo, s1, v4, vcc_lo
	s_delay_alu instid0(VALU_DEP_3)
	v_or3_b32 v5, v5, v6, v10
	s_mov_b32 s12, exec_lo
	global_store_b32 v[3:4], v5, off
	v_cmpx_gt_u32_e64 s14, v0
	s_cbranch_execz .LBB67_60
; %bb.138:                              ;   in Loop: Header=BB67_63 Depth=1
	v_lshlrev_b64 v[3:4], 3, v[0:1]
	v_bfe_u32 v17, v0, 5, 25
	s_mov_b32 s13, exec_lo
	s_delay_alu instid0(VALU_DEP_2) | instskip(NEXT) | instid1(VALU_DEP_3)
	v_add_co_u32 v5, vcc_lo, s30, v3
	v_add_co_ci_u32_e32 v6, vcc_lo, s31, v4, vcc_lo
	v_add_co_u32 v15, vcc_lo, s33, v3
	v_add_co_ci_u32_e32 v16, vcc_lo, s34, v4, vcc_lo
	v_add_co_u32 v3, vcc_lo, s10, v3
	global_load_b64 v[9:10], v[5:6], off
	global_load_b64 v[11:12], v[15:16], off
	v_add_co_ci_u32_e32 v4, vcc_lo, s11, v4, vcc_lo
	v_mad_u64_u32 v[5:6], null, v7, v17, 0
	global_load_b64 v[3:4], v[3:4], off
	v_mad_u64_u32 v[13:14], null, v8, v17, v[6:7]
	s_waitcnt vmcnt(2)
	s_delay_alu instid0(VALU_DEP_1) | instskip(SKIP_2) | instid1(VALU_DEP_2)
	v_dual_mov_b32 v6, v13 :: v_dual_and_b32 v19, 0xffff0000, v9
	s_waitcnt vmcnt(1)
	v_lshlrev_b32_e32 v13, 16, v11
	v_lshlrev_b64 v[5:6], 2, v[5:6]
	s_waitcnt vmcnt(0)
	v_lshlrev_b32_e32 v17, 16, v3
	s_delay_alu instid0(VALU_DEP_2) | instskip(NEXT) | instid1(VALU_DEP_3)
	v_add_co_u32 v5, vcc_lo, s4, v5
	v_add_co_ci_u32_e32 v6, vcc_lo, s5, v6, vcc_lo
	global_load_b32 v5, v[5:6], off
	v_lshlrev_b32_e32 v6, 16, v9
	v_alignbit_b32 v9, v10, v9, 16
	v_and_b32_e32 v10, 0xffff0000, v10
	s_delay_alu instid0(VALU_DEP_3) | instskip(NEXT) | instid1(VALU_DEP_3)
	v_add_f32_e32 v6, v6, v13
	v_and_b32_e32 v9, 0xffff0000, v9
	s_delay_alu instid0(VALU_DEP_2) | instskip(NEXT) | instid1(VALU_DEP_1)
	v_mul_f32_e32 v13, v28, v6
	v_bfe_u32 v14, v13, 16, 1
	v_cmp_o_f32_e32 vcc_lo, v13, v13
	s_delay_alu instid0(VALU_DEP_2) | instskip(NEXT) | instid1(VALU_DEP_1)
	v_add3_u32 v14, v13, v14, 0x7fff
	v_and_b32_e32 v14, 0xffff0000, v14
	s_delay_alu instid0(VALU_DEP_1) | instskip(NEXT) | instid1(VALU_DEP_1)
	v_cndmask_b32_e32 v13, 0x7fc00000, v14, vcc_lo
	v_mul_f32_e32 v13, v13, v17
	s_delay_alu instid0(VALU_DEP_1) | instskip(SKIP_1) | instid1(VALU_DEP_2)
	v_bfe_u32 v14, v13, 16, 1
	v_cmp_o_f32_e32 vcc_lo, v13, v13
	v_add3_u32 v14, v13, v14, 0x7fff
	s_delay_alu instid0(VALU_DEP_1) | instskip(NEXT) | instid1(VALU_DEP_1)
	v_and_b32_e32 v14, 0xffff0000, v14
	v_cndmask_b32_e32 v13, 0x7fc00000, v14, vcc_lo
	s_waitcnt vmcnt(0)
	s_delay_alu instid0(VALU_DEP_1) | instskip(SKIP_1) | instid1(VALU_DEP_2)
	v_div_scale_f32 v14, null, v5, v5, v13
	v_div_scale_f32 v20, vcc_lo, v13, v5, v13
	v_rcp_f32_e32 v17, v14
	s_waitcnt_depctr 0xfff
	v_fma_f32 v18, -v14, v17, 1.0
	s_delay_alu instid0(VALU_DEP_1) | instskip(SKIP_1) | instid1(VALU_DEP_2)
	v_fmac_f32_e32 v17, v18, v17
	v_alignbit_b32 v18, v12, v11, 16
	v_dual_mul_f32 v22, v20, v17 :: v_dual_and_b32 v21, 0xffff0000, v12
	v_and_b32_e32 v11, 0xffff0000, v11
	s_delay_alu instid0(VALU_DEP_3) | instskip(NEXT) | instid1(VALU_DEP_3)
	v_and_b32_e32 v18, 0xffff0000, v18
	v_add_f32_e32 v10, v10, v21
	s_delay_alu instid0(VALU_DEP_3) | instskip(SKIP_1) | instid1(VALU_DEP_1)
	v_add_f32_e32 v12, v19, v11
	v_fma_f32 v19, -v14, v22, v20
	v_fmac_f32_e32 v22, v19, v17
	s_delay_alu instid0(VALU_DEP_4) | instskip(NEXT) | instid1(VALU_DEP_2)
	v_bfe_u32 v19, v10, 16, 1
	v_fma_f32 v14, -v14, v22, v20
	s_delay_alu instid0(VALU_DEP_2)
	v_add3_u32 v19, v10, v19, 0x7fff
	v_add_f32_e32 v11, v9, v18
	v_bfe_u32 v18, v12, 16, 1
	v_bfe_u32 v9, v6, 16, 1
	v_div_fmas_f32 v14, v14, v17, v22
	v_cmp_o_f32_e32 vcc_lo, v12, v12
	s_delay_alu instid0(VALU_DEP_4) | instskip(NEXT) | instid1(VALU_DEP_4)
	v_add3_u32 v18, v12, v18, 0x7fff
	v_add3_u32 v9, v6, v9, 0x7fff
	s_delay_alu instid0(VALU_DEP_4) | instskip(NEXT) | instid1(VALU_DEP_3)
	v_div_fixup_f32 v13, v14, v5, v13
	v_and_b32_e32 v17, 0xffff0000, v18
	v_and_b32_e32 v18, 0xffff0000, v19
	v_bfe_u32 v21, v11, 16, 1
	v_lshrrev_b32_e32 v9, 16, v9
	v_minmax_f32 v13, v13, s7, 0xc3600000
	v_cndmask_b32_e32 v14, 0x7fc00000, v17, vcc_lo
	v_cmp_o_f32_e32 vcc_lo, v6, v6
	v_add3_u32 v20, v11, v21, 0x7fff
	v_cndmask_b32_e32 v6, 0x7fc0, v9, vcc_lo
	v_cmp_o_f32_e32 vcc_lo, v10, v10
	s_delay_alu instid0(VALU_DEP_3) | instskip(SKIP_1) | instid1(VALU_DEP_4)
	v_lshrrev_b32_e32 v19, 16, v20
	v_mov_b32_e32 v9, 0x80
	v_or_b32_e32 v6, v6, v14
	v_cndmask_b32_e32 v17, 0x7fc00000, v18, vcc_lo
	v_cmp_o_f32_e32 vcc_lo, v11, v11
	v_and_b32_e32 v14, 0x7fffffff, v13
	v_cndmask_b32_e32 v18, 0x7fc0, v19, vcc_lo
	s_delay_alu instid0(VALU_DEP_1)
	v_or3_b32 v18, 0, v18, v17
	v_or3_b32 v17, v6, 0, 0
	v_mov_b32_e32 v6, 0x80
	global_store_b64 v[15:16], v[17:18], off
	v_cmpx_gt_u32_e32 0x43800000, v14
	s_cbranch_execz .LBB67_144
; %bb.139:                              ;   in Loop: Header=BB67_63 Depth=1
	v_cmp_lt_u32_e32 vcc_lo, 0x3bffffff, v14
	s_mov_b32 s15, 0
                                        ; implicit-def: $vgpr14
	s_and_saveexec_b32 s16, vcc_lo
	s_delay_alu instid0(SALU_CYCLE_1)
	s_xor_b32 s16, exec_lo, s16
	s_cbranch_execnz .LBB67_184
; %bb.140:                              ;   in Loop: Header=BB67_63 Depth=1
	s_or_saveexec_b32 s16, s16
                                        ; implicit-def: $sgpr17
	s_delay_alu instid0(SALU_CYCLE_1)
	s_xor_b32 exec_lo, exec_lo, s16
	s_cbranch_execnz .LBB67_185
.LBB67_141:                             ;   in Loop: Header=BB67_63 Depth=1
	s_or_b32 exec_lo, exec_lo, s16
	v_mov_b32_e32 v6, s17
	s_and_saveexec_b32 s16, s15
.LBB67_142:                             ;   in Loop: Header=BB67_63 Depth=1
	v_lshrrev_b32_e32 v6, 24, v13
	s_delay_alu instid0(VALU_DEP_1)
	v_and_or_b32 v6, 0x80, v6, v14
.LBB67_143:                             ;   in Loop: Header=BB67_63 Depth=1
	s_or_b32 exec_lo, exec_lo, s16
.LBB67_144:                             ;   in Loop: Header=BB67_63 Depth=1
	s_delay_alu instid0(SALU_CYCLE_1) | instskip(SKIP_3) | instid1(VALU_DEP_2)
	s_or_b32 exec_lo, exec_lo, s13
	v_mul_f32_e32 v12, v28, v12
	v_and_b32_e32 v14, 0xffff0000, v3
	s_mov_b32 s13, exec_lo
	v_bfe_u32 v13, v12, 16, 1
	s_delay_alu instid0(VALU_DEP_1) | instskip(NEXT) | instid1(VALU_DEP_1)
	v_add3_u32 v13, v12, v13, 0x7fff
	v_and_b32_e32 v13, 0xffff0000, v13
	v_cmp_o_f32_e32 vcc_lo, v12, v12
	s_delay_alu instid0(VALU_DEP_2) | instskip(NEXT) | instid1(VALU_DEP_1)
	v_cndmask_b32_e32 v12, 0x7fc00000, v13, vcc_lo
	v_mul_f32_e32 v12, v12, v14
	s_delay_alu instid0(VALU_DEP_1) | instskip(NEXT) | instid1(VALU_DEP_1)
	v_bfe_u32 v13, v12, 16, 1
	v_add3_u32 v13, v12, v13, 0x7fff
	s_delay_alu instid0(VALU_DEP_1) | instskip(SKIP_1) | instid1(VALU_DEP_2)
	v_and_b32_e32 v13, 0xffff0000, v13
	v_cmp_o_f32_e32 vcc_lo, v12, v12
	v_cndmask_b32_e32 v12, 0x7fc00000, v13, vcc_lo
	s_delay_alu instid0(VALU_DEP_1) | instskip(NEXT) | instid1(VALU_DEP_1)
	v_div_scale_f32 v13, null, v5, v5, v12
	v_rcp_f32_e32 v14, v13
	s_waitcnt_depctr 0xfff
	v_fma_f32 v15, -v13, v14, 1.0
	s_delay_alu instid0(VALU_DEP_1) | instskip(SKIP_1) | instid1(VALU_DEP_1)
	v_fmac_f32_e32 v14, v15, v14
	v_div_scale_f32 v15, vcc_lo, v12, v5, v12
	v_mul_f32_e32 v16, v15, v14
	s_delay_alu instid0(VALU_DEP_1) | instskip(NEXT) | instid1(VALU_DEP_1)
	v_fma_f32 v17, -v13, v16, v15
	v_fmac_f32_e32 v16, v17, v14
	s_delay_alu instid0(VALU_DEP_1) | instskip(NEXT) | instid1(VALU_DEP_1)
	v_fma_f32 v13, -v13, v16, v15
	v_div_fmas_f32 v13, v13, v14, v16
	s_delay_alu instid0(VALU_DEP_1) | instskip(NEXT) | instid1(VALU_DEP_1)
	v_div_fixup_f32 v12, v13, v5, v12
	v_minmax_f32 v12, v12, s7, 0xc3600000
	s_delay_alu instid0(VALU_DEP_1) | instskip(NEXT) | instid1(VALU_DEP_1)
	v_and_b32_e32 v13, 0x7fffffff, v12
	v_cmpx_gt_u32_e32 0x43800000, v13
	s_cbranch_execz .LBB67_150
; %bb.145:                              ;   in Loop: Header=BB67_63 Depth=1
	v_cmp_lt_u32_e32 vcc_lo, 0x3bffffff, v13
	s_mov_b32 s15, 0
                                        ; implicit-def: $vgpr13
	s_and_saveexec_b32 s16, vcc_lo
	s_delay_alu instid0(SALU_CYCLE_1)
	s_xor_b32 s16, exec_lo, s16
	s_cbranch_execnz .LBB67_186
; %bb.146:                              ;   in Loop: Header=BB67_63 Depth=1
	s_or_saveexec_b32 s16, s16
                                        ; implicit-def: $sgpr17
	s_delay_alu instid0(SALU_CYCLE_1)
	s_xor_b32 exec_lo, exec_lo, s16
	s_cbranch_execnz .LBB67_187
.LBB67_147:                             ;   in Loop: Header=BB67_63 Depth=1
	s_or_b32 exec_lo, exec_lo, s16
	v_mov_b32_e32 v9, s17
	s_and_saveexec_b32 s16, s15
.LBB67_148:                             ;   in Loop: Header=BB67_63 Depth=1
	v_lshrrev_b32_e32 v9, 24, v12
	s_delay_alu instid0(VALU_DEP_1)
	v_and_or_b32 v9, 0x80, v9, v13
.LBB67_149:                             ;   in Loop: Header=BB67_63 Depth=1
	s_or_b32 exec_lo, exec_lo, s16
.LBB67_150:                             ;   in Loop: Header=BB67_63 Depth=1
	s_delay_alu instid0(SALU_CYCLE_1) | instskip(SKIP_3) | instid1(VALU_DEP_2)
	s_or_b32 exec_lo, exec_lo, s13
	v_mul_f32_e32 v11, v28, v11
	v_alignbit_b32 v3, v4, v3, 16
	s_mov_b32 s13, exec_lo
	v_bfe_u32 v12, v11, 16, 1
	s_delay_alu instid0(VALU_DEP_2) | instskip(NEXT) | instid1(VALU_DEP_2)
	v_and_b32_e32 v3, 0xffff0000, v3
	v_add3_u32 v12, v11, v12, 0x7fff
	s_delay_alu instid0(VALU_DEP_1) | instskip(SKIP_1) | instid1(VALU_DEP_2)
	v_and_b32_e32 v12, 0xffff0000, v12
	v_cmp_o_f32_e32 vcc_lo, v11, v11
	v_cndmask_b32_e32 v11, 0x7fc00000, v12, vcc_lo
	s_delay_alu instid0(VALU_DEP_1) | instskip(NEXT) | instid1(VALU_DEP_1)
	v_mul_f32_e32 v3, v11, v3
	v_bfe_u32 v11, v3, 16, 1
	v_cmp_o_f32_e32 vcc_lo, v3, v3
	s_delay_alu instid0(VALU_DEP_2) | instskip(NEXT) | instid1(VALU_DEP_1)
	v_add3_u32 v11, v3, v11, 0x7fff
	v_and_b32_e32 v11, 0xffff0000, v11
	s_delay_alu instid0(VALU_DEP_1) | instskip(NEXT) | instid1(VALU_DEP_1)
	v_cndmask_b32_e32 v3, 0x7fc00000, v11, vcc_lo
	v_div_scale_f32 v11, null, v5, v5, v3
	v_div_scale_f32 v14, vcc_lo, v3, v5, v3
	s_delay_alu instid0(VALU_DEP_2) | instskip(SKIP_2) | instid1(VALU_DEP_1)
	v_rcp_f32_e32 v12, v11
	s_waitcnt_depctr 0xfff
	v_fma_f32 v13, -v11, v12, 1.0
	v_fmac_f32_e32 v12, v13, v12
	s_delay_alu instid0(VALU_DEP_1) | instskip(NEXT) | instid1(VALU_DEP_1)
	v_mul_f32_e32 v13, v14, v12
	v_fma_f32 v15, -v11, v13, v14
	s_delay_alu instid0(VALU_DEP_1) | instskip(NEXT) | instid1(VALU_DEP_1)
	v_fmac_f32_e32 v13, v15, v12
	v_fma_f32 v11, -v11, v13, v14
	s_delay_alu instid0(VALU_DEP_1) | instskip(NEXT) | instid1(VALU_DEP_1)
	v_div_fmas_f32 v11, v11, v12, v13
	v_div_fixup_f32 v3, v11, v5, v3
	v_mov_b32_e32 v11, 0x80
	s_delay_alu instid0(VALU_DEP_2) | instskip(SKIP_1) | instid1(VALU_DEP_2)
	v_minmax_f32 v12, v3, s7, 0xc3600000
	v_mov_b32_e32 v3, 0x80
	v_and_b32_e32 v13, 0x7fffffff, v12
	s_delay_alu instid0(VALU_DEP_1)
	v_cmpx_gt_u32_e32 0x43800000, v13
	s_cbranch_execz .LBB67_156
; %bb.151:                              ;   in Loop: Header=BB67_63 Depth=1
	v_cmp_lt_u32_e32 vcc_lo, 0x3bffffff, v13
	s_mov_b32 s15, 0
                                        ; implicit-def: $vgpr13
	s_and_saveexec_b32 s16, vcc_lo
	s_delay_alu instid0(SALU_CYCLE_1)
	s_xor_b32 s16, exec_lo, s16
	s_cbranch_execnz .LBB67_188
; %bb.152:                              ;   in Loop: Header=BB67_63 Depth=1
	s_or_saveexec_b32 s16, s16
                                        ; implicit-def: $sgpr17
	s_delay_alu instid0(SALU_CYCLE_1)
	s_xor_b32 exec_lo, exec_lo, s16
	s_cbranch_execnz .LBB67_189
.LBB67_153:                             ;   in Loop: Header=BB67_63 Depth=1
	s_or_b32 exec_lo, exec_lo, s16
	v_mov_b32_e32 v11, s17
	s_and_saveexec_b32 s16, s15
.LBB67_154:                             ;   in Loop: Header=BB67_63 Depth=1
	v_lshrrev_b32_e32 v11, 24, v12
	s_delay_alu instid0(VALU_DEP_1)
	v_and_or_b32 v11, 0x80, v11, v13
.LBB67_155:                             ;   in Loop: Header=BB67_63 Depth=1
	s_or_b32 exec_lo, exec_lo, s16
.LBB67_156:                             ;   in Loop: Header=BB67_63 Depth=1
	s_delay_alu instid0(SALU_CYCLE_1) | instskip(SKIP_3) | instid1(VALU_DEP_2)
	s_or_b32 exec_lo, exec_lo, s13
	v_mul_f32_e32 v10, v28, v10
	v_and_b32_e32 v4, 0xffff0000, v4
	s_mov_b32 s13, exec_lo
	v_bfe_u32 v12, v10, 16, 1
	v_cmp_o_f32_e32 vcc_lo, v10, v10
	s_delay_alu instid0(VALU_DEP_2) | instskip(NEXT) | instid1(VALU_DEP_1)
	v_add3_u32 v12, v10, v12, 0x7fff
	v_and_b32_e32 v12, 0xffff0000, v12
	s_delay_alu instid0(VALU_DEP_1) | instskip(NEXT) | instid1(VALU_DEP_1)
	v_cndmask_b32_e32 v10, 0x7fc00000, v12, vcc_lo
	v_mul_f32_e32 v4, v10, v4
	s_delay_alu instid0(VALU_DEP_1) | instskip(SKIP_1) | instid1(VALU_DEP_2)
	v_bfe_u32 v10, v4, 16, 1
	v_cmp_o_f32_e32 vcc_lo, v4, v4
	v_add3_u32 v10, v4, v10, 0x7fff
	s_delay_alu instid0(VALU_DEP_1) | instskip(NEXT) | instid1(VALU_DEP_1)
	v_and_b32_e32 v10, 0xffff0000, v10
	v_cndmask_b32_e32 v4, 0x7fc00000, v10, vcc_lo
	s_delay_alu instid0(VALU_DEP_1) | instskip(NEXT) | instid1(VALU_DEP_1)
	v_div_scale_f32 v10, null, v5, v5, v4
	v_rcp_f32_e32 v12, v10
	s_waitcnt_depctr 0xfff
	v_fma_f32 v13, -v10, v12, 1.0
	s_delay_alu instid0(VALU_DEP_1) | instskip(SKIP_1) | instid1(VALU_DEP_1)
	v_fmac_f32_e32 v12, v13, v12
	v_div_scale_f32 v13, vcc_lo, v4, v5, v4
	v_mul_f32_e32 v14, v13, v12
	s_delay_alu instid0(VALU_DEP_1) | instskip(NEXT) | instid1(VALU_DEP_1)
	v_fma_f32 v15, -v10, v14, v13
	v_fmac_f32_e32 v14, v15, v12
	s_delay_alu instid0(VALU_DEP_1) | instskip(NEXT) | instid1(VALU_DEP_1)
	v_fma_f32 v10, -v10, v14, v13
	v_div_fmas_f32 v10, v10, v12, v14
	s_delay_alu instid0(VALU_DEP_1) | instskip(NEXT) | instid1(VALU_DEP_1)
	v_div_fixup_f32 v4, v10, v5, v4
	v_minmax_f32 v4, v4, s7, 0xc3600000
	s_delay_alu instid0(VALU_DEP_1) | instskip(NEXT) | instid1(VALU_DEP_1)
	v_and_b32_e32 v5, 0x7fffffff, v4
	v_cmpx_gt_u32_e32 0x43800000, v5
	s_cbranch_execz .LBB67_59
; %bb.157:                              ;   in Loop: Header=BB67_63 Depth=1
	v_cmp_lt_u32_e32 vcc_lo, 0x3bffffff, v5
	s_mov_b32 s15, 0
                                        ; implicit-def: $vgpr5
	s_and_saveexec_b32 s16, vcc_lo
	s_delay_alu instid0(SALU_CYCLE_1)
	s_xor_b32 s16, exec_lo, s16
	s_cbranch_execnz .LBB67_190
; %bb.158:                              ;   in Loop: Header=BB67_63 Depth=1
	s_or_saveexec_b32 s16, s16
                                        ; implicit-def: $sgpr17
	s_delay_alu instid0(SALU_CYCLE_1)
	s_xor_b32 exec_lo, exec_lo, s16
	s_cbranch_execnz .LBB67_191
.LBB67_159:                             ;   in Loop: Header=BB67_63 Depth=1
	s_or_b32 exec_lo, exec_lo, s16
	v_mov_b32_e32 v3, s17
	s_and_saveexec_b32 s16, s15
	s_cbranch_execz .LBB67_58
	s_branch .LBB67_192
.LBB67_160:                             ;   in Loop: Header=BB67_63 Depth=1
	v_bfe_u32 v6, v12, 20, 1
	s_mov_b32 s9, exec_lo
	s_delay_alu instid0(VALU_DEP_1) | instskip(NEXT) | instid1(VALU_DEP_1)
	v_add3_u32 v6, v12, v6, 0x487ffff
	v_lshrrev_b32_e32 v13, 20, v6
	s_or_saveexec_b32 s12, s12
                                        ; implicit-def: $sgpr13
	s_delay_alu instid0(SALU_CYCLE_1)
	s_xor_b32 exec_lo, exec_lo, s12
	s_cbranch_execz .LBB67_66
.LBB67_161:                             ;   in Loop: Header=BB67_63 Depth=1
	v_add_f32_e64 v6, 0x46000000, |v12|
	s_and_not1_b32 s9, s9, exec_lo
	s_mov_b32 s13, 0
	s_delay_alu instid0(VALU_DEP_1) | instskip(NEXT) | instid1(VALU_DEP_1)
	v_and_b32_e32 v13, 0xff, v6
	v_cmp_ne_u32_e32 vcc_lo, 0, v13
	s_and_b32 s15, vcc_lo, exec_lo
	s_delay_alu instid0(SALU_CYCLE_1)
	s_or_b32 s9, s9, s15
	s_or_b32 exec_lo, exec_lo, s12
	v_mov_b32_e32 v6, s13
	s_and_saveexec_b32 s12, s9
	s_cbranch_execnz .LBB67_67
	s_branch .LBB67_68
.LBB67_162:                             ;   in Loop: Header=BB67_63 Depth=1
	v_bfe_u32 v5, v11, 20, 1
	s_mov_b32 s9, exec_lo
	s_delay_alu instid0(VALU_DEP_1) | instskip(NEXT) | instid1(VALU_DEP_1)
	v_add3_u32 v5, v11, v5, 0x487ffff
	v_lshrrev_b32_e32 v12, 20, v5
	s_or_saveexec_b32 s12, s12
                                        ; implicit-def: $sgpr13
	s_delay_alu instid0(SALU_CYCLE_1)
	s_xor_b32 exec_lo, exec_lo, s12
	s_cbranch_execz .LBB67_72
.LBB67_163:                             ;   in Loop: Header=BB67_63 Depth=1
	v_add_f32_e64 v5, 0x46000000, |v11|
	s_and_not1_b32 s9, s9, exec_lo
	s_mov_b32 s13, 0
	s_delay_alu instid0(VALU_DEP_1) | instskip(NEXT) | instid1(VALU_DEP_1)
	v_and_b32_e32 v12, 0xff, v5
	v_cmp_ne_u32_e32 vcc_lo, 0, v12
	s_and_b32 s15, vcc_lo, exec_lo
	s_delay_alu instid0(SALU_CYCLE_1)
	s_or_b32 s9, s9, s15
	s_or_b32 exec_lo, exec_lo, s12
	v_mov_b32_e32 v5, s13
	s_and_saveexec_b32 s12, s9
	s_cbranch_execnz .LBB67_73
	s_branch .LBB67_74
.LBB67_164:                             ;   in Loop: Header=BB67_63 Depth=1
	v_bfe_u32 v10, v11, 20, 1
	s_mov_b32 s9, exec_lo
	s_delay_alu instid0(VALU_DEP_1) | instskip(NEXT) | instid1(VALU_DEP_1)
	v_add3_u32 v10, v11, v10, 0x487ffff
	v_lshrrev_b32_e32 v12, 20, v10
	s_or_saveexec_b32 s12, s12
                                        ; implicit-def: $sgpr13
	s_delay_alu instid0(SALU_CYCLE_1)
	s_xor_b32 exec_lo, exec_lo, s12
	s_cbranch_execz .LBB67_78
.LBB67_165:                             ;   in Loop: Header=BB67_63 Depth=1
	v_add_f32_e64 v10, 0x46000000, |v11|
	s_and_not1_b32 s9, s9, exec_lo
	s_mov_b32 s13, 0
	s_delay_alu instid0(VALU_DEP_1) | instskip(NEXT) | instid1(VALU_DEP_1)
	v_and_b32_e32 v12, 0xff, v10
	v_cmp_ne_u32_e32 vcc_lo, 0, v12
	s_and_b32 s15, vcc_lo, exec_lo
	s_delay_alu instid0(SALU_CYCLE_1)
	s_or_b32 s9, s9, s15
	s_or_b32 exec_lo, exec_lo, s12
	v_mov_b32_e32 v10, s13
	s_and_saveexec_b32 s12, s9
	s_cbranch_execnz .LBB67_79
	s_branch .LBB67_80
.LBB67_166:                             ;   in Loop: Header=BB67_63 Depth=1
	v_bfe_u32 v2, v3, 20, 1
	s_mov_b32 s9, exec_lo
	s_delay_alu instid0(VALU_DEP_1) | instskip(NEXT) | instid1(VALU_DEP_1)
	v_add3_u32 v2, v3, v2, 0x487ffff
	v_lshrrev_b32_e32 v4, 20, v2
	s_or_saveexec_b32 s12, s12
                                        ; implicit-def: $sgpr13
	s_delay_alu instid0(SALU_CYCLE_1)
	s_xor_b32 exec_lo, exec_lo, s12
	s_cbranch_execz .LBB67_84
.LBB67_167:                             ;   in Loop: Header=BB67_63 Depth=1
	v_add_f32_e64 v2, 0x46000000, |v3|
	s_and_not1_b32 s9, s9, exec_lo
	s_mov_b32 s13, 0
	s_delay_alu instid0(VALU_DEP_1) | instskip(NEXT) | instid1(VALU_DEP_1)
	v_and_b32_e32 v4, 0xff, v2
	v_cmp_ne_u32_e32 vcc_lo, 0, v4
	s_and_b32 s15, vcc_lo, exec_lo
	s_delay_alu instid0(SALU_CYCLE_1)
	s_or_b32 s9, s9, s15
	s_or_b32 exec_lo, exec_lo, s12
	v_mov_b32_e32 v2, s13
	s_and_saveexec_b32 s12, s9
	s_cbranch_execnz .LBB67_85
	s_branch .LBB67_86
.LBB67_168:                             ;   in Loop: Header=BB67_63 Depth=1
	v_bfe_u32 v10, v14, 20, 1
	s_mov_b32 s12, exec_lo
	s_delay_alu instid0(VALU_DEP_1) | instskip(NEXT) | instid1(VALU_DEP_1)
	v_add3_u32 v10, v14, v10, 0x487ffff
	v_lshrrev_b32_e32 v15, 20, v10
	s_or_saveexec_b32 s13, s13
                                        ; implicit-def: $sgpr15
	s_delay_alu instid0(SALU_CYCLE_1)
	s_xor_b32 exec_lo, exec_lo, s13
	s_cbranch_execz .LBB67_91
.LBB67_169:                             ;   in Loop: Header=BB67_63 Depth=1
	v_add_f32_e64 v10, 0x46000000, |v14|
	s_and_not1_b32 s12, s12, exec_lo
	s_mov_b32 s15, 0
	s_delay_alu instid0(VALU_DEP_1) | instskip(NEXT) | instid1(VALU_DEP_1)
	v_and_b32_e32 v15, 0xff, v10
	v_cmp_ne_u32_e32 vcc_lo, 0, v15
	s_and_b32 s16, vcc_lo, exec_lo
	s_delay_alu instid0(SALU_CYCLE_1)
	s_or_b32 s12, s12, s16
	s_or_b32 exec_lo, exec_lo, s13
	v_mov_b32_e32 v10, s15
	s_and_saveexec_b32 s13, s12
	s_cbranch_execnz .LBB67_92
	s_branch .LBB67_93
.LBB67_170:                             ;   in Loop: Header=BB67_63 Depth=1
	v_bfe_u32 v9, v13, 20, 1
	s_mov_b32 s12, exec_lo
	s_delay_alu instid0(VALU_DEP_1) | instskip(NEXT) | instid1(VALU_DEP_1)
	v_add3_u32 v9, v13, v9, 0x487ffff
	v_lshrrev_b32_e32 v14, 20, v9
	s_or_saveexec_b32 s13, s13
                                        ; implicit-def: $sgpr15
	s_delay_alu instid0(SALU_CYCLE_1)
	s_xor_b32 exec_lo, exec_lo, s13
	s_cbranch_execz .LBB67_97
.LBB67_171:                             ;   in Loop: Header=BB67_63 Depth=1
	v_add_f32_e64 v9, 0x46000000, |v13|
	s_and_not1_b32 s12, s12, exec_lo
	s_mov_b32 s15, 0
	s_delay_alu instid0(VALU_DEP_1) | instskip(NEXT) | instid1(VALU_DEP_1)
	v_and_b32_e32 v14, 0xff, v9
	v_cmp_ne_u32_e32 vcc_lo, 0, v14
	s_and_b32 s16, vcc_lo, exec_lo
	s_delay_alu instid0(SALU_CYCLE_1)
	s_or_b32 s12, s12, s16
	s_or_b32 exec_lo, exec_lo, s13
	v_mov_b32_e32 v9, s15
	s_and_saveexec_b32 s13, s12
	s_cbranch_execnz .LBB67_98
	s_branch .LBB67_99
.LBB67_172:                             ;   in Loop: Header=BB67_63 Depth=1
	v_bfe_u32 v12, v13, 20, 1
	s_mov_b32 s12, exec_lo
	s_delay_alu instid0(VALU_DEP_1) | instskip(NEXT) | instid1(VALU_DEP_1)
	v_add3_u32 v12, v13, v12, 0x487ffff
	v_lshrrev_b32_e32 v14, 20, v12
	s_or_saveexec_b32 s13, s13
                                        ; implicit-def: $sgpr15
	s_delay_alu instid0(SALU_CYCLE_1)
	s_xor_b32 exec_lo, exec_lo, s13
	s_cbranch_execz .LBB67_103
.LBB67_173:                             ;   in Loop: Header=BB67_63 Depth=1
	v_add_f32_e64 v12, 0x46000000, |v13|
	s_and_not1_b32 s12, s12, exec_lo
	s_mov_b32 s15, 0
	s_delay_alu instid0(VALU_DEP_1) | instskip(NEXT) | instid1(VALU_DEP_1)
	v_and_b32_e32 v14, 0xff, v12
	v_cmp_ne_u32_e32 vcc_lo, 0, v14
	s_and_b32 s16, vcc_lo, exec_lo
	s_delay_alu instid0(SALU_CYCLE_1)
	s_or_b32 s12, s12, s16
	s_or_b32 exec_lo, exec_lo, s13
	v_mov_b32_e32 v12, s15
	s_and_saveexec_b32 s13, s12
	s_cbranch_execnz .LBB67_104
	s_branch .LBB67_105
.LBB67_174:                             ;   in Loop: Header=BB67_63 Depth=1
	v_bfe_u32 v4, v5, 20, 1
	s_mov_b32 s12, exec_lo
	s_delay_alu instid0(VALU_DEP_1) | instskip(NEXT) | instid1(VALU_DEP_1)
	v_add3_u32 v4, v5, v4, 0x487ffff
	v_lshrrev_b32_e32 v6, 20, v4
	s_or_saveexec_b32 s13, s13
                                        ; implicit-def: $sgpr15
	s_delay_alu instid0(SALU_CYCLE_1)
	s_xor_b32 exec_lo, exec_lo, s13
	s_cbranch_execz .LBB67_109
.LBB67_175:                             ;   in Loop: Header=BB67_63 Depth=1
	v_add_f32_e64 v4, 0x46000000, |v5|
	s_and_not1_b32 s12, s12, exec_lo
	s_mov_b32 s15, 0
	s_delay_alu instid0(VALU_DEP_1) | instskip(NEXT) | instid1(VALU_DEP_1)
	v_and_b32_e32 v6, 0xff, v4
	v_cmp_ne_u32_e32 vcc_lo, 0, v6
	s_and_b32 s16, vcc_lo, exec_lo
	s_delay_alu instid0(SALU_CYCLE_1)
	s_or_b32 s12, s12, s16
	s_or_b32 exec_lo, exec_lo, s13
	v_mov_b32_e32 v4, s15
	s_and_saveexec_b32 s13, s12
	s_cbranch_execnz .LBB67_110
	s_branch .LBB67_111
.LBB67_176:                             ;   in Loop: Header=BB67_63 Depth=1
	v_bfe_u32 v11, v15, 20, 1
	s_mov_b32 s13, exec_lo
	s_delay_alu instid0(VALU_DEP_1) | instskip(NEXT) | instid1(VALU_DEP_1)
	v_add3_u32 v11, v15, v11, 0x487ffff
	v_lshrrev_b32_e32 v16, 20, v11
	s_or_saveexec_b32 s15, s15
                                        ; implicit-def: $sgpr16
	s_delay_alu instid0(SALU_CYCLE_1)
	s_xor_b32 exec_lo, exec_lo, s15
	s_cbranch_execz .LBB67_116
.LBB67_177:                             ;   in Loop: Header=BB67_63 Depth=1
	v_add_f32_e64 v11, 0x46000000, |v15|
	s_and_not1_b32 s13, s13, exec_lo
	s_mov_b32 s16, 0
	s_delay_alu instid0(VALU_DEP_1) | instskip(NEXT) | instid1(VALU_DEP_1)
	v_and_b32_e32 v16, 0xff, v11
	v_cmp_ne_u32_e32 vcc_lo, 0, v16
	s_and_b32 s17, vcc_lo, exec_lo
	s_delay_alu instid0(SALU_CYCLE_1)
	s_or_b32 s13, s13, s17
	s_or_b32 exec_lo, exec_lo, s15
	v_mov_b32_e32 v11, s16
	s_and_saveexec_b32 s15, s13
	s_cbranch_execnz .LBB67_117
	s_branch .LBB67_118
.LBB67_178:                             ;   in Loop: Header=BB67_63 Depth=1
	v_bfe_u32 v10, v14, 20, 1
	s_mov_b32 s13, exec_lo
	s_delay_alu instid0(VALU_DEP_1) | instskip(NEXT) | instid1(VALU_DEP_1)
	v_add3_u32 v10, v14, v10, 0x487ffff
	v_lshrrev_b32_e32 v15, 20, v10
	s_or_saveexec_b32 s15, s15
                                        ; implicit-def: $sgpr16
	s_delay_alu instid0(SALU_CYCLE_1)
	s_xor_b32 exec_lo, exec_lo, s15
	s_cbranch_execz .LBB67_122
.LBB67_179:                             ;   in Loop: Header=BB67_63 Depth=1
	v_add_f32_e64 v10, 0x46000000, |v14|
	s_and_not1_b32 s13, s13, exec_lo
	s_mov_b32 s16, 0
	s_delay_alu instid0(VALU_DEP_1) | instskip(NEXT) | instid1(VALU_DEP_1)
	v_and_b32_e32 v15, 0xff, v10
	v_cmp_ne_u32_e32 vcc_lo, 0, v15
	s_and_b32 s17, vcc_lo, exec_lo
	s_delay_alu instid0(SALU_CYCLE_1)
	s_or_b32 s13, s13, s17
	s_or_b32 exec_lo, exec_lo, s15
	v_mov_b32_e32 v10, s16
	s_and_saveexec_b32 s15, s13
	s_cbranch_execnz .LBB67_123
	s_branch .LBB67_124
.LBB67_180:                             ;   in Loop: Header=BB67_63 Depth=1
	v_bfe_u32 v13, v14, 20, 1
	s_mov_b32 s13, exec_lo
	s_delay_alu instid0(VALU_DEP_1) | instskip(NEXT) | instid1(VALU_DEP_1)
	v_add3_u32 v13, v14, v13, 0x487ffff
	v_lshrrev_b32_e32 v15, 20, v13
	s_or_saveexec_b32 s15, s15
                                        ; implicit-def: $sgpr16
	s_delay_alu instid0(SALU_CYCLE_1)
	s_xor_b32 exec_lo, exec_lo, s15
	s_cbranch_execz .LBB67_128
.LBB67_181:                             ;   in Loop: Header=BB67_63 Depth=1
	v_add_f32_e64 v13, 0x46000000, |v14|
	s_and_not1_b32 s13, s13, exec_lo
	s_mov_b32 s16, 0
	s_delay_alu instid0(VALU_DEP_1) | instskip(NEXT) | instid1(VALU_DEP_1)
	v_and_b32_e32 v15, 0xff, v13
	v_cmp_ne_u32_e32 vcc_lo, 0, v15
	s_and_b32 s17, vcc_lo, exec_lo
	s_delay_alu instid0(SALU_CYCLE_1)
	s_or_b32 s13, s13, s17
	s_or_b32 exec_lo, exec_lo, s15
	v_mov_b32_e32 v13, s16
	s_and_saveexec_b32 s15, s13
	s_cbranch_execnz .LBB67_129
	s_branch .LBB67_130
.LBB67_182:                             ;   in Loop: Header=BB67_63 Depth=1
	v_bfe_u32 v5, v6, 20, 1
	s_mov_b32 s13, exec_lo
	s_delay_alu instid0(VALU_DEP_1) | instskip(NEXT) | instid1(VALU_DEP_1)
	v_add3_u32 v5, v6, v5, 0x487ffff
	v_lshrrev_b32_e32 v9, 20, v5
	s_or_saveexec_b32 s15, s15
                                        ; implicit-def: $sgpr16
	s_delay_alu instid0(SALU_CYCLE_1)
	s_xor_b32 exec_lo, exec_lo, s15
	s_cbranch_execz .LBB67_134
.LBB67_183:                             ;   in Loop: Header=BB67_63 Depth=1
	v_add_f32_e64 v5, 0x46000000, |v6|
	s_and_not1_b32 s13, s13, exec_lo
	s_mov_b32 s16, 0
	s_delay_alu instid0(VALU_DEP_1) | instskip(NEXT) | instid1(VALU_DEP_1)
	v_and_b32_e32 v9, 0xff, v5
	v_cmp_ne_u32_e32 vcc_lo, 0, v9
	s_and_b32 s17, vcc_lo, exec_lo
	s_delay_alu instid0(SALU_CYCLE_1)
	s_or_b32 s13, s13, s17
	s_or_b32 exec_lo, exec_lo, s15
	v_mov_b32_e32 v5, s16
	s_and_saveexec_b32 s15, s13
	s_cbranch_execnz .LBB67_135
	s_branch .LBB67_136
.LBB67_184:                             ;   in Loop: Header=BB67_63 Depth=1
	v_bfe_u32 v6, v13, 20, 1
	s_mov_b32 s15, exec_lo
	s_delay_alu instid0(VALU_DEP_1) | instskip(NEXT) | instid1(VALU_DEP_1)
	v_add3_u32 v6, v13, v6, 0x487ffff
	v_lshrrev_b32_e32 v14, 20, v6
	s_or_saveexec_b32 s16, s16
                                        ; implicit-def: $sgpr17
	s_delay_alu instid0(SALU_CYCLE_1)
	s_xor_b32 exec_lo, exec_lo, s16
	s_cbranch_execz .LBB67_141
.LBB67_185:                             ;   in Loop: Header=BB67_63 Depth=1
	v_add_f32_e64 v6, 0x46000000, |v13|
	s_and_not1_b32 s15, s15, exec_lo
	s_mov_b32 s17, 0
	s_delay_alu instid0(VALU_DEP_1) | instskip(NEXT) | instid1(VALU_DEP_1)
	v_and_b32_e32 v14, 0xff, v6
	v_cmp_ne_u32_e32 vcc_lo, 0, v14
	s_and_b32 s18, vcc_lo, exec_lo
	s_delay_alu instid0(SALU_CYCLE_1)
	s_or_b32 s15, s15, s18
	s_or_b32 exec_lo, exec_lo, s16
	v_mov_b32_e32 v6, s17
	s_and_saveexec_b32 s16, s15
	s_cbranch_execnz .LBB67_142
	s_branch .LBB67_143
.LBB67_186:                             ;   in Loop: Header=BB67_63 Depth=1
	v_bfe_u32 v9, v12, 20, 1
	s_mov_b32 s15, exec_lo
	s_delay_alu instid0(VALU_DEP_1) | instskip(NEXT) | instid1(VALU_DEP_1)
	v_add3_u32 v9, v12, v9, 0x487ffff
	v_lshrrev_b32_e32 v13, 20, v9
	s_or_saveexec_b32 s16, s16
                                        ; implicit-def: $sgpr17
	s_delay_alu instid0(SALU_CYCLE_1)
	s_xor_b32 exec_lo, exec_lo, s16
	s_cbranch_execz .LBB67_147
.LBB67_187:                             ;   in Loop: Header=BB67_63 Depth=1
	v_add_f32_e64 v9, 0x46000000, |v12|
	s_and_not1_b32 s15, s15, exec_lo
	s_mov_b32 s17, 0
	s_delay_alu instid0(VALU_DEP_1) | instskip(NEXT) | instid1(VALU_DEP_1)
	v_and_b32_e32 v13, 0xff, v9
	v_cmp_ne_u32_e32 vcc_lo, 0, v13
	s_and_b32 s18, vcc_lo, exec_lo
	s_delay_alu instid0(SALU_CYCLE_1)
	s_or_b32 s15, s15, s18
	s_or_b32 exec_lo, exec_lo, s16
	v_mov_b32_e32 v9, s17
	s_and_saveexec_b32 s16, s15
	s_cbranch_execnz .LBB67_148
	s_branch .LBB67_149
.LBB67_188:                             ;   in Loop: Header=BB67_63 Depth=1
	v_bfe_u32 v11, v12, 20, 1
	s_mov_b32 s15, exec_lo
	s_delay_alu instid0(VALU_DEP_1) | instskip(NEXT) | instid1(VALU_DEP_1)
	v_add3_u32 v11, v12, v11, 0x487ffff
	v_lshrrev_b32_e32 v13, 20, v11
	s_or_saveexec_b32 s16, s16
                                        ; implicit-def: $sgpr17
	s_delay_alu instid0(SALU_CYCLE_1)
	s_xor_b32 exec_lo, exec_lo, s16
	s_cbranch_execz .LBB67_153
.LBB67_189:                             ;   in Loop: Header=BB67_63 Depth=1
	v_add_f32_e64 v11, 0x46000000, |v12|
	s_and_not1_b32 s15, s15, exec_lo
	s_mov_b32 s17, 0
	s_delay_alu instid0(VALU_DEP_1) | instskip(NEXT) | instid1(VALU_DEP_1)
	v_and_b32_e32 v13, 0xff, v11
	v_cmp_ne_u32_e32 vcc_lo, 0, v13
	s_and_b32 s18, vcc_lo, exec_lo
	s_delay_alu instid0(SALU_CYCLE_1)
	s_or_b32 s15, s15, s18
	s_or_b32 exec_lo, exec_lo, s16
	v_mov_b32_e32 v11, s17
	s_and_saveexec_b32 s16, s15
	s_cbranch_execnz .LBB67_154
	s_branch .LBB67_155
.LBB67_190:                             ;   in Loop: Header=BB67_63 Depth=1
	v_bfe_u32 v3, v4, 20, 1
	s_mov_b32 s15, exec_lo
	s_delay_alu instid0(VALU_DEP_1) | instskip(NEXT) | instid1(VALU_DEP_1)
	v_add3_u32 v3, v4, v3, 0x487ffff
	v_lshrrev_b32_e32 v5, 20, v3
	s_or_saveexec_b32 s16, s16
                                        ; implicit-def: $sgpr17
	s_delay_alu instid0(SALU_CYCLE_1)
	s_xor_b32 exec_lo, exec_lo, s16
	s_cbranch_execz .LBB67_159
.LBB67_191:                             ;   in Loop: Header=BB67_63 Depth=1
	v_add_f32_e64 v3, 0x46000000, |v4|
	s_and_not1_b32 s15, s15, exec_lo
	s_mov_b32 s17, 0
	s_delay_alu instid0(VALU_DEP_1) | instskip(NEXT) | instid1(VALU_DEP_1)
	v_and_b32_e32 v5, 0xff, v3
	v_cmp_ne_u32_e32 vcc_lo, 0, v5
	s_and_b32 s18, vcc_lo, exec_lo
	s_delay_alu instid0(SALU_CYCLE_1)
	s_or_b32 s15, s15, s18
	s_or_b32 exec_lo, exec_lo, s16
	v_mov_b32_e32 v3, s17
	s_and_saveexec_b32 s16, s15
	s_cbranch_execz .LBB67_58
.LBB67_192:                             ;   in Loop: Header=BB67_63 Depth=1
	v_lshrrev_b32_e32 v3, 24, v4
	s_delay_alu instid0(VALU_DEP_1)
	v_and_or_b32 v3, 0x80, v3, v5
	s_branch .LBB67_58
.LBB67_193:
	s_nop 0
	s_sendmsg sendmsg(MSG_DEALLOC_VGPRS)
	s_endpgm
.LBB67_194:
                                        ; implicit-def: $vgpr3_vgpr4
	s_branch .LBB67_51
.LBB67_195:
                                        ; implicit-def: $vgpr1_vgpr2
	s_branch .LBB67_56
	.section	.rodata,"a",@progbits
	.p2align	6, 0x0
	.amdhsa_kernel _ZN4vllm31rms_norm_per_block_quant_kernelIN3c108BFloat16ENS1_15Float8_e4m3fnuzELb1ELb1ELi128EEEvPT0_PfPKT_S9_PKffiiPS7_l
		.amdhsa_group_segment_fixed_size 4228
		.amdhsa_private_segment_fixed_size 0
		.amdhsa_kernarg_size 328
		.amdhsa_user_sgpr_count 15
		.amdhsa_user_sgpr_dispatch_ptr 0
		.amdhsa_user_sgpr_queue_ptr 0
		.amdhsa_user_sgpr_kernarg_segment_ptr 1
		.amdhsa_user_sgpr_dispatch_id 0
		.amdhsa_user_sgpr_private_segment_size 0
		.amdhsa_wavefront_size32 1
		.amdhsa_uses_dynamic_stack 0
		.amdhsa_enable_private_segment 0
		.amdhsa_system_sgpr_workgroup_id_x 1
		.amdhsa_system_sgpr_workgroup_id_y 0
		.amdhsa_system_sgpr_workgroup_id_z 0
		.amdhsa_system_sgpr_workgroup_info 0
		.amdhsa_system_vgpr_workitem_id 0
		.amdhsa_next_free_vgpr 54
		.amdhsa_next_free_sgpr 43
		.amdhsa_reserve_vcc 1
		.amdhsa_float_round_mode_32 0
		.amdhsa_float_round_mode_16_64 0
		.amdhsa_float_denorm_mode_32 3
		.amdhsa_float_denorm_mode_16_64 3
		.amdhsa_dx10_clamp 1
		.amdhsa_ieee_mode 1
		.amdhsa_fp16_overflow 0
		.amdhsa_workgroup_processor_mode 1
		.amdhsa_memory_ordered 1
		.amdhsa_forward_progress 0
		.amdhsa_shared_vgpr_count 0
		.amdhsa_exception_fp_ieee_invalid_op 0
		.amdhsa_exception_fp_denorm_src 0
		.amdhsa_exception_fp_ieee_div_zero 0
		.amdhsa_exception_fp_ieee_overflow 0
		.amdhsa_exception_fp_ieee_underflow 0
		.amdhsa_exception_fp_ieee_inexact 0
		.amdhsa_exception_int_div_zero 0
	.end_amdhsa_kernel
	.section	.text._ZN4vllm31rms_norm_per_block_quant_kernelIN3c108BFloat16ENS1_15Float8_e4m3fnuzELb1ELb1ELi128EEEvPT0_PfPKT_S9_PKffiiPS7_l,"axG",@progbits,_ZN4vllm31rms_norm_per_block_quant_kernelIN3c108BFloat16ENS1_15Float8_e4m3fnuzELb1ELb1ELi128EEEvPT0_PfPKT_S9_PKffiiPS7_l,comdat
.Lfunc_end67:
	.size	_ZN4vllm31rms_norm_per_block_quant_kernelIN3c108BFloat16ENS1_15Float8_e4m3fnuzELb1ELb1ELi128EEEvPT0_PfPKT_S9_PKffiiPS7_l, .Lfunc_end67-_ZN4vllm31rms_norm_per_block_quant_kernelIN3c108BFloat16ENS1_15Float8_e4m3fnuzELb1ELb1ELi128EEEvPT0_PfPKT_S9_PKffiiPS7_l
                                        ; -- End function
	.section	.AMDGPU.csdata,"",@progbits
; Kernel info:
; codeLenInByte = 18356
; NumSgprs: 45
; NumVgprs: 54
; ScratchSize: 0
; MemoryBound: 0
; FloatMode: 240
; IeeeMode: 1
; LDSByteSize: 4228 bytes/workgroup (compile time only)
; SGPRBlocks: 5
; VGPRBlocks: 6
; NumSGPRsForWavesPerEU: 45
; NumVGPRsForWavesPerEU: 54
; Occupancy: 16
; WaveLimiterHint : 0
; COMPUTE_PGM_RSRC2:SCRATCH_EN: 0
; COMPUTE_PGM_RSRC2:USER_SGPR: 15
; COMPUTE_PGM_RSRC2:TRAP_HANDLER: 0
; COMPUTE_PGM_RSRC2:TGID_X_EN: 1
; COMPUTE_PGM_RSRC2:TGID_Y_EN: 0
; COMPUTE_PGM_RSRC2:TGID_Z_EN: 0
; COMPUTE_PGM_RSRC2:TIDIG_COMP_CNT: 0
	.section	.text._ZN4vllm31rms_norm_per_block_quant_kernelIN3c108BFloat16EaLb1ELb1ELi128EEEvPT0_PfPKT_S8_PKffiiPS6_l,"axG",@progbits,_ZN4vllm31rms_norm_per_block_quant_kernelIN3c108BFloat16EaLb1ELb1ELi128EEEvPT0_PfPKT_S8_PKffiiPS6_l,comdat
	.protected	_ZN4vllm31rms_norm_per_block_quant_kernelIN3c108BFloat16EaLb1ELb1ELi128EEEvPT0_PfPKT_S8_PKffiiPS6_l ; -- Begin function _ZN4vllm31rms_norm_per_block_quant_kernelIN3c108BFloat16EaLb1ELb1ELi128EEEvPT0_PfPKT_S8_PKffiiPS6_l
	.globl	_ZN4vllm31rms_norm_per_block_quant_kernelIN3c108BFloat16EaLb1ELb1ELi128EEEvPT0_PfPKT_S8_PKffiiPS6_l
	.p2align	8
	.type	_ZN4vllm31rms_norm_per_block_quant_kernelIN3c108BFloat16EaLb1ELb1ELi128EEEvPT0_PfPKT_S8_PKffiiPS6_l,@function
_ZN4vllm31rms_norm_per_block_quant_kernelIN3c108BFloat16EaLb1ELb1ELi128EEEvPT0_PfPKT_S8_PKffiiPS6_l: ; @_ZN4vllm31rms_norm_per_block_quant_kernelIN3c108BFloat16EaLb1ELb1ELi128EEEvPT0_PfPKT_S8_PKffiiPS6_l
; %bb.0:
	s_mov_b32 s16, s15
	s_clause 0x3
	s_load_b128 s[12:15], s[0:1], 0x28
	s_load_b256 s[4:11], s[0:1], 0x0
	s_load_b64 s[26:27], s[0:1], 0x38
	s_load_b32 s36, s[0:1], 0x48
	v_mov_b32_e32 v6, 0
	s_mov_b32 s17, 0
	s_waitcnt lgkmcnt(0)
	s_ashr_i32 s3, s14, 31
	s_mul_hi_u32 s15, s14, s16
	s_mul_i32 s3, s3, s16
	s_ashr_i32 s21, s13, 31
	s_mul_i32 s2, s14, s16
	s_add_i32 s3, s15, s3
	s_mul_hi_u32 s14, s13, s16
	s_mul_i32 s15, s21, s16
	s_lshl_b64 s[24:25], s[2:3], 1
	s_mul_i32 s18, s13, s16
	s_add_i32 s19, s14, s15
	s_add_u32 s30, s8, s24
	s_addc_u32 s31, s9, s25
	s_lshl_b64 s[28:29], s[18:19], 1
	s_mov_b32 s20, s13
	s_add_u32 s33, s26, s28
	s_addc_u32 s34, s27, s29
	s_ashr_i32 s14, s13, 2
	s_add_u32 s22, s0, 0x48
	v_cmp_gt_u32_e64 s2, s14, v0
	s_addc_u32 s23, s1, 0
	s_delay_alu instid0(VALU_DEP_1)
	s_and_saveexec_b32 s3, s2
	s_cbranch_execz .LBB68_10
; %bb.1:
	s_cmp_lt_u32 s16, s36
	v_mov_b32_e32 v2, 0
	s_cselect_b32 s13, 12, 18
                                        ; implicit-def: $sgpr15
	v_mov_b32_e32 v1, v0
	s_add_u32 s38, s22, s13
	s_addc_u32 s39, s23, 0
	s_mov_b32 s13, s17
	global_load_u16 v7, v2, s[38:39]
	s_waitcnt vmcnt(0)
	v_lshlrev_b32_e32 v9, 1, v7
	v_mul_lo_u32 v8, v7, 3
	v_add_nc_u32_e32 v10, v7, v7
	v_mov_b32_e32 v6, v2
	s_branch .LBB68_5
.LBB68_2:                               ;   in Loop: Header=BB68_5 Depth=1
	s_or_b32 exec_lo, exec_lo, s38
	s_delay_alu instid0(SALU_CYCLE_1)
	s_or_not1_b32 s38, s39, exec_lo
.LBB68_3:                               ;   in Loop: Header=BB68_5 Depth=1
	s_or_b32 exec_lo, exec_lo, s37
	s_delay_alu instid0(SALU_CYCLE_1) | instskip(SKIP_1) | instid1(SALU_CYCLE_1)
	s_and_not1_b32 s15, s15, exec_lo
	s_and_b32 s37, s38, exec_lo
	s_or_b32 s15, s15, s37
.LBB68_4:                               ;   in Loop: Header=BB68_5 Depth=1
	s_or_b32 exec_lo, exec_lo, s35
	s_delay_alu instid0(SALU_CYCLE_1) | instskip(NEXT) | instid1(SALU_CYCLE_1)
	s_and_b32 s35, exec_lo, s15
	s_or_b32 s13, s35, s13
	s_delay_alu instid0(SALU_CYCLE_1)
	s_and_not1_b32 exec_lo, exec_lo, s13
	s_cbranch_execz .LBB68_9
.LBB68_5:                               ; =>This Inner Loop Header: Depth=1
	v_lshlrev_b64 v[3:4], 3, v[1:2]
	s_or_b32 s15, s15, exec_lo
	s_mov_b32 s35, exec_lo
	s_delay_alu instid0(VALU_DEP_1) | instskip(NEXT) | instid1(VALU_DEP_2)
	v_add_co_u32 v11, vcc_lo, s30, v3
	v_add_co_ci_u32_e32 v12, vcc_lo, s31, v4, vcc_lo
	v_add_co_u32 v3, vcc_lo, s33, v3
	v_add_co_ci_u32_e32 v4, vcc_lo, s34, v4, vcc_lo
	global_load_b64 v[11:12], v[11:12], off
	global_load_b64 v[3:4], v[3:4], off
	s_waitcnt vmcnt(1)
	v_lshlrev_b32_e32 v5, 16, v11
	s_waitcnt vmcnt(0)
	v_lshlrev_b32_e32 v13, 16, v3
	v_and_b32_e32 v14, 0xffff0000, v11
	v_alignbit_b32 v11, v12, v11, 16
	s_delay_alu instid0(VALU_DEP_3) | instskip(NEXT) | instid1(VALU_DEP_1)
	v_add_f32_e32 v5, v5, v13
	v_dual_fmac_f32 v6, v5, v5 :: v_dual_and_b32 v5, 0xffff0000, v12
	v_and_b32_e32 v15, 0xffff0000, v3
	v_alignbit_b32 v3, v4, v3, 16
	s_delay_alu instid0(VALU_DEP_1) | instskip(SKIP_1) | instid1(VALU_DEP_1)
	v_and_b32_e32 v3, 0xffff0000, v3
	v_and_b32_e32 v4, 0xffff0000, v4
	v_dual_add_f32 v4, v5, v4 :: v_dual_and_b32 v11, 0xffff0000, v11
	v_add_f32_e32 v13, v14, v15
	s_delay_alu instid0(VALU_DEP_1) | instskip(NEXT) | instid1(VALU_DEP_1)
	v_dual_add_f32 v3, v11, v3 :: v_dual_fmac_f32 v6, v13, v13
	v_fmac_f32_e32 v6, v3, v3
	s_delay_alu instid0(VALU_DEP_1) | instskip(NEXT) | instid1(VALU_DEP_1)
	v_dual_fmac_f32 v6, v4, v4 :: v_dual_add_nc_u32 v3, v1, v7
	v_cmpx_gt_u32_e64 s14, v3
	s_cbranch_execz .LBB68_4
; %bb.6:                                ;   in Loop: Header=BB68_5 Depth=1
	v_mov_b32_e32 v4, v2
	s_mov_b32 s38, -1
	s_mov_b32 s37, exec_lo
	s_delay_alu instid0(VALU_DEP_1) | instskip(NEXT) | instid1(VALU_DEP_1)
	v_lshlrev_b64 v[4:5], 3, v[3:4]
	v_add_co_u32 v11, vcc_lo, s30, v4
	s_delay_alu instid0(VALU_DEP_2)
	v_add_co_ci_u32_e32 v12, vcc_lo, s31, v5, vcc_lo
	v_add_co_u32 v4, vcc_lo, s33, v4
	v_add_co_ci_u32_e32 v5, vcc_lo, s34, v5, vcc_lo
	global_load_b64 v[11:12], v[11:12], off
	global_load_b64 v[4:5], v[4:5], off
	s_waitcnt vmcnt(1)
	v_lshlrev_b32_e32 v13, 16, v11
	v_and_b32_e32 v15, 0xffff0000, v11
	v_alignbit_b32 v11, v12, v11, 16
	v_and_b32_e32 v12, 0xffff0000, v12
	s_waitcnt vmcnt(0)
	v_lshlrev_b32_e32 v14, 16, v4
	v_and_b32_e32 v16, 0xffff0000, v4
	v_alignbit_b32 v4, v5, v4, 16
	s_delay_alu instid0(VALU_DEP_1) | instskip(SKIP_1) | instid1(VALU_DEP_1)
	v_and_b32_e32 v4, 0xffff0000, v4
	v_and_b32_e32 v5, 0xffff0000, v5
	v_add_f32_e32 v5, v12, v5
	v_add_f32_e32 v13, v13, v14
	s_delay_alu instid0(VALU_DEP_1) | instskip(SKIP_1) | instid1(VALU_DEP_2)
	v_dual_fmac_f32 v6, v13, v13 :: v_dual_and_b32 v11, 0xffff0000, v11
	v_add_f32_e32 v14, v15, v16
	v_add_f32_e32 v4, v11, v4
	s_delay_alu instid0(VALU_DEP_2) | instskip(NEXT) | instid1(VALU_DEP_1)
	v_fmac_f32_e32 v6, v14, v14
	v_fmac_f32_e32 v6, v4, v4
	v_add_nc_u32_e32 v4, v9, v1
	s_delay_alu instid0(VALU_DEP_2) | instskip(NEXT) | instid1(VALU_DEP_2)
	v_fmac_f32_e32 v6, v5, v5
	v_cmpx_gt_u32_e64 s14, v4
	s_cbranch_execz .LBB68_3
; %bb.7:                                ;   in Loop: Header=BB68_5 Depth=1
	v_mov_b32_e32 v5, v2
	v_add_nc_u32_e32 v1, v8, v1
	s_mov_b32 s39, -1
	s_mov_b32 s38, exec_lo
	s_delay_alu instid0(VALU_DEP_2) | instskip(NEXT) | instid1(VALU_DEP_1)
	v_lshlrev_b64 v[4:5], 3, v[4:5]
	v_add_co_u32 v11, vcc_lo, s30, v4
	s_delay_alu instid0(VALU_DEP_2)
	v_add_co_ci_u32_e32 v12, vcc_lo, s31, v5, vcc_lo
	v_add_co_u32 v4, vcc_lo, s33, v4
	v_add_co_ci_u32_e32 v5, vcc_lo, s34, v5, vcc_lo
	global_load_b64 v[11:12], v[11:12], off
	global_load_b64 v[4:5], v[4:5], off
	s_waitcnt vmcnt(1)
	v_and_b32_e32 v15, 0xffff0000, v11
	s_waitcnt vmcnt(0)
	v_lshlrev_b32_e32 v14, 16, v4
	v_and_b32_e32 v16, 0xffff0000, v4
	v_lshlrev_b32_e32 v13, 16, v11
	v_alignbit_b32 v11, v12, v11, 16
	v_alignbit_b32 v4, v5, v4, 16
	s_delay_alu instid0(VALU_DEP_3) | instskip(NEXT) | instid1(VALU_DEP_1)
	v_dual_add_f32 v13, v13, v14 :: v_dual_and_b32 v12, 0xffff0000, v12
	v_fmac_f32_e32 v6, v13, v13
	s_delay_alu instid0(VALU_DEP_4) | instskip(NEXT) | instid1(VALU_DEP_1)
	v_dual_add_f32 v14, v15, v16 :: v_dual_and_b32 v11, 0xffff0000, v11
	v_dual_fmac_f32 v6, v14, v14 :: v_dual_and_b32 v5, 0xffff0000, v5
	s_delay_alu instid0(VALU_DEP_1) | instskip(NEXT) | instid1(VALU_DEP_1)
	v_dual_add_f32 v5, v12, v5 :: v_dual_and_b32 v4, 0xffff0000, v4
	v_add_f32_e32 v4, v11, v4
	s_delay_alu instid0(VALU_DEP_1) | instskip(NEXT) | instid1(VALU_DEP_1)
	v_fmac_f32_e32 v6, v4, v4
	v_fmac_f32_e32 v6, v5, v5
	v_cmpx_gt_u32_e64 s14, v1
	s_xor_b32 s38, exec_lo, s38
	s_cbranch_execz .LBB68_2
; %bb.8:                                ;   in Loop: Header=BB68_5 Depth=1
	v_lshlrev_b64 v[4:5], 3, v[1:2]
	s_delay_alu instid0(VALU_DEP_1) | instskip(NEXT) | instid1(VALU_DEP_2)
	v_add_co_u32 v11, vcc_lo, s30, v4
	v_add_co_ci_u32_e32 v12, vcc_lo, s31, v5, vcc_lo
	v_add_co_u32 v4, vcc_lo, s33, v4
	v_add_co_ci_u32_e32 v5, vcc_lo, s34, v5, vcc_lo
	global_load_b64 v[11:12], v[11:12], off
	global_load_b64 v[4:5], v[4:5], off
	s_waitcnt vmcnt(0)
	v_lshlrev_b32_e32 v13, 16, v4
	v_and_b32_e32 v14, 0xffff0000, v11
	v_alignbit_b32 v15, v5, v4, 16
	v_and_b32_e32 v4, 0xffff0000, v4
	v_lshlrev_b32_e32 v1, 16, v11
	v_alignbit_b32 v11, v12, v11, 16
	v_and_b32_e32 v12, 0xffff0000, v12
	s_delay_alu instid0(VALU_DEP_3) | instskip(NEXT) | instid1(VALU_DEP_1)
	v_dual_add_f32 v4, v14, v4 :: v_dual_add_f32 v1, v1, v13
	v_dual_fmac_f32 v6, v1, v1 :: v_dual_and_b32 v13, 0xffff0000, v15
	s_delay_alu instid0(VALU_DEP_4) | instskip(SKIP_1) | instid1(VALU_DEP_2)
	v_and_b32_e32 v11, 0xffff0000, v11
	v_add3_u32 v1, v10, v7, v3
	v_dual_fmac_f32 v6, v4, v4 :: v_dual_add_f32 v11, v11, v13
	v_and_b32_e32 v5, 0xffff0000, v5
	s_delay_alu instid0(VALU_DEP_3) | instskip(NEXT) | instid1(VALU_DEP_2)
	v_cmp_le_u32_e32 vcc_lo, s14, v1
	v_dual_fmac_f32 v6, v11, v11 :: v_dual_add_f32 v3, v12, v5
	s_or_not1_b32 s39, vcc_lo, exec_lo
	s_delay_alu instid0(VALU_DEP_1)
	v_fmac_f32_e32 v6, v3, v3
	s_branch .LBB68_2
.LBB68_9:
	s_or_b32 exec_lo, exec_lo, s13
.LBB68_10:
	s_delay_alu instid0(SALU_CYCLE_1) | instskip(SKIP_4) | instid1(VALU_DEP_2)
	s_or_b32 exec_lo, exec_lo, s3
	v_mbcnt_lo_u32_b32 v1, -1, 0
	s_load_b32 s3, s[22:23], 0xc
	v_and_b32_e32 v7, 0x3e0, v0
	s_mov_b32 s13, exec_lo
	v_cmp_ne_u32_e32 vcc_lo, 31, v1
	v_add_nc_u32_e32 v3, 1, v1
	v_add_co_ci_u32_e32 v2, vcc_lo, 0, v1, vcc_lo
	v_cmp_gt_u32_e32 vcc_lo, 30, v1
	s_delay_alu instid0(VALU_DEP_2)
	v_lshlrev_b32_e32 v2, 2, v2
	v_cndmask_b32_e64 v5, 0, 1, vcc_lo
	ds_bpermute_b32 v4, v2, v6
	s_waitcnt lgkmcnt(0)
	s_and_b32 s3, s3, 0xffff
	v_lshlrev_b32_e32 v5, 1, v5
	v_sub_nc_u32_e64 v12, s3, v7 clamp
	s_delay_alu instid0(VALU_DEP_1) | instskip(SKIP_1) | instid1(VALU_DEP_4)
	v_cmp_lt_u32_e32 vcc_lo, v3, v12
	v_add_f32_e32 v7, v6, v4
	v_add_lshl_u32 v4, v5, v1, 2
	s_delay_alu instid0(VALU_DEP_2) | instskip(SKIP_2) | instid1(VALU_DEP_1)
	v_cndmask_b32_e32 v7, v6, v7, vcc_lo
	v_cmp_gt_u32_e32 vcc_lo, 28, v1
	v_cndmask_b32_e64 v5, 0, 1, vcc_lo
	v_lshlrev_b32_e32 v8, 2, v5
	ds_bpermute_b32 v6, v4, v7
	v_add_nc_u32_e32 v5, 2, v1
	s_delay_alu instid0(VALU_DEP_1) | instskip(SKIP_3) | instid1(VALU_DEP_2)
	v_cmp_lt_u32_e32 vcc_lo, v5, v12
	s_waitcnt lgkmcnt(0)
	v_add_f32_e32 v9, v7, v6
	v_add_lshl_u32 v6, v8, v1, 2
	v_cndmask_b32_e32 v9, v7, v9, vcc_lo
	v_cmp_gt_u32_e32 vcc_lo, 24, v1
	ds_bpermute_b32 v8, v6, v9
	v_cndmask_b32_e64 v7, 0, 1, vcc_lo
	s_delay_alu instid0(VALU_DEP_1) | instskip(SKIP_1) | instid1(VALU_DEP_1)
	v_lshlrev_b32_e32 v10, 3, v7
	v_add_nc_u32_e32 v7, 4, v1
	v_cmp_lt_u32_e32 vcc_lo, v7, v12
	s_waitcnt lgkmcnt(0)
	v_add_f32_e32 v11, v9, v8
	v_add_lshl_u32 v8, v10, v1, 2
	s_delay_alu instid0(VALU_DEP_2) | instskip(SKIP_3) | instid1(VALU_DEP_1)
	v_cndmask_b32_e32 v11, v9, v11, vcc_lo
	v_cmp_gt_u32_e32 vcc_lo, 16, v1
	ds_bpermute_b32 v10, v8, v11
	v_cndmask_b32_e64 v9, 0, 1, vcc_lo
	v_lshlrev_b32_e32 v13, 4, v9
	v_add_nc_u32_e32 v9, 8, v1
	s_delay_alu instid0(VALU_DEP_1) | instskip(SKIP_3) | instid1(VALU_DEP_2)
	v_cmp_lt_u32_e32 vcc_lo, v9, v12
	s_waitcnt lgkmcnt(0)
	v_add_f32_e32 v14, v11, v10
	v_add_lshl_u32 v10, v13, v1, 2
	v_cndmask_b32_e32 v13, v11, v14, vcc_lo
	v_add_nc_u32_e32 v11, 16, v1
	ds_bpermute_b32 v14, v10, v13
	v_cmp_lt_u32_e32 vcc_lo, v11, v12
	s_waitcnt lgkmcnt(0)
	v_add_f32_e32 v14, v13, v14
	s_delay_alu instid0(VALU_DEP_1)
	v_cndmask_b32_e32 v12, v13, v14, vcc_lo
	v_cmpx_eq_u32_e32 0, v1
	s_cbranch_execz .LBB68_12
; %bb.11:
	v_lshrrev_b32_e32 v13, 3, v0
	s_delay_alu instid0(VALU_DEP_1)
	v_and_b32_e32 v13, 0x7c, v13
	ds_store_b32 v13, v12 offset:4096
.LBB68_12:
	s_or_b32 exec_lo, exec_lo, s13
	s_delay_alu instid0(SALU_CYCLE_1)
	s_mov_b32 s13, exec_lo
	s_waitcnt lgkmcnt(0)
	s_barrier
	buffer_gl0_inv
	v_cmpx_gt_u32_e32 32, v0
	s_cbranch_execz .LBB68_14
; %bb.13:
	v_lshlrev_b32_e32 v1, 2, v1
	s_add_i32 s3, s3, 31
	s_delay_alu instid0(SALU_CYCLE_1) | instskip(NEXT) | instid1(SALU_CYCLE_1)
	s_lshr_b32 s3, s3, 5
	v_cmp_gt_u32_e32 vcc_lo, s3, v3
	ds_load_b32 v1, v1 offset:4096
	s_waitcnt lgkmcnt(0)
	ds_bpermute_b32 v2, v2, v1
	s_waitcnt lgkmcnt(0)
	v_add_f32_e32 v2, v1, v2
	s_delay_alu instid0(VALU_DEP_1) | instskip(SKIP_4) | instid1(VALU_DEP_1)
	v_cndmask_b32_e32 v1, v1, v2, vcc_lo
	v_cmp_gt_u32_e32 vcc_lo, s3, v5
	ds_bpermute_b32 v2, v4, v1
	s_waitcnt lgkmcnt(0)
	v_add_f32_e32 v2, v1, v2
	v_cndmask_b32_e32 v1, v1, v2, vcc_lo
	v_cmp_gt_u32_e32 vcc_lo, s3, v7
	ds_bpermute_b32 v2, v6, v1
	s_waitcnt lgkmcnt(0)
	v_add_f32_e32 v2, v1, v2
	s_delay_alu instid0(VALU_DEP_1) | instskip(SKIP_4) | instid1(VALU_DEP_1)
	v_cndmask_b32_e32 v1, v1, v2, vcc_lo
	v_cmp_gt_u32_e32 vcc_lo, s3, v9
	ds_bpermute_b32 v2, v8, v1
	s_waitcnt lgkmcnt(0)
	v_add_f32_e32 v2, v1, v2
	v_cndmask_b32_e32 v1, v1, v2, vcc_lo
	v_cmp_gt_u32_e32 vcc_lo, s3, v11
	ds_bpermute_b32 v2, v10, v1
	s_waitcnt lgkmcnt(0)
	v_add_f32_e32 v2, v1, v2
	s_delay_alu instid0(VALU_DEP_1)
	v_cndmask_b32_e32 v12, v1, v2, vcc_lo
.LBB68_14:
	s_or_b32 exec_lo, exec_lo, s13
	s_delay_alu instid0(SALU_CYCLE_1)
	s_mov_b32 s3, exec_lo
	v_cmpx_eq_u32_e32 0, v0
	s_cbranch_execz .LBB68_16
; %bb.15:
	v_cvt_f32_i32_e32 v1, s20
	s_delay_alu instid0(VALU_DEP_1) | instskip(SKIP_1) | instid1(VALU_DEP_2)
	v_div_scale_f32 v2, null, v1, v1, v12
	v_div_scale_f32 v5, vcc_lo, v12, v1, v12
	v_rcp_f32_e32 v3, v2
	s_waitcnt_depctr 0xfff
	v_fma_f32 v4, -v2, v3, 1.0
	s_delay_alu instid0(VALU_DEP_1) | instskip(NEXT) | instid1(VALU_DEP_1)
	v_fmac_f32_e32 v3, v4, v3
	v_mul_f32_e32 v4, v5, v3
	s_delay_alu instid0(VALU_DEP_1) | instskip(NEXT) | instid1(VALU_DEP_1)
	v_fma_f32 v6, -v2, v4, v5
	v_fmac_f32_e32 v4, v6, v3
	s_delay_alu instid0(VALU_DEP_1) | instskip(NEXT) | instid1(VALU_DEP_1)
	v_fma_f32 v2, -v2, v4, v5
	v_div_fmas_f32 v2, v2, v3, v4
	s_delay_alu instid0(VALU_DEP_1) | instskip(NEXT) | instid1(VALU_DEP_1)
	v_div_fixup_f32 v1, v2, v1, v12
	v_add_f32_e32 v1, s12, v1
	s_delay_alu instid0(VALU_DEP_1) | instskip(SKIP_1) | instid1(VALU_DEP_2)
	v_mul_f32_e32 v2, 0x4b800000, v1
	v_cmp_gt_f32_e32 vcc_lo, 0x800000, v1
	v_cndmask_b32_e32 v1, v1, v2, vcc_lo
	s_delay_alu instid0(VALU_DEP_1) | instskip(SKIP_2) | instid1(VALU_DEP_1)
	v_rsq_f32_e32 v1, v1
	s_waitcnt_depctr 0xfff
	v_mul_f32_e32 v2, 0x45800000, v1
	v_dual_cndmask_b32 v1, v1, v2 :: v_dual_mov_b32 v2, 0
	ds_store_b32 v2, v1 offset:4224
.LBB68_16:
	s_or_b32 exec_lo, exec_lo, s3
	s_ashr_i32 s3, s20, 31
	v_mov_b32_e32 v4, 0
	s_lshr_b32 s3, s3, 25
	s_waitcnt lgkmcnt(0)
	s_add_i32 s3, s20, s3
	s_barrier
	s_ashr_i32 s12, s3, 7
	s_cmp_lt_u32 s16, s36
	buffer_gl0_inv
	s_cselect_b32 s13, 12, 18
	ds_load_b32 v28, v4 offset:4224
	s_add_u32 s22, s22, s13
	s_addc_u32 s23, s23, 0
	s_abs_i32 s13, s12
	global_load_u16 v1, v4, s[22:23]
	v_cvt_f32_u32_e32 v2, s13
	s_sub_i32 s22, 0, s13
	s_ashr_i32 s3, s3, 31
	s_delay_alu instid0(VALU_DEP_1) | instskip(SKIP_2) | instid1(VALU_DEP_1)
	v_rcp_iflag_f32_e32 v2, v2
	s_waitcnt_depctr 0xfff
	v_mul_f32_e32 v2, 0x4f7ffffe, v2
	v_cvt_u32_f32_e32 v2, v2
	s_delay_alu instid0(VALU_DEP_1) | instskip(NEXT) | instid1(VALU_DEP_1)
	v_readfirstlane_b32 s15, v2
	s_mul_i32 s22, s22, s15
	s_delay_alu instid0(SALU_CYCLE_1) | instskip(NEXT) | instid1(SALU_CYCLE_1)
	s_mul_hi_u32 s22, s15, s22
	s_add_i32 s15, s15, s22
	s_waitcnt vmcnt(0)
	v_readfirstlane_b32 s35, v1
	s_delay_alu instid0(VALU_DEP_1) | instskip(NEXT) | instid1(SALU_CYCLE_1)
	s_mul_hi_u32 s15, s35, s15
	s_mul_i32 s22, s15, s13
	s_add_i32 s23, s15, 1
	s_sub_i32 s22, s35, s22
	s_delay_alu instid0(SALU_CYCLE_1)
	s_sub_i32 s37, s22, s13
	s_cmp_ge_u32 s22, s13
	s_cselect_b32 s15, s23, s15
	s_cselect_b32 s22, s37, s22
	s_add_i32 s23, s15, 1
	s_cmp_ge_u32 s22, s13
	s_cselect_b32 s13, s23, s15
	s_ashr_i32 s15, s14, 31
	s_xor_b32 s13, s13, s3
	s_delay_alu instid0(SALU_CYCLE_1) | instskip(NEXT) | instid1(SALU_CYCLE_1)
	s_sub_i32 s22, s13, s3
	s_abs_i32 s3, s22
	s_ashr_i32 s23, s22, 31
	v_cvt_f32_u32_e32 v1, s3
	s_sub_i32 s13, 0, s3
	s_delay_alu instid0(VALU_DEP_1) | instskip(SKIP_2) | instid1(VALU_DEP_1)
	v_rcp_iflag_f32_e32 v1, v1
	s_waitcnt_depctr 0xfff
	v_mul_f32_e32 v1, 0x4f7ffffe, v1
	v_cvt_u32_f32_e32 v1, v1
	s_delay_alu instid0(VALU_DEP_1) | instskip(SKIP_1) | instid1(VALU_DEP_1)
	v_mul_lo_u32 v2, s13, v1
	s_mov_b32 s13, exec_lo
	v_mul_hi_u32 v2, v1, v2
	s_delay_alu instid0(VALU_DEP_1) | instskip(NEXT) | instid1(VALU_DEP_1)
	v_add_nc_u32_e32 v1, v1, v2
	v_mul_hi_u32 v1, v0, v1
	s_delay_alu instid0(VALU_DEP_1) | instskip(SKIP_1) | instid1(VALU_DEP_2)
	v_mul_lo_u32 v2, v1, s3
	v_add_nc_u32_e32 v3, 1, v1
	v_sub_nc_u32_e32 v2, v0, v2
	s_delay_alu instid0(VALU_DEP_1) | instskip(SKIP_1) | instid1(VALU_DEP_2)
	v_subrev_nc_u32_e32 v5, s3, v2
	v_cmp_le_u32_e32 vcc_lo, s3, v2
	v_dual_cndmask_b32 v2, v2, v5 :: v_dual_cndmask_b32 v1, v1, v3
	s_delay_alu instid0(VALU_DEP_1) | instskip(NEXT) | instid1(VALU_DEP_2)
	v_cmp_le_u32_e32 vcc_lo, s3, v2
	v_add_nc_u32_e32 v3, 1, v1
	s_delay_alu instid0(VALU_DEP_1) | instskip(NEXT) | instid1(VALU_DEP_1)
	v_cndmask_b32_e32 v1, v1, v3, vcc_lo
	v_xor_b32_e32 v1, s23, v1
	s_delay_alu instid0(VALU_DEP_1) | instskip(NEXT) | instid1(VALU_DEP_1)
	v_subrev_nc_u32_e32 v1, s23, v1
	v_ashrrev_i32_e32 v2, 31, v1
	v_mul_lo_u32 v3, v1, s22
	s_delay_alu instid0(VALU_DEP_2) | instskip(NEXT) | instid1(VALU_DEP_2)
	v_lshlrev_b64 v[7:8], 5, v[1:2]
	v_sub_nc_u32_e32 v3, v0, v3
	s_delay_alu instid0(VALU_DEP_2) | instskip(NEXT) | instid1(VALU_DEP_3)
	v_add_co_u32 v5, vcc_lo, v7, 32
	v_add_co_ci_u32_e32 v6, vcc_lo, 0, v8, vcc_lo
	s_delay_alu instid0(VALU_DEP_1) | instskip(SKIP_4) | instid1(VALU_DEP_3)
	v_cmp_gt_i64_e32 vcc_lo, s[14:15], v[5:6]
	v_cndmask_b32_e32 v6, s15, v6, vcc_lo
	v_cndmask_b32_e32 v5, s14, v5, vcc_lo
	v_add_co_u32 v7, vcc_lo, v7, v3
	v_add_co_ci_u32_e32 v8, vcc_lo, 0, v8, vcc_lo
	v_ashrrev_i32_e32 v10, 31, v5
	v_mov_b32_e32 v9, v5
	s_delay_alu instid0(VALU_DEP_1)
	v_cmpx_lt_i64_e64 v[7:8], v[9:10]
	s_cbranch_execz .LBB68_26
; %bb.17:
	v_lshlrev_b64 v[13:14], 8, v[1:2]
	v_lshlrev_b64 v[11:12], 3, v[3:4]
	s_mul_i32 s3, s22, 24
	s_mul_hi_i32 s15, s22, 24
	s_add_u32 s37, s8, s3
	s_delay_alu instid0(VALU_DEP_2) | instskip(SKIP_2) | instid1(VALU_DEP_2)
	v_add_co_u32 v4, vcc_lo, s24, v13
	v_add_co_ci_u32_e32 v15, vcc_lo, s25, v14, vcc_lo
	s_addc_u32 s24, s9, s15
	v_add_co_u32 v17, vcc_lo, s37, v4
	s_lshl_b64 s[38:39], s[22:23], 4
	s_delay_alu instid0(VALU_DEP_2)
	v_add_co_ci_u32_e32 v18, vcc_lo, s24, v15, vcc_lo
	s_lshl_b64 s[24:25], s[22:23], 5
	s_add_u32 s37, s8, s38
	s_addc_u32 s42, s9, s39
	s_lshl_b64 s[40:41], s[22:23], 3
	v_add_co_u32 v19, vcc_lo, s37, v4
	s_add_u32 s37, s8, s40
	v_add_co_ci_u32_e32 v20, vcc_lo, s42, v15, vcc_lo
	s_addc_u32 s42, s9, s41
	v_add_co_u32 v21, vcc_lo, s37, v4
	v_add_co_ci_u32_e32 v22, vcc_lo, s42, v15, vcc_lo
	v_add_co_u32 v23, vcc_lo, s8, v4
	s_add_u32 s8, s10, s3
	v_add_co_ci_u32_e32 v24, vcc_lo, s9, v15, vcc_lo
	s_addc_u32 s9, s11, s15
	v_add_co_u32 v25, vcc_lo, s8, v13
	s_add_u32 s8, s10, s38
	v_add_co_ci_u32_e32 v26, vcc_lo, s9, v14, vcc_lo
	s_addc_u32 s9, s11, s39
	;; [unrolled: 4-line block ×3, first 2 shown]
	v_add_co_u32 v30, vcc_lo, s8, v13
	v_add_co_ci_u32_e32 v31, vcc_lo, s9, v14, vcc_lo
	v_add_co_u32 v32, vcc_lo, s10, v13
	v_add_co_ci_u32_e32 v33, vcc_lo, s11, v14, vcc_lo
	;; [unrolled: 2-line block ×3, first 2 shown]
	s_add_u32 s3, s26, s3
	s_addc_u32 s8, s27, s15
	s_delay_alu instid0(VALU_DEP_2)
	v_add_co_u32 v34, vcc_lo, s3, v4
	s_add_u32 s3, s26, s38
	v_add_co_ci_u32_e32 v35, vcc_lo, s8, v13, vcc_lo
	s_addc_u32 s8, s27, s39
	v_add_co_u32 v36, vcc_lo, s3, v4
	s_add_u32 s3, s26, s40
	v_add_co_ci_u32_e32 v37, vcc_lo, s8, v13, vcc_lo
	s_addc_u32 s8, s27, s41
	v_add_co_u32 v38, vcc_lo, s3, v4
	v_add_co_ci_u32_e32 v39, vcc_lo, s8, v13, vcc_lo
	v_add_co_u32 v40, vcc_lo, s26, v4
	v_add_co_ci_u32_e32 v41, vcc_lo, s27, v13, vcc_lo
	v_mov_b32_e32 v14, v8
	v_dual_mov_b32 v4, 0 :: v_dual_mov_b32 v13, v7
	s_mul_hi_i32 s15, s22, 3
	s_mul_i32 s26, s22, 3
	s_lshl_b64 s[8:9], s[22:23], 1
	s_mov_b32 s27, 0
                                        ; implicit-def: $sgpr28
	s_branch .LBB68_21
.LBB68_18:                              ;   in Loop: Header=BB68_21 Depth=1
	s_or_b32 exec_lo, exec_lo, s38
	s_delay_alu instid0(SALU_CYCLE_1)
	s_or_not1_b32 s3, s3, exec_lo
.LBB68_19:                              ;   in Loop: Header=BB68_21 Depth=1
	s_or_b32 exec_lo, exec_lo, s37
	s_delay_alu instid0(SALU_CYCLE_1) | instskip(SKIP_1) | instid1(SALU_CYCLE_1)
	s_and_not1_b32 s28, s28, exec_lo
	s_and_b32 s3, s3, exec_lo
	s_or_b32 s28, s28, s3
.LBB68_20:                              ;   in Loop: Header=BB68_21 Depth=1
	s_or_b32 exec_lo, exec_lo, s29
	s_delay_alu instid0(SALU_CYCLE_1) | instskip(NEXT) | instid1(SALU_CYCLE_1)
	s_and_b32 s3, exec_lo, s28
	s_or_b32 s27, s3, s27
	s_delay_alu instid0(SALU_CYCLE_1)
	s_and_not1_b32 exec_lo, exec_lo, s27
	s_cbranch_execz .LBB68_25
.LBB68_21:                              ; =>This Inner Loop Header: Depth=1
	v_add_co_u32 v15, vcc_lo, v23, v11
	v_add_co_ci_u32_e32 v16, vcc_lo, v24, v12, vcc_lo
	v_add_co_u32 v42, vcc_lo, v32, v11
	v_add_co_ci_u32_e32 v43, vcc_lo, v33, v12, vcc_lo
	;; [unrolled: 2-line block ×3, first 2 shown]
	global_load_b64 v[15:16], v[15:16], off
	global_load_b64 v[42:43], v[42:43], off
	;; [unrolled: 1-line block ×3, first 2 shown]
	s_or_b32 s28, s28, exec_lo
	s_mov_b32 s29, exec_lo
	s_waitcnt vmcnt(2)
	v_lshlrev_b32_e32 v48, 16, v15
	s_waitcnt vmcnt(0)
	v_and_b32_e32 v50, 0xffff0000, v44
	v_lshlrev_b32_e32 v49, 16, v44
	v_alignbit_b32 v44, v45, v44, 16
	s_delay_alu instid0(VALU_DEP_1) | instskip(SKIP_2) | instid1(VALU_DEP_1)
	v_and_b32_e32 v44, 0xffff0000, v44
	v_and_b32_e32 v46, 0xffff0000, v15
	v_alignbit_b32 v15, v16, v15, 16
	v_and_b32_e32 v15, 0xffff0000, v15
	s_delay_alu instid0(VALU_DEP_1) | instskip(SKIP_2) | instid1(VALU_DEP_2)
	v_dual_add_f32 v15, v15, v44 :: v_dual_add_f32 v46, v46, v50
	v_dual_add_f32 v48, v48, v49 :: v_dual_and_b32 v47, 0xffff0000, v42
	s_waitcnt lgkmcnt(0)
	v_dual_mul_f32 v15, v28, v15 :: v_dual_and_b32 v16, 0xffff0000, v16
	s_delay_alu instid0(VALU_DEP_3) | instskip(NEXT) | instid1(VALU_DEP_3)
	v_dual_mul_f32 v46, v28, v46 :: v_dual_and_b32 v45, 0xffff0000, v45
	v_mul_f32_e32 v48, v28, v48
	s_delay_alu instid0(VALU_DEP_3) | instskip(NEXT) | instid1(VALU_DEP_3)
	v_bfe_u32 v51, v15, 16, 1
	v_dual_add_f32 v16, v16, v45 :: v_dual_lshlrev_b32 v45, 16, v42
	s_delay_alu instid0(VALU_DEP_3) | instskip(SKIP_1) | instid1(VALU_DEP_3)
	v_bfe_u32 v44, v48, 16, 1
	v_alignbit_b32 v42, v43, v42, 16
	v_dual_mul_f32 v16, v28, v16 :: v_dual_and_b32 v43, 0xffff0000, v43
	v_bfe_u32 v49, v46, 16, 1
	s_delay_alu instid0(VALU_DEP_4)
	v_add3_u32 v44, v48, v44, 0x7fff
	v_cmp_o_f32_e32 vcc_lo, v48, v48
	v_and_b32_e32 v42, 0xffff0000, v42
	v_bfe_u32 v50, v16, 16, 1
	v_add3_u32 v49, v46, v49, 0x7fff
	v_and_b32_e32 v44, 0xffff0000, v44
	v_add3_u32 v51, v15, v51, 0x7fff
	s_delay_alu instid0(VALU_DEP_4) | instskip(NEXT) | instid1(VALU_DEP_4)
	v_add3_u32 v50, v16, v50, 0x7fff
	v_and_b32_e32 v49, 0xffff0000, v49
	s_delay_alu instid0(VALU_DEP_4)
	v_cndmask_b32_e32 v44, 0x7fc00000, v44, vcc_lo
	v_cmp_o_f32_e32 vcc_lo, v46, v46
	v_and_b32_e32 v48, 0xffff0000, v51
	v_and_b32_e32 v50, 0xffff0000, v50
	v_cndmask_b32_e32 v46, 0x7fc00000, v49, vcc_lo
	v_cmp_o_f32_e32 vcc_lo, v16, v16
	s_delay_alu instid0(VALU_DEP_3) | instskip(SKIP_1) | instid1(VALU_DEP_4)
	v_cndmask_b32_e32 v16, 0x7fc00000, v50, vcc_lo
	v_cmp_o_f32_e32 vcc_lo, v15, v15
	v_dual_mul_f32 v44, v44, v45 :: v_dual_mul_f32 v45, v46, v47
	s_delay_alu instid0(VALU_DEP_3) | instskip(SKIP_1) | instid1(VALU_DEP_3)
	v_mul_f32_e32 v43, v16, v43
	v_cndmask_b32_e32 v15, 0x7fc00000, v48, vcc_lo
	v_bfe_u32 v46, v44, 16, 1
	s_delay_alu instid0(VALU_DEP_4) | instskip(SKIP_1) | instid1(VALU_DEP_4)
	v_bfe_u32 v16, v45, 16, 1
	v_cmp_o_f32_e32 vcc_lo, v44, v44
	v_mul_f32_e32 v42, v15, v42
	s_delay_alu instid0(VALU_DEP_4) | instskip(NEXT) | instid1(VALU_DEP_4)
	v_add3_u32 v15, v44, v46, 0x7fff
	v_add3_u32 v16, v45, v16, 0x7fff
	v_bfe_u32 v46, v43, 16, 1
	s_delay_alu instid0(VALU_DEP_4) | instskip(NEXT) | instid1(VALU_DEP_4)
	v_bfe_u32 v47, v42, 16, 1
	v_and_b32_e32 v15, 0xffff0000, v15
	s_delay_alu instid0(VALU_DEP_4) | instskip(NEXT) | instid1(VALU_DEP_4)
	v_and_b32_e32 v16, 0xffff0000, v16
	v_add3_u32 v46, v43, v46, 0x7fff
	s_delay_alu instid0(VALU_DEP_4) | instskip(NEXT) | instid1(VALU_DEP_4)
	v_add3_u32 v47, v42, v47, 0x7fff
	v_cndmask_b32_e64 v44, 0x7fc00000, |v15|, vcc_lo
	v_cmp_o_f32_e32 vcc_lo, v45, v45
	s_delay_alu instid0(VALU_DEP_4) | instskip(NEXT) | instid1(VALU_DEP_4)
	v_and_b32_e32 v46, 0xffff0000, v46
	v_and_b32_e32 v47, 0xffff0000, v47
	v_cndmask_b32_e64 v45, 0x7fc00000, |v16|, vcc_lo
	v_add_co_u32 v15, vcc_lo, v13, s22
	v_add_co_ci_u32_e32 v16, vcc_lo, s23, v14, vcc_lo
	v_cmp_o_f32_e32 vcc_lo, v42, v42
	s_delay_alu instid0(VALU_DEP_4) | instskip(SKIP_3) | instid1(VALU_DEP_1)
	v_max3_f32 v4, v4, v44, v45
	v_cndmask_b32_e64 v42, 0x7fc00000, |v47|, vcc_lo
	v_cmp_o_f32_e32 vcc_lo, v43, v43
	v_cndmask_b32_e64 v43, 0x7fc00000, |v46|, vcc_lo
	v_max3_f32 v4, v4, v42, v43
	v_cmpx_lt_i64_e64 v[15:16], v[9:10]
	s_cbranch_execz .LBB68_20
; %bb.22:                               ;   in Loop: Header=BB68_21 Depth=1
	v_add_co_u32 v42, vcc_lo, v21, v11
	v_add_co_ci_u32_e32 v43, vcc_lo, v22, v12, vcc_lo
	v_add_co_u32 v44, vcc_lo, v30, v11
	v_add_co_ci_u32_e32 v45, vcc_lo, v31, v12, vcc_lo
	;; [unrolled: 2-line block ×3, first 2 shown]
	global_load_b64 v[42:43], v[42:43], off
	global_load_b64 v[44:45], v[44:45], off
	;; [unrolled: 1-line block ×3, first 2 shown]
	s_mov_b32 s3, -1
	s_mov_b32 s37, exec_lo
	s_waitcnt vmcnt(2)
	v_lshlrev_b32_e32 v50, 16, v42
	s_waitcnt vmcnt(0)
	v_lshlrev_b32_e32 v51, 16, v46
	v_and_b32_e32 v52, 0xffff0000, v46
	v_alignbit_b32 v46, v47, v46, 16
	v_and_b32_e32 v47, 0xffff0000, v47
	v_and_b32_e32 v48, 0xffff0000, v42
	v_alignbit_b32 v42, v43, v42, 16
	v_and_b32_e32 v43, 0xffff0000, v43
	s_delay_alu instid0(VALU_DEP_1) | instskip(NEXT) | instid1(VALU_DEP_4)
	v_dual_add_f32 v43, v43, v47 :: v_dual_and_b32 v46, 0xffff0000, v46
	v_add_f32_e32 v48, v48, v52
	v_lshlrev_b32_e32 v47, 16, v44
	s_delay_alu instid0(VALU_DEP_3) | instskip(NEXT) | instid1(VALU_DEP_3)
	v_mul_f32_e32 v43, v28, v43
	v_mul_f32_e32 v48, v28, v48
	v_dual_add_f32 v50, v50, v51 :: v_dual_and_b32 v49, 0xffff0000, v44
	v_alignbit_b32 v44, v45, v44, 16
	v_and_b32_e32 v45, 0xffff0000, v45
	v_and_b32_e32 v42, 0xffff0000, v42
	v_bfe_u32 v51, v48, 16, 1
	v_mul_f32_e32 v50, v28, v50
	v_bfe_u32 v52, v43, 16, 1
	v_and_b32_e32 v44, 0xffff0000, v44
	v_add_f32_e32 v42, v42, v46
	v_add3_u32 v51, v48, v51, 0x7fff
	v_bfe_u32 v46, v50, 16, 1
	v_cmp_o_f32_e32 vcc_lo, v50, v50
	v_add3_u32 v52, v43, v52, 0x7fff
	s_delay_alu instid0(VALU_DEP_4) | instskip(NEXT) | instid1(VALU_DEP_4)
	v_dual_mul_f32 v42, v28, v42 :: v_dual_and_b32 v51, 0xffff0000, v51
	v_add3_u32 v46, v50, v46, 0x7fff
	s_delay_alu instid0(VALU_DEP_3) | instskip(NEXT) | instid1(VALU_DEP_3)
	v_and_b32_e32 v52, 0xffff0000, v52
	v_bfe_u32 v53, v42, 16, 1
	s_delay_alu instid0(VALU_DEP_3) | instskip(NEXT) | instid1(VALU_DEP_2)
	v_and_b32_e32 v46, 0xffff0000, v46
	v_add3_u32 v53, v42, v53, 0x7fff
	s_delay_alu instid0(VALU_DEP_2) | instskip(SKIP_1) | instid1(VALU_DEP_3)
	v_cndmask_b32_e32 v46, 0x7fc00000, v46, vcc_lo
	v_cmp_o_f32_e32 vcc_lo, v48, v48
	v_and_b32_e32 v50, 0xffff0000, v53
	s_delay_alu instid0(VALU_DEP_3) | instskip(SKIP_2) | instid1(VALU_DEP_2)
	v_mul_f32_e32 v46, v46, v47
	v_cndmask_b32_e32 v48, 0x7fc00000, v51, vcc_lo
	v_cmp_o_f32_e32 vcc_lo, v43, v43
	v_mul_f32_e32 v47, v48, v49
	v_cndmask_b32_e32 v43, 0x7fc00000, v52, vcc_lo
	v_cmp_o_f32_e32 vcc_lo, v42, v42
	v_bfe_u32 v48, v46, 16, 1
	s_delay_alu instid0(VALU_DEP_3) | instskip(SKIP_2) | instid1(VALU_DEP_2)
	v_dual_mul_f32 v45, v43, v45 :: v_dual_cndmask_b32 v42, 0x7fc00000, v50
	v_bfe_u32 v43, v47, 16, 1
	v_cmp_o_f32_e32 vcc_lo, v46, v46
	v_add3_u32 v43, v47, v43, 0x7fff
	s_delay_alu instid0(VALU_DEP_4) | instskip(SKIP_2) | instid1(VALU_DEP_4)
	v_mul_f32_e32 v44, v42, v44
	v_add3_u32 v42, v46, v48, 0x7fff
	v_bfe_u32 v48, v45, 16, 1
	v_and_b32_e32 v43, 0xffff0000, v43
	s_delay_alu instid0(VALU_DEP_4) | instskip(NEXT) | instid1(VALU_DEP_4)
	v_bfe_u32 v49, v44, 16, 1
	v_and_b32_e32 v42, 0xffff0000, v42
	s_delay_alu instid0(VALU_DEP_4) | instskip(NEXT) | instid1(VALU_DEP_3)
	v_add3_u32 v48, v45, v48, 0x7fff
	v_add3_u32 v49, v44, v49, 0x7fff
	s_delay_alu instid0(VALU_DEP_3) | instskip(SKIP_1) | instid1(VALU_DEP_4)
	v_cndmask_b32_e64 v46, 0x7fc00000, |v42|, vcc_lo
	v_cmp_o_f32_e32 vcc_lo, v47, v47
	v_and_b32_e32 v48, 0xffff0000, v48
	s_delay_alu instid0(VALU_DEP_4) | instskip(SKIP_4) | instid1(VALU_DEP_4)
	v_and_b32_e32 v49, 0xffff0000, v49
	v_cndmask_b32_e64 v47, 0x7fc00000, |v43|, vcc_lo
	v_add_co_u32 v42, vcc_lo, s8, v13
	v_add_co_ci_u32_e32 v43, vcc_lo, s9, v14, vcc_lo
	v_cmp_o_f32_e32 vcc_lo, v44, v44
	v_max3_f32 v4, v4, v46, v47
	v_cndmask_b32_e64 v44, 0x7fc00000, |v49|, vcc_lo
	v_cmp_o_f32_e32 vcc_lo, v45, v45
	v_cndmask_b32_e64 v45, 0x7fc00000, |v48|, vcc_lo
	s_delay_alu instid0(VALU_DEP_1)
	v_max3_f32 v4, v4, v44, v45
	v_cmpx_lt_i64_e64 v[42:43], v[9:10]
	s_cbranch_execz .LBB68_19
; %bb.23:                               ;   in Loop: Header=BB68_21 Depth=1
	v_add_co_u32 v42, vcc_lo, v19, v11
	v_add_co_ci_u32_e32 v43, vcc_lo, v20, v12, vcc_lo
	v_add_co_u32 v44, vcc_lo, v27, v11
	v_add_co_ci_u32_e32 v45, vcc_lo, v29, v12, vcc_lo
	;; [unrolled: 2-line block ×3, first 2 shown]
	global_load_b64 v[42:43], v[42:43], off
	global_load_b64 v[44:45], v[44:45], off
	;; [unrolled: 1-line block ×3, first 2 shown]
	s_waitcnt vmcnt(2)
	v_lshlrev_b32_e32 v50, 16, v42
	s_waitcnt vmcnt(0)
	v_lshlrev_b32_e32 v51, 16, v46
	v_and_b32_e32 v52, 0xffff0000, v46
	v_alignbit_b32 v46, v47, v46, 16
	v_and_b32_e32 v47, 0xffff0000, v47
	v_and_b32_e32 v48, 0xffff0000, v42
	v_alignbit_b32 v42, v43, v42, 16
	v_and_b32_e32 v43, 0xffff0000, v43
	s_delay_alu instid0(VALU_DEP_1) | instskip(NEXT) | instid1(VALU_DEP_4)
	v_dual_add_f32 v43, v43, v47 :: v_dual_and_b32 v46, 0xffff0000, v46
	v_add_f32_e32 v48, v48, v52
	v_lshlrev_b32_e32 v47, 16, v44
	s_delay_alu instid0(VALU_DEP_3) | instskip(NEXT) | instid1(VALU_DEP_3)
	v_mul_f32_e32 v43, v28, v43
	v_mul_f32_e32 v48, v28, v48
	v_dual_add_f32 v50, v50, v51 :: v_dual_and_b32 v49, 0xffff0000, v44
	v_alignbit_b32 v44, v45, v44, 16
	v_and_b32_e32 v45, 0xffff0000, v45
	v_and_b32_e32 v42, 0xffff0000, v42
	v_bfe_u32 v51, v48, 16, 1
	v_mul_f32_e32 v50, v28, v50
	v_bfe_u32 v52, v43, 16, 1
	v_and_b32_e32 v44, 0xffff0000, v44
	v_add_f32_e32 v42, v42, v46
	v_add3_u32 v51, v48, v51, 0x7fff
	v_bfe_u32 v46, v50, 16, 1
	v_cmp_o_f32_e32 vcc_lo, v50, v50
	v_add3_u32 v52, v43, v52, 0x7fff
	s_delay_alu instid0(VALU_DEP_4) | instskip(NEXT) | instid1(VALU_DEP_4)
	v_dual_mul_f32 v42, v28, v42 :: v_dual_and_b32 v51, 0xffff0000, v51
	v_add3_u32 v46, v50, v46, 0x7fff
	s_delay_alu instid0(VALU_DEP_3) | instskip(NEXT) | instid1(VALU_DEP_3)
	v_and_b32_e32 v52, 0xffff0000, v52
	v_bfe_u32 v53, v42, 16, 1
	s_delay_alu instid0(VALU_DEP_3) | instskip(NEXT) | instid1(VALU_DEP_2)
	v_and_b32_e32 v46, 0xffff0000, v46
	v_add3_u32 v53, v42, v53, 0x7fff
	s_delay_alu instid0(VALU_DEP_2) | instskip(SKIP_1) | instid1(VALU_DEP_3)
	v_cndmask_b32_e32 v46, 0x7fc00000, v46, vcc_lo
	v_cmp_o_f32_e32 vcc_lo, v48, v48
	v_and_b32_e32 v50, 0xffff0000, v53
	s_delay_alu instid0(VALU_DEP_3) | instskip(SKIP_2) | instid1(VALU_DEP_2)
	v_mul_f32_e32 v46, v46, v47
	v_cndmask_b32_e32 v48, 0x7fc00000, v51, vcc_lo
	v_cmp_o_f32_e32 vcc_lo, v43, v43
	v_mul_f32_e32 v47, v48, v49
	v_cndmask_b32_e32 v43, 0x7fc00000, v52, vcc_lo
	v_cmp_o_f32_e32 vcc_lo, v42, v42
	v_bfe_u32 v48, v46, 16, 1
	s_delay_alu instid0(VALU_DEP_3) | instskip(SKIP_2) | instid1(VALU_DEP_2)
	v_dual_mul_f32 v43, v43, v45 :: v_dual_cndmask_b32 v42, 0x7fc00000, v50
	v_bfe_u32 v45, v47, 16, 1
	v_cmp_o_f32_e32 vcc_lo, v46, v46
	v_add3_u32 v45, v47, v45, 0x7fff
	s_delay_alu instid0(VALU_DEP_4) | instskip(SKIP_2) | instid1(VALU_DEP_4)
	v_mul_f32_e32 v42, v42, v44
	v_add3_u32 v44, v46, v48, 0x7fff
	v_bfe_u32 v48, v43, 16, 1
	v_and_b32_e32 v45, 0xffff0000, v45
	s_delay_alu instid0(VALU_DEP_4) | instskip(NEXT) | instid1(VALU_DEP_4)
	v_bfe_u32 v49, v42, 16, 1
	v_and_b32_e32 v44, 0xffff0000, v44
	s_delay_alu instid0(VALU_DEP_4) | instskip(NEXT) | instid1(VALU_DEP_3)
	v_add3_u32 v48, v43, v48, 0x7fff
	v_add3_u32 v49, v42, v49, 0x7fff
	s_delay_alu instid0(VALU_DEP_3) | instskip(SKIP_1) | instid1(VALU_DEP_4)
	v_cndmask_b32_e64 v44, 0x7fc00000, |v44|, vcc_lo
	v_cmp_o_f32_e32 vcc_lo, v47, v47
	v_and_b32_e32 v47, 0xffff0000, v48
	s_delay_alu instid0(VALU_DEP_4) | instskip(SKIP_4) | instid1(VALU_DEP_4)
	v_and_b32_e32 v46, 0xffff0000, v49
	v_cndmask_b32_e64 v45, 0x7fc00000, |v45|, vcc_lo
	v_add_co_u32 v13, vcc_lo, s26, v13
	v_add_co_ci_u32_e32 v14, vcc_lo, s15, v14, vcc_lo
	v_cmp_o_f32_e32 vcc_lo, v42, v42
	v_max3_f32 v4, v4, v44, v45
	v_cndmask_b32_e64 v42, 0x7fc00000, |v46|, vcc_lo
	v_cmp_o_f32_e32 vcc_lo, v43, v43
	v_cndmask_b32_e64 v43, 0x7fc00000, |v47|, vcc_lo
	v_cmp_lt_i64_e32 vcc_lo, v[13:14], v[9:10]
                                        ; implicit-def: $vgpr13_vgpr14
	s_delay_alu instid0(VALU_DEP_2) | instskip(SKIP_1) | instid1(SALU_CYCLE_1)
	v_max3_f32 v4, v4, v42, v43
	s_and_saveexec_b32 s38, vcc_lo
	s_xor_b32 s38, exec_lo, s38
	s_cbranch_execz .LBB68_18
; %bb.24:                               ;   in Loop: Header=BB68_21 Depth=1
	v_add_co_u32 v13, vcc_lo, v17, v11
	v_add_co_ci_u32_e32 v14, vcc_lo, v18, v12, vcc_lo
	v_add_co_u32 v42, vcc_lo, v25, v11
	v_add_co_ci_u32_e32 v43, vcc_lo, v26, v12, vcc_lo
	;; [unrolled: 2-line block ×3, first 2 shown]
	global_load_b64 v[13:14], v[13:14], off
	global_load_b64 v[42:43], v[42:43], off
	;; [unrolled: 1-line block ×3, first 2 shown]
	v_add_co_u32 v17, vcc_lo, v17, s24
	v_add_co_ci_u32_e32 v18, vcc_lo, s25, v18, vcc_lo
	v_add_co_u32 v19, vcc_lo, v19, s24
	v_add_co_ci_u32_e32 v20, vcc_lo, s25, v20, vcc_lo
	;; [unrolled: 2-line block ×10, first 2 shown]
	s_add_u32 s3, s22, s22
	s_addc_u32 s39, s23, s23
	s_add_u32 s3, s3, s22
	s_addc_u32 s39, s39, s23
	s_waitcnt vmcnt(2)
	v_lshlrev_b32_e32 v48, 16, v13
	s_waitcnt vmcnt(0)
	v_and_b32_e32 v50, 0xffff0000, v44
	v_lshlrev_b32_e32 v49, 16, v44
	v_alignbit_b32 v44, v45, v44, 16
	s_delay_alu instid0(VALU_DEP_1) | instskip(SKIP_2) | instid1(VALU_DEP_1)
	v_and_b32_e32 v44, 0xffff0000, v44
	v_and_b32_e32 v46, 0xffff0000, v13
	v_alignbit_b32 v13, v14, v13, 16
	v_and_b32_e32 v13, 0xffff0000, v13
	s_delay_alu instid0(VALU_DEP_1) | instskip(SKIP_1) | instid1(VALU_DEP_2)
	v_dual_add_f32 v13, v13, v44 :: v_dual_add_f32 v46, v46, v50
	v_dual_add_f32 v48, v48, v49 :: v_dual_and_b32 v47, 0xffff0000, v42
	v_dual_mul_f32 v13, v28, v13 :: v_dual_and_b32 v14, 0xffff0000, v14
	s_delay_alu instid0(VALU_DEP_3) | instskip(NEXT) | instid1(VALU_DEP_3)
	v_dual_mul_f32 v46, v28, v46 :: v_dual_and_b32 v45, 0xffff0000, v45
	v_mul_f32_e32 v48, v28, v48
	s_delay_alu instid0(VALU_DEP_3) | instskip(NEXT) | instid1(VALU_DEP_3)
	v_bfe_u32 v51, v13, 16, 1
	v_dual_add_f32 v14, v14, v45 :: v_dual_lshlrev_b32 v45, 16, v42
	s_delay_alu instid0(VALU_DEP_3) | instskip(SKIP_2) | instid1(VALU_DEP_4)
	v_bfe_u32 v44, v48, 16, 1
	v_bfe_u32 v49, v46, 16, 1
	v_alignbit_b32 v42, v43, v42, 16
	v_dual_mul_f32 v14, v28, v14 :: v_dual_and_b32 v43, 0xffff0000, v43
	s_delay_alu instid0(VALU_DEP_4) | instskip(NEXT) | instid1(VALU_DEP_4)
	v_add3_u32 v44, v48, v44, 0x7fff
	v_add3_u32 v49, v46, v49, 0x7fff
	v_cmp_o_f32_e32 vcc_lo, v48, v48
	s_delay_alu instid0(VALU_DEP_4)
	v_bfe_u32 v50, v14, 16, 1
	v_and_b32_e32 v42, 0xffff0000, v42
	v_and_b32_e32 v44, 0xffff0000, v44
	;; [unrolled: 1-line block ×3, first 2 shown]
	v_add3_u32 v51, v13, v51, 0x7fff
	v_add3_u32 v50, v14, v50, 0x7fff
	s_delay_alu instid0(VALU_DEP_4) | instskip(SKIP_1) | instid1(VALU_DEP_4)
	v_cndmask_b32_e32 v44, 0x7fc00000, v44, vcc_lo
	v_cmp_o_f32_e32 vcc_lo, v46, v46
	v_and_b32_e32 v48, 0xffff0000, v51
	s_delay_alu instid0(VALU_DEP_4) | instskip(SKIP_2) | instid1(VALU_DEP_3)
	v_and_b32_e32 v50, 0xffff0000, v50
	v_cndmask_b32_e32 v46, 0x7fc00000, v49, vcc_lo
	v_cmp_o_f32_e32 vcc_lo, v14, v14
	v_cndmask_b32_e32 v14, 0x7fc00000, v50, vcc_lo
	v_cmp_o_f32_e32 vcc_lo, v13, v13
	s_delay_alu instid0(VALU_DEP_4) | instskip(NEXT) | instid1(VALU_DEP_3)
	v_dual_mul_f32 v44, v44, v45 :: v_dual_mul_f32 v45, v46, v47
	v_mul_f32_e32 v43, v14, v43
	v_cndmask_b32_e32 v13, 0x7fc00000, v48, vcc_lo
	s_delay_alu instid0(VALU_DEP_3) | instskip(NEXT) | instid1(VALU_DEP_4)
	v_bfe_u32 v14, v44, 16, 1
	v_bfe_u32 v46, v45, 16, 1
	v_cmp_o_f32_e32 vcc_lo, v44, v44
	s_delay_alu instid0(VALU_DEP_4) | instskip(NEXT) | instid1(VALU_DEP_4)
	v_mul_f32_e32 v42, v13, v42
	v_add3_u32 v14, v44, v14, 0x7fff
	v_bfe_u32 v13, v43, 16, 1
	v_add3_u32 v46, v45, v46, 0x7fff
	s_delay_alu instid0(VALU_DEP_4) | instskip(NEXT) | instid1(VALU_DEP_4)
	v_bfe_u32 v47, v42, 16, 1
	v_and_b32_e32 v14, 0xffff0000, v14
	s_delay_alu instid0(VALU_DEP_4) | instskip(NEXT) | instid1(VALU_DEP_4)
	v_add3_u32 v13, v43, v13, 0x7fff
	v_and_b32_e32 v46, 0xffff0000, v46
	s_delay_alu instid0(VALU_DEP_4) | instskip(NEXT) | instid1(VALU_DEP_4)
	v_add3_u32 v47, v42, v47, 0x7fff
	v_cndmask_b32_e64 v44, 0x7fc00000, |v14|, vcc_lo
	v_cmp_o_f32_e32 vcc_lo, v45, v45
	v_and_b32_e32 v48, 0xffff0000, v13
	v_cndmask_b32_e64 v45, 0x7fc00000, |v46|, vcc_lo
	v_add_co_u32 v13, vcc_lo, s3, v15
	v_add_co_ci_u32_e32 v14, vcc_lo, s39, v16, vcc_lo
	v_cmp_o_f32_e32 vcc_lo, v43, v43
	v_and_b32_e32 v15, 0xffff0000, v47
	v_max3_f32 v4, v4, v44, v45
	v_add_co_u32 v40, s3, v40, s24
	v_cndmask_b32_e64 v16, 0x7fc00000, |v48|, vcc_lo
	v_cmp_o_f32_e32 vcc_lo, v42, v42
	v_add_co_ci_u32_e64 v41, s3, s25, v41, s3
	v_cndmask_b32_e64 v15, 0x7fc00000, |v15|, vcc_lo
	v_add_co_u32 v38, vcc_lo, v38, s24
	v_add_co_ci_u32_e32 v39, vcc_lo, s25, v39, vcc_lo
	v_cmp_ge_i64_e32 vcc_lo, v[13:14], v[9:10]
	s_delay_alu instid0(VALU_DEP_4)
	v_max3_f32 v4, v4, v15, v16
	s_or_not1_b32 s3, vcc_lo, exec_lo
	s_branch .LBB68_18
.LBB68_25:
	s_or_b32 exec_lo, exec_lo, s27
.LBB68_26:
	s_delay_alu instid0(SALU_CYCLE_1)
	s_or_b32 exec_lo, exec_lo, s13
	s_lshr_b32 s15, s35, 5
	v_lshlrev_b32_e32 v29, 2, v0
	v_cvt_f32_u32_e32 v9, s15
	s_sub_i32 s8, 0, s15
	s_add_i32 s9, s12, s15
	s_delay_alu instid0(SALU_CYCLE_1) | instskip(NEXT) | instid1(VALU_DEP_1)
	s_add_i32 s9, s9, -1
	v_rcp_iflag_f32_e32 v9, v9
	s_abs_i32 s13, s9
	s_ashr_i32 s9, s9, 31
	ds_store_b32 v29, v4
	s_waitcnt lgkmcnt(0)
	s_barrier
	buffer_gl0_inv
	v_mul_f32_e32 v9, 0x4f7ffffe, v9
	s_delay_alu instid0(VALU_DEP_1) | instskip(NEXT) | instid1(VALU_DEP_1)
	v_cvt_u32_f32_e32 v9, v9
	v_readfirstlane_b32 s3, v9
	s_delay_alu instid0(VALU_DEP_1) | instskip(NEXT) | instid1(SALU_CYCLE_1)
	s_mul_i32 s8, s8, s3
	s_mul_hi_u32 s8, s3, s8
	s_delay_alu instid0(SALU_CYCLE_1) | instskip(NEXT) | instid1(SALU_CYCLE_1)
	s_add_i32 s3, s3, s8
	s_mul_hi_u32 s3, s13, s3
	s_delay_alu instid0(SALU_CYCLE_1) | instskip(NEXT) | instid1(SALU_CYCLE_1)
	s_mul_i32 s8, s3, s15
	s_sub_i32 s8, s13, s8
	s_add_i32 s13, s3, 1
	s_sub_i32 s24, s8, s15
	s_cmp_ge_u32 s8, s15
	s_cselect_b32 s3, s13, s3
	s_cselect_b32 s8, s24, s8
	s_add_i32 s13, s3, 1
	s_cmp_ge_u32 s8, s15
	s_cselect_b32 s3, s13, s3
	s_delay_alu instid0(SALU_CYCLE_1) | instskip(NEXT) | instid1(SALU_CYCLE_1)
	s_xor_b32 s3, s3, s9
	s_sub_i32 s8, s3, s9
	s_delay_alu instid0(SALU_CYCLE_1) | instskip(NEXT) | instid1(SALU_CYCLE_1)
	s_ashr_i32 s9, s8, 31
	v_cmp_lt_i64_e64 s3, s[8:9], 1
	s_delay_alu instid0(VALU_DEP_1)
	s_and_b32 vcc_lo, exec_lo, s3
	s_cbranch_vccnz .LBB68_46
; %bb.27:
	v_lshrrev_b32_e32 v9, 5, v0
	v_and_b32_e32 v4, 31, v0
	s_ashr_i32 s13, s12, 31
	s_mov_b64 s[24:25], 0
	s_mov_b64 s[26:27], src_shared_base
	v_mul_lo_u32 v19, s22, v9
	v_add_co_u32 v11, s3, v4, 16
	s_delay_alu instid0(VALU_DEP_1) | instskip(SKIP_1) | instid1(VALU_DEP_1)
	v_add_co_ci_u32_e64 v12, null, 0, 0, s3
	v_add_co_u32 v13, s3, v4, 8
	v_add_co_ci_u32_e64 v14, null, 0, 0, s3
	v_add_co_u32 v15, s3, v4, 4
	v_dual_mov_b32 v10, 0 :: v_dual_lshlrev_b32 v21, 2, v19
	v_lshlrev_b32_e32 v22, 2, v4
	v_add_co_ci_u32_e64 v16, null, 0, 0, s3
	v_add_co_u32 v17, s3, v4, 2
	s_delay_alu instid0(VALU_DEP_1) | instskip(SKIP_1) | instid1(VALU_DEP_1)
	v_add_co_ci_u32_e64 v18, null, 0, 0, s3
	v_add_co_u32 v19, s3, v4, 1
	v_add_co_ci_u32_e64 v20, null, 0, 0, s3
	v_add3_u32 v30, v21, v22, 0x80
	s_mul_i32 s3, s22, s15
	s_delay_alu instid0(SALU_CYCLE_1)
	s_lshl_b32 s28, s3, 2
	s_branch .LBB68_30
.LBB68_28:                              ;   in Loop: Header=BB68_30 Depth=1
	s_or_b32 exec_lo, exec_lo, s3
	v_mov_b32_e32 v22, s27
	flat_load_b32 v21, v[21:22] glc dlc
	s_waitcnt vmcnt(0)
.LBB68_29:                              ;   in Loop: Header=BB68_30 Depth=1
	s_or_b32 exec_lo, exec_lo, s26
	s_add_u32 s24, s24, 1
	v_add_nc_u32_e32 v30, s28, v30
	s_addc_u32 s25, s25, 0
	s_delay_alu instid0(SALU_CYCLE_1)
	s_cmp_eq_u64 s[24:25], s[8:9]
	s_cbranch_scc1 .LBB68_46
.LBB68_30:                              ; =>This Loop Header: Depth=1
                                        ;     Child Loop BB68_33 Depth 2
	s_waitcnt lgkmcnt(0)
	v_mad_u64_u32 v[21:22], null, s24, s15, v[9:10]
	s_mov_b32 s26, exec_lo
	s_delay_alu instid0(VALU_DEP_1) | instskip(NEXT) | instid1(VALU_DEP_1)
	v_mad_u64_u32 v[23:24], null, s25, s15, v[22:23]
	v_mov_b32_e32 v22, v23
	s_delay_alu instid0(VALU_DEP_1)
	v_cmpx_gt_i64_e64 s[12:13], v[21:22]
	s_cbranch_execz .LBB68_29
; %bb.31:                               ;   in Loop: Header=BB68_30 Depth=1
	v_mul_lo_u32 v24, v22, s22
	v_mul_lo_u32 v25, v21, s23
	v_mad_u64_u32 v[22:23], null, v21, s22, 0
	s_delay_alu instid0(VALU_DEP_1) | instskip(NEXT) | instid1(VALU_DEP_2)
	v_add3_u32 v23, v23, v25, v24
	v_add_co_u32 v24, vcc_lo, v22, s22
	v_add_co_u32 v31, s3, v22, v4
	s_delay_alu instid0(VALU_DEP_3) | instskip(SKIP_2) | instid1(VALU_DEP_2)
	v_add_co_ci_u32_e32 v25, vcc_lo, s23, v23, vcc_lo
	v_add_co_ci_u32_e64 v21, s3, 0, v23, s3
	s_mov_b32 s3, exec_lo
	v_cmp_gt_i64_e32 vcc_lo, s[20:21], v[24:25]
	v_cndmask_b32_e32 v25, s21, v25, vcc_lo
	v_cndmask_b32_e32 v24, s20, v24, vcc_lo
	v_add_co_u32 v26, vcc_lo, v31, 32
	v_add_co_ci_u32_e32 v27, vcc_lo, 0, v21, vcc_lo
	v_lshlrev_b32_e32 v21, 2, v31
	s_delay_alu instid0(VALU_DEP_2)
	v_cmpx_lt_i64_e64 v[26:27], v[24:25]
	s_cbranch_execz .LBB68_34
; %bb.32:                               ;   in Loop: Header=BB68_30 Depth=1
	ds_load_b32 v33, v21
	v_mov_b32_e32 v32, v30
	s_mov_b32 s29, 0
.LBB68_33:                              ;   Parent Loop BB68_30 Depth=1
                                        ; =>  This Inner Loop Header: Depth=2
	ds_load_b32 v34, v32
	v_add_co_u32 v26, vcc_lo, v26, 32
	v_add_co_ci_u32_e32 v27, vcc_lo, 0, v27, vcc_lo
	s_waitcnt lgkmcnt(1)
	v_dual_max_f32 v33, v33, v33 :: v_dual_add_nc_u32 v32, 0x80, v32
	s_delay_alu instid0(VALU_DEP_2) | instskip(SKIP_3) | instid1(VALU_DEP_1)
	v_cmp_ge_i64_e32 vcc_lo, v[26:27], v[24:25]
	s_or_b32 s29, vcc_lo, s29
	s_waitcnt lgkmcnt(0)
	v_max_f32_e32 v34, v34, v34
	v_max_f32_e32 v33, v33, v34
	ds_store_b32 v21, v33
	s_and_not1_b32 exec_lo, exec_lo, s29
	s_cbranch_execnz .LBB68_33
.LBB68_34:                              ;   in Loop: Header=BB68_30 Depth=1
	s_or_b32 exec_lo, exec_lo, s3
	v_sub_co_u32 v22, vcc_lo, v24, v22
	v_sub_co_ci_u32_e32 v23, vcc_lo, v25, v23, vcc_lo
	s_mov_b32 s3, exec_lo
	s_delay_alu instid0(VALU_DEP_1) | instskip(SKIP_1) | instid1(VALU_DEP_1)
	v_cmp_gt_i64_e32 vcc_lo, 32, v[22:23]
	v_dual_cndmask_b32 v24, 0, v23 :: v_dual_cndmask_b32 v23, 32, v22
	v_cmpx_lt_i64_e64 v[11:12], v[23:24]
	s_cbranch_execz .LBB68_36
; %bb.35:                               ;   in Loop: Header=BB68_30 Depth=1
	v_dual_mov_b32 v22, s27 :: v_dual_add_nc_u32 v25, 64, v21
	v_mov_b32_e32 v26, s27
	flat_load_b32 v27, v[21:22] glc dlc
	s_waitcnt vmcnt(0)
	flat_load_b32 v25, v[25:26] glc dlc
	s_waitcnt vmcnt(0) lgkmcnt(0)
	v_dual_max_f32 v26, v27, v27 :: v_dual_max_f32 v25, v25, v25
	s_delay_alu instid0(VALU_DEP_1)
	v_max_f32_e32 v25, v26, v25
	flat_store_b32 v[21:22], v25 dlc
	s_waitcnt_vscnt null, 0x0
.LBB68_36:                              ;   in Loop: Header=BB68_30 Depth=1
	s_or_b32 exec_lo, exec_lo, s3
	s_delay_alu instid0(SALU_CYCLE_1)
	s_mov_b32 s3, exec_lo
	v_cmpx_lt_i64_e64 v[13:14], v[23:24]
	s_cbranch_execz .LBB68_38
; %bb.37:                               ;   in Loop: Header=BB68_30 Depth=1
	v_dual_mov_b32 v22, s27 :: v_dual_add_nc_u32 v25, 32, v21
	v_mov_b32_e32 v26, s27
	flat_load_b32 v27, v[21:22] glc dlc
	s_waitcnt vmcnt(0)
	flat_load_b32 v25, v[25:26] glc dlc
	s_waitcnt vmcnt(0) lgkmcnt(0)
	v_dual_max_f32 v26, v27, v27 :: v_dual_max_f32 v25, v25, v25
	s_delay_alu instid0(VALU_DEP_1)
	v_max_f32_e32 v25, v26, v25
	flat_store_b32 v[21:22], v25 dlc
	s_waitcnt_vscnt null, 0x0
.LBB68_38:                              ;   in Loop: Header=BB68_30 Depth=1
	s_or_b32 exec_lo, exec_lo, s3
	s_delay_alu instid0(SALU_CYCLE_1)
	s_mov_b32 s3, exec_lo
	v_cmpx_ge_i64_e64 v[15:16], v[23:24]
	s_xor_b32 s3, exec_lo, s3
; %bb.39:                               ;   in Loop: Header=BB68_30 Depth=1
                                        ; implicit-def: $vgpr21
; %bb.40:                               ;   in Loop: Header=BB68_30 Depth=1
	s_delay_alu instid0(SALU_CYCLE_1)
	s_and_not1_saveexec_b32 s3, s3
	s_cbranch_execz .LBB68_42
; %bb.41:                               ;   in Loop: Header=BB68_30 Depth=1
	v_dual_mov_b32 v22, s27 :: v_dual_add_nc_u32 v25, 16, v21
	v_mov_b32_e32 v26, s27
	flat_load_b32 v27, v[21:22] glc dlc
	s_waitcnt vmcnt(0)
	flat_load_b32 v25, v[25:26] glc dlc
	s_waitcnt vmcnt(0) lgkmcnt(0)
	v_dual_max_f32 v26, v27, v27 :: v_dual_max_f32 v25, v25, v25
	s_delay_alu instid0(VALU_DEP_1)
	v_max_f32_e32 v25, v26, v25
	flat_store_b32 v[21:22], v25 dlc
	s_waitcnt_vscnt null, 0x0
.LBB68_42:                              ;   in Loop: Header=BB68_30 Depth=1
	s_or_b32 exec_lo, exec_lo, s3
	v_lshlrev_b32_e32 v21, 2, v31
	s_mov_b32 s3, exec_lo
	v_cmpx_lt_i64_e64 v[17:18], v[23:24]
	s_cbranch_execz .LBB68_44
; %bb.43:                               ;   in Loop: Header=BB68_30 Depth=1
	s_delay_alu instid0(VALU_DEP_2)
	v_dual_mov_b32 v22, s27 :: v_dual_add_nc_u32 v25, 8, v21
	v_mov_b32_e32 v26, s27
	flat_load_b32 v27, v[21:22] glc dlc
	s_waitcnt vmcnt(0)
	flat_load_b32 v25, v[25:26] glc dlc
	s_waitcnt vmcnt(0) lgkmcnt(0)
	v_dual_max_f32 v26, v27, v27 :: v_dual_max_f32 v25, v25, v25
	s_delay_alu instid0(VALU_DEP_1)
	v_max_f32_e32 v25, v26, v25
	flat_store_b32 v[21:22], v25 dlc
	s_waitcnt_vscnt null, 0x0
.LBB68_44:                              ;   in Loop: Header=BB68_30 Depth=1
	s_or_b32 exec_lo, exec_lo, s3
	s_delay_alu instid0(SALU_CYCLE_1)
	s_mov_b32 s3, exec_lo
	v_cmpx_lt_i64_e64 v[19:20], v[23:24]
	s_cbranch_execz .LBB68_28
; %bb.45:                               ;   in Loop: Header=BB68_30 Depth=1
	v_dual_mov_b32 v22, s27 :: v_dual_add_nc_u32 v23, 4, v21
	v_mov_b32_e32 v24, s27
	flat_load_b32 v25, v[21:22] glc dlc
	s_waitcnt vmcnt(0)
	flat_load_b32 v23, v[23:24] glc dlc
	s_waitcnt vmcnt(0) lgkmcnt(0)
	v_dual_max_f32 v24, v25, v25 :: v_dual_max_f32 v23, v23, v23
	s_delay_alu instid0(VALU_DEP_1)
	v_max_f32_e32 v23, v24, v23
	flat_store_b32 v[21:22], v23 dlc
	s_waitcnt_vscnt null, 0x0
	s_branch .LBB68_28
.LBB68_46:
	s_load_b64 s[8:9], s[0:1], 0x40
	v_cmp_lt_i64_e32 vcc_lo, v[7:8], v[5:6]
	v_cmp_eq_u32_e64 s3, 0, v3
	s_waitcnt lgkmcnt(0)
	s_barrier
	buffer_gl0_inv
	s_and_b32 s12, s3, vcc_lo
	s_delay_alu instid0(SALU_CYCLE_1)
	s_and_saveexec_b32 s3, s12
	s_cbranch_execz .LBB68_53
; %bb.47:
	s_load_b64 s[0:1], s[0:1], 0x20
	ds_load_b32 v5, v29
	s_waitcnt lgkmcnt(0)
	s_cmp_eq_u64 s[0:1], 0
	s_cbranch_scc1 .LBB68_49
; %bb.48:
	s_load_b32 s0, s[0:1], 0x0
	v_max_f32_e32 v3, v5, v5
	s_waitcnt lgkmcnt(0)
	v_max_f32_e64 v4, s0, s0
	s_delay_alu instid0(VALU_DEP_1)
	v_min_f32_e32 v5, v3, v4
.LBB68_49:
	s_add_u32 s0, s8, s36
	s_addc_u32 s1, s9, 0
	s_add_u32 s12, s0, -1
	s_addc_u32 s13, s1, -1
	s_delay_alu instid0(SALU_CYCLE_1) | instskip(SKIP_1) | instid1(SALU_CYCLE_1)
	s_or_b64 s[20:21], s[12:13], s[8:9]
	s_mov_b32 s20, 0
	s_cmp_lg_u64 s[20:21], 0
	s_cbranch_scc0 .LBB68_66
; %bb.50:
	s_ashr_i32 s0, s9, 31
	s_delay_alu instid0(SALU_CYCLE_1) | instskip(SKIP_2) | instid1(SALU_CYCLE_1)
	s_add_u32 s22, s8, s0
	s_mov_b32 s1, s0
	s_addc_u32 s23, s9, s0
	s_xor_b64 s[0:1], s[22:23], s[0:1]
	s_delay_alu instid0(SALU_CYCLE_1) | instskip(SKIP_3) | instid1(VALU_DEP_1)
	v_cvt_f32_u32_e32 v3, s0
	v_cvt_f32_u32_e32 v4, s1
	s_sub_u32 s22, 0, s0
	s_subb_u32 s23, 0, s1
	v_fmamk_f32 v3, v4, 0x4f800000, v3
	s_delay_alu instid0(VALU_DEP_1) | instskip(SKIP_2) | instid1(VALU_DEP_1)
	v_rcp_f32_e32 v3, v3
	s_waitcnt_depctr 0xfff
	v_mul_f32_e32 v3, 0x5f7ffffc, v3
	v_mul_f32_e32 v4, 0x2f800000, v3
	s_delay_alu instid0(VALU_DEP_1) | instskip(NEXT) | instid1(VALU_DEP_1)
	v_trunc_f32_e32 v4, v4
	v_fmamk_f32 v3, v4, 0xcf800000, v3
	v_cvt_u32_f32_e32 v4, v4
	s_delay_alu instid0(VALU_DEP_2) | instskip(NEXT) | instid1(VALU_DEP_2)
	v_cvt_u32_f32_e32 v3, v3
	v_readfirstlane_b32 s15, v4
	s_delay_alu instid0(VALU_DEP_2) | instskip(NEXT) | instid1(VALU_DEP_2)
	v_readfirstlane_b32 s21, v3
	s_mul_i32 s24, s22, s15
	s_delay_alu instid0(VALU_DEP_1)
	s_mul_hi_u32 s26, s22, s21
	s_mul_i32 s25, s23, s21
	s_add_i32 s24, s26, s24
	s_mul_i32 s27, s22, s21
	s_add_i32 s24, s24, s25
	s_mul_hi_u32 s26, s21, s27
	s_mul_hi_u32 s28, s15, s27
	s_mul_i32 s25, s15, s27
	s_mul_hi_u32 s27, s21, s24
	s_mul_i32 s21, s21, s24
	s_mul_hi_u32 s29, s15, s24
	s_add_u32 s21, s26, s21
	s_addc_u32 s26, 0, s27
	s_add_u32 s21, s21, s25
	s_mul_i32 s24, s15, s24
	s_addc_u32 s21, s26, s28
	s_addc_u32 s25, s29, 0
	s_add_u32 s21, s21, s24
	s_addc_u32 s24, 0, s25
	v_add_co_u32 v3, s21, v3, s21
	s_delay_alu instid0(VALU_DEP_1) | instskip(SKIP_1) | instid1(VALU_DEP_1)
	s_cmp_lg_u32 s21, 0
	s_addc_u32 s15, s15, s24
	v_readfirstlane_b32 s21, v3
	s_mul_i32 s24, s22, s15
	s_delay_alu instid0(VALU_DEP_1)
	s_mul_hi_u32 s25, s22, s21
	s_mul_i32 s23, s23, s21
	s_add_i32 s24, s25, s24
	s_mul_i32 s22, s22, s21
	s_add_i32 s24, s24, s23
	s_mul_hi_u32 s25, s15, s22
	s_mul_i32 s26, s15, s22
	s_mul_hi_u32 s22, s21, s22
	s_mul_hi_u32 s27, s21, s24
	s_mul_i32 s21, s21, s24
	s_mul_hi_u32 s23, s15, s24
	s_add_u32 s21, s22, s21
	s_addc_u32 s22, 0, s27
	s_add_u32 s21, s21, s26
	s_mul_i32 s24, s15, s24
	s_addc_u32 s21, s22, s25
	s_addc_u32 s22, s23, 0
	s_add_u32 s21, s21, s24
	s_addc_u32 s22, 0, s22
	v_add_co_u32 v3, s21, v3, s21
	s_delay_alu instid0(VALU_DEP_1) | instskip(SKIP_2) | instid1(VALU_DEP_1)
	s_cmp_lg_u32 s21, 0
	s_addc_u32 s15, s15, s22
	s_ashr_i32 s22, s13, 31
	v_readfirstlane_b32 s21, v3
	s_add_u32 s24, s12, s22
	s_mov_b32 s23, s22
	s_addc_u32 s25, s13, s22
	s_delay_alu instid0(SALU_CYCLE_1) | instskip(NEXT) | instid1(SALU_CYCLE_1)
	s_xor_b64 s[24:25], s[24:25], s[22:23]
	s_mul_i32 s26, s24, s15
	s_mul_hi_u32 s27, s24, s21
	s_mul_hi_u32 s23, s24, s15
	s_mul_hi_u32 s29, s25, s21
	s_mul_i32 s21, s25, s21
	s_add_u32 s26, s27, s26
	s_addc_u32 s23, 0, s23
	s_mul_hi_u32 s28, s25, s15
	s_add_u32 s21, s26, s21
	s_mul_i32 s15, s25, s15
	s_addc_u32 s21, s23, s29
	s_addc_u32 s23, s28, 0
	s_add_u32 s15, s21, s15
	s_addc_u32 s21, 0, s23
	s_mul_hi_u32 s23, s0, s15
	s_mul_i32 s21, s0, s21
	s_mul_i32 s26, s1, s15
	;; [unrolled: 1-line block ×3, first 2 shown]
	s_add_i32 s21, s23, s21
	v_sub_co_u32 v3, s15, s24, s15
	s_add_i32 s21, s21, s26
	s_delay_alu instid0(SALU_CYCLE_1) | instskip(SKIP_1) | instid1(VALU_DEP_1)
	s_sub_i32 s23, s25, s21
	s_cmp_lg_u32 s15, 0
	v_sub_co_u32 v4, s24, v3, s0
	s_subb_u32 s23, s23, s1
	s_cmp_lg_u32 s24, 0
	s_subb_u32 s26, s23, 0
	s_delay_alu instid0(VALU_DEP_1)
	v_cmp_le_u32_e32 vcc_lo, s0, v4
	s_cmp_ge_u32 s26, s1
	s_cselect_b32 s27, -1, 0
	s_cmp_eq_u32 s26, s1
	v_cndmask_b32_e64 v6, 0, -1, vcc_lo
	s_cselect_b32 vcc_lo, -1, 0
	s_cmp_lg_u32 s24, 0
	v_sub_co_u32 v7, s24, v4, s0
	s_subb_u32 s23, s23, s1
	s_cmp_lg_u32 s24, 0
	v_cndmask_b32_e32 v6, s27, v6, vcc_lo
	s_subb_u32 s23, s23, 0
	s_cmp_lg_u32 s15, 0
	v_cmp_le_u32_e32 vcc_lo, s0, v3
	s_subb_u32 s15, s25, s21
	s_delay_alu instid0(SALU_CYCLE_1)
	s_cmp_ge_u32 s15, s1
	v_cndmask_b32_e64 v8, 0, -1, vcc_lo
	s_cselect_b32 s21, -1, 0
	s_cmp_eq_u32 s15, s1
	v_cmp_ne_u32_e32 vcc_lo, 0, v6
	v_mov_b32_e32 v6, s23
	s_cselect_b32 s0, -1, 0
	s_delay_alu instid0(SALU_CYCLE_1) | instskip(SKIP_1) | instid1(VALU_DEP_3)
	v_cndmask_b32_e64 v8, s21, v8, s0
	v_cndmask_b32_e32 v4, v4, v7, vcc_lo
	v_cndmask_b32_e32 v6, s26, v6, vcc_lo
	s_delay_alu instid0(VALU_DEP_3) | instskip(NEXT) | instid1(VALU_DEP_3)
	v_cmp_ne_u32_e32 vcc_lo, 0, v8
	v_cndmask_b32_e32 v3, v3, v4, vcc_lo
	s_delay_alu instid0(VALU_DEP_3) | instskip(NEXT) | instid1(VALU_DEP_2)
	v_cndmask_b32_e32 v6, s15, v6, vcc_lo
	v_xor_b32_e32 v3, s22, v3
	s_delay_alu instid0(VALU_DEP_2) | instskip(NEXT) | instid1(VALU_DEP_2)
	v_xor_b32_e32 v4, s22, v6
	v_sub_co_u32 v3, vcc_lo, v3, s22
	s_delay_alu instid0(VALU_DEP_2)
	v_subrev_co_ci_u32_e32 v4, vcc_lo, s22, v4, vcc_lo
	s_and_not1_b32 vcc_lo, exec_lo, s20
	s_cbranch_vccnz .LBB68_52
.LBB68_51:
	v_cvt_f32_u32_e32 v3, s8
	s_sub_i32 s0, 0, s8
	s_delay_alu instid0(VALU_DEP_1) | instskip(SKIP_2) | instid1(VALU_DEP_1)
	v_rcp_iflag_f32_e32 v3, v3
	s_waitcnt_depctr 0xfff
	v_mul_f32_e32 v3, 0x4f7ffffe, v3
	v_cvt_u32_f32_e32 v3, v3
	s_delay_alu instid0(VALU_DEP_1) | instskip(NEXT) | instid1(VALU_DEP_1)
	v_mul_lo_u32 v4, s0, v3
	v_mul_hi_u32 v4, v3, v4
	s_delay_alu instid0(VALU_DEP_1) | instskip(NEXT) | instid1(VALU_DEP_1)
	v_add_nc_u32_e32 v3, v3, v4
	v_mul_hi_u32 v3, s12, v3
	s_delay_alu instid0(VALU_DEP_1) | instskip(NEXT) | instid1(VALU_DEP_1)
	v_mul_lo_u32 v3, v3, s8
	v_sub_nc_u32_e32 v3, s12, v3
	s_delay_alu instid0(VALU_DEP_1) | instskip(SKIP_1) | instid1(VALU_DEP_2)
	v_subrev_nc_u32_e32 v4, s8, v3
	v_cmp_le_u32_e32 vcc_lo, s8, v3
	v_cndmask_b32_e32 v3, v3, v4, vcc_lo
	s_delay_alu instid0(VALU_DEP_1) | instskip(SKIP_1) | instid1(VALU_DEP_2)
	v_subrev_nc_u32_e32 v4, s8, v3
	v_cmp_le_u32_e32 vcc_lo, s8, v3
	v_dual_cndmask_b32 v3, v3, v4 :: v_dual_mov_b32 v4, 0
.LBB68_52:
	v_div_scale_f32 v6, null, 0x42fe0000, 0x42fe0000, v5
	v_div_scale_f32 v9, vcc_lo, v5, 0x42fe0000, v5
	s_delay_alu instid0(VALU_DEP_3) | instskip(NEXT) | instid1(VALU_DEP_3)
	v_sub_co_u32 v10, s0, s12, v3
	v_rcp_f32_e32 v7, v6
	v_sub_co_ci_u32_e64 v3, s0, s13, v4, s0
	s_lshl_b64 s[0:1], s[16:17], 2
	s_delay_alu instid0(SALU_CYCLE_1) | instskip(NEXT) | instid1(VALU_DEP_1)
	s_add_u32 s0, s0, s6
	v_mul_lo_u32 v11, v3, v1
	s_addc_u32 s1, s1, s7
	s_waitcnt_depctr 0xfff
	v_fma_f32 v8, -v6, v7, 1.0
	s_delay_alu instid0(VALU_DEP_1) | instskip(NEXT) | instid1(VALU_DEP_1)
	v_fmac_f32_e32 v7, v8, v7
	v_mul_f32_e32 v8, v9, v7
	s_delay_alu instid0(VALU_DEP_1) | instskip(NEXT) | instid1(VALU_DEP_1)
	v_fma_f32 v4, -v6, v8, v9
	v_fmac_f32_e32 v8, v4, v7
	v_mul_lo_u32 v4, v10, v2
	v_mad_u64_u32 v[2:3], null, v10, v1, 0
	s_delay_alu instid0(VALU_DEP_3) | instskip(NEXT) | instid1(VALU_DEP_2)
	v_fma_f32 v1, -v6, v8, v9
	v_add3_u32 v3, v3, v4, v11
	s_delay_alu instid0(VALU_DEP_2) | instskip(NEXT) | instid1(VALU_DEP_1)
	v_div_fmas_f32 v1, v1, v7, v8
	v_div_fixup_f32 v4, v1, 0x42fe0000, v5
	s_delay_alu instid0(VALU_DEP_3) | instskip(NEXT) | instid1(VALU_DEP_2)
	v_lshlrev_b64 v[1:2], 2, v[2:3]
	v_max_f32_e32 v3, 0x34000000, v4
	s_delay_alu instid0(VALU_DEP_2) | instskip(NEXT) | instid1(VALU_DEP_3)
	v_add_co_u32 v1, vcc_lo, s0, v1
	v_add_co_ci_u32_e32 v2, vcc_lo, s1, v2, vcc_lo
	global_store_b32 v[1:2], v3, off
.LBB68_53:
	s_or_b32 exec_lo, exec_lo, s3
	s_waitcnt_vscnt null, 0x0
	s_barrier
	buffer_gl0_inv
	s_and_saveexec_b32 s0, s2
	s_cbranch_execz .LBB68_65
; %bb.54:
	s_add_u32 s0, s8, s36
	s_addc_u32 s1, s9, 0
	s_add_u32 s2, s0, -1
	s_addc_u32 s3, s1, -1
	s_delay_alu instid0(SALU_CYCLE_1) | instskip(SKIP_1) | instid1(SALU_CYCLE_1)
	s_or_b64 s[12:13], s[2:3], s[8:9]
	s_mov_b32 s12, 0
	s_cmp_lg_u64 s[12:13], 0
	s_cbranch_scc0 .LBB68_67
; %bb.55:
	s_ashr_i32 s0, s9, 31
	s_delay_alu instid0(SALU_CYCLE_1) | instskip(SKIP_2) | instid1(SALU_CYCLE_1)
	s_add_u32 s20, s8, s0
	s_mov_b32 s1, s0
	s_addc_u32 s21, s9, s0
	s_xor_b64 s[0:1], s[20:21], s[0:1]
	s_delay_alu instid0(SALU_CYCLE_1) | instskip(SKIP_3) | instid1(VALU_DEP_1)
	v_cvt_f32_u32_e32 v1, s0
	v_cvt_f32_u32_e32 v2, s1
	s_sub_u32 s15, 0, s0
	s_subb_u32 s20, 0, s1
	v_fmamk_f32 v1, v2, 0x4f800000, v1
	s_delay_alu instid0(VALU_DEP_1) | instskip(SKIP_2) | instid1(VALU_DEP_1)
	v_rcp_f32_e32 v1, v1
	s_waitcnt_depctr 0xfff
	v_mul_f32_e32 v1, 0x5f7ffffc, v1
	v_mul_f32_e32 v2, 0x2f800000, v1
	s_delay_alu instid0(VALU_DEP_1) | instskip(NEXT) | instid1(VALU_DEP_1)
	v_trunc_f32_e32 v2, v2
	v_fmamk_f32 v1, v2, 0xcf800000, v1
	v_cvt_u32_f32_e32 v2, v2
	s_delay_alu instid0(VALU_DEP_2) | instskip(NEXT) | instid1(VALU_DEP_2)
	v_cvt_u32_f32_e32 v1, v1
	v_readfirstlane_b32 s9, v2
	s_delay_alu instid0(VALU_DEP_2) | instskip(NEXT) | instid1(VALU_DEP_2)
	v_readfirstlane_b32 s13, v1
	s_mul_i32 s21, s15, s9
	s_delay_alu instid0(VALU_DEP_1)
	s_mul_hi_u32 s23, s15, s13
	s_mul_i32 s22, s20, s13
	s_add_i32 s21, s23, s21
	s_mul_i32 s24, s15, s13
	s_add_i32 s21, s21, s22
	s_mul_hi_u32 s23, s13, s24
	s_mul_hi_u32 s25, s9, s24
	s_mul_i32 s22, s9, s24
	s_mul_hi_u32 s24, s13, s21
	s_mul_i32 s13, s13, s21
	s_mul_hi_u32 s26, s9, s21
	s_add_u32 s13, s23, s13
	s_addc_u32 s23, 0, s24
	s_add_u32 s13, s13, s22
	s_mul_i32 s21, s9, s21
	s_addc_u32 s13, s23, s25
	s_addc_u32 s22, s26, 0
	s_add_u32 s13, s13, s21
	s_addc_u32 s21, 0, s22
	v_add_co_u32 v1, s13, v1, s13
	s_delay_alu instid0(VALU_DEP_1) | instskip(SKIP_1) | instid1(VALU_DEP_1)
	s_cmp_lg_u32 s13, 0
	s_addc_u32 s9, s9, s21
	v_readfirstlane_b32 s13, v1
	s_mul_i32 s21, s15, s9
	s_delay_alu instid0(VALU_DEP_1)
	s_mul_hi_u32 s22, s15, s13
	s_mul_i32 s20, s20, s13
	s_add_i32 s21, s22, s21
	s_mul_i32 s15, s15, s13
	s_add_i32 s21, s21, s20
	s_mul_hi_u32 s22, s9, s15
	s_mul_i32 s23, s9, s15
	s_mul_hi_u32 s15, s13, s15
	s_mul_hi_u32 s24, s13, s21
	s_mul_i32 s13, s13, s21
	s_mul_hi_u32 s20, s9, s21
	s_add_u32 s13, s15, s13
	s_addc_u32 s15, 0, s24
	s_add_u32 s13, s13, s23
	s_mul_i32 s21, s9, s21
	s_addc_u32 s13, s15, s22
	s_addc_u32 s15, s20, 0
	s_add_u32 s13, s13, s21
	s_addc_u32 s15, 0, s15
	v_add_co_u32 v1, s13, v1, s13
	s_delay_alu instid0(VALU_DEP_1) | instskip(SKIP_2) | instid1(VALU_DEP_1)
	s_cmp_lg_u32 s13, 0
	s_addc_u32 s9, s9, s15
	s_ashr_i32 s20, s3, 31
	v_readfirstlane_b32 s13, v1
	s_add_u32 s22, s2, s20
	s_mov_b32 s21, s20
	s_addc_u32 s23, s3, s20
	s_delay_alu instid0(SALU_CYCLE_1) | instskip(NEXT) | instid1(SALU_CYCLE_1)
	s_xor_b64 s[22:23], s[22:23], s[20:21]
	s_mul_i32 s21, s22, s9
	s_mul_hi_u32 s24, s22, s13
	s_mul_hi_u32 s15, s22, s9
	;; [unrolled: 1-line block ×3, first 2 shown]
	s_mul_i32 s13, s23, s13
	s_add_u32 s21, s24, s21
	s_addc_u32 s15, 0, s15
	s_mul_hi_u32 s25, s23, s9
	s_add_u32 s13, s21, s13
	s_mul_i32 s9, s23, s9
	s_addc_u32 s13, s15, s26
	s_addc_u32 s15, s25, 0
	s_add_u32 s9, s13, s9
	s_addc_u32 s13, 0, s15
	s_mul_hi_u32 s15, s0, s9
	s_mul_i32 s13, s0, s13
	s_mul_i32 s21, s1, s9
	;; [unrolled: 1-line block ×3, first 2 shown]
	s_add_i32 s13, s15, s13
	v_sub_co_u32 v1, s9, s22, s9
	s_add_i32 s13, s13, s21
	s_delay_alu instid0(SALU_CYCLE_1) | instskip(SKIP_1) | instid1(VALU_DEP_1)
	s_sub_i32 s15, s23, s13
	s_cmp_lg_u32 s9, 0
	v_sub_co_u32 v2, s21, v1, s0
	s_subb_u32 s15, s15, s1
	s_cmp_lg_u32 s21, 0
	s_subb_u32 s22, s15, 0
	s_delay_alu instid0(VALU_DEP_1)
	v_cmp_le_u32_e32 vcc_lo, s0, v2
	s_cmp_ge_u32 s22, s1
	s_cselect_b32 s24, -1, 0
	s_cmp_eq_u32 s22, s1
	v_cndmask_b32_e64 v3, 0, -1, vcc_lo
	s_cselect_b32 vcc_lo, -1, 0
	s_cmp_lg_u32 s21, 0
	v_sub_co_u32 v4, s21, v2, s0
	s_subb_u32 s15, s15, s1
	s_cmp_lg_u32 s21, 0
	v_cndmask_b32_e32 v3, s24, v3, vcc_lo
	s_subb_u32 s15, s15, 0
	s_cmp_lg_u32 s9, 0
	v_cmp_le_u32_e32 vcc_lo, s0, v1
	s_subb_u32 s9, s23, s13
	s_delay_alu instid0(SALU_CYCLE_1)
	s_cmp_ge_u32 s9, s1
	v_cndmask_b32_e64 v5, 0, -1, vcc_lo
	s_cselect_b32 s13, -1, 0
	s_cmp_eq_u32 s9, s1
	v_cmp_ne_u32_e32 vcc_lo, 0, v3
	v_mov_b32_e32 v3, s15
	s_cselect_b32 s0, -1, 0
	s_delay_alu instid0(SALU_CYCLE_1) | instskip(SKIP_1) | instid1(VALU_DEP_3)
	v_cndmask_b32_e64 v5, s13, v5, s0
	v_cndmask_b32_e32 v2, v2, v4, vcc_lo
	v_cndmask_b32_e32 v3, s22, v3, vcc_lo
	s_delay_alu instid0(VALU_DEP_3) | instskip(NEXT) | instid1(VALU_DEP_3)
	v_cmp_ne_u32_e32 vcc_lo, 0, v5
	v_cndmask_b32_e32 v1, v1, v2, vcc_lo
	s_delay_alu instid0(VALU_DEP_3) | instskip(NEXT) | instid1(VALU_DEP_2)
	v_cndmask_b32_e32 v3, s9, v3, vcc_lo
	v_xor_b32_e32 v1, s20, v1
	s_delay_alu instid0(VALU_DEP_2) | instskip(NEXT) | instid1(VALU_DEP_2)
	v_xor_b32_e32 v2, s20, v3
	v_sub_co_u32 v1, vcc_lo, v1, s20
	s_delay_alu instid0(VALU_DEP_2)
	v_subrev_co_ci_u32_e32 v2, vcc_lo, s20, v2, vcc_lo
	s_and_not1_b32 vcc_lo, exec_lo, s12
	s_cbranch_vccnz .LBB68_57
.LBB68_56:
	v_cvt_f32_u32_e32 v1, s8
	s_sub_i32 s0, 0, s8
	s_delay_alu instid0(VALU_DEP_1) | instskip(SKIP_2) | instid1(VALU_DEP_1)
	v_rcp_iflag_f32_e32 v1, v1
	s_waitcnt_depctr 0xfff
	v_mul_f32_e32 v1, 0x4f7ffffe, v1
	v_cvt_u32_f32_e32 v1, v1
	s_delay_alu instid0(VALU_DEP_1) | instskip(NEXT) | instid1(VALU_DEP_1)
	v_mul_lo_u32 v2, s0, v1
	v_mul_hi_u32 v2, v1, v2
	s_delay_alu instid0(VALU_DEP_1) | instskip(NEXT) | instid1(VALU_DEP_1)
	v_add_nc_u32_e32 v1, v1, v2
	v_mul_hi_u32 v1, s2, v1
	s_delay_alu instid0(VALU_DEP_1) | instskip(NEXT) | instid1(VALU_DEP_1)
	v_mul_lo_u32 v1, v1, s8
	v_sub_nc_u32_e32 v1, s2, v1
	s_delay_alu instid0(VALU_DEP_1) | instskip(SKIP_1) | instid1(VALU_DEP_2)
	v_subrev_nc_u32_e32 v2, s8, v1
	v_cmp_le_u32_e32 vcc_lo, s8, v1
	v_cndmask_b32_e32 v1, v1, v2, vcc_lo
	s_delay_alu instid0(VALU_DEP_1) | instskip(SKIP_1) | instid1(VALU_DEP_2)
	v_subrev_nc_u32_e32 v2, s8, v1
	v_cmp_le_u32_e32 vcc_lo, s8, v1
	v_dual_cndmask_b32 v1, v1, v2 :: v_dual_mov_b32 v2, 0
.LBB68_57:
	s_delay_alu instid0(VALU_DEP_1)
	v_sub_co_u32 v5, vcc_lo, s2, v1
	s_add_u32 s1, s4, s18
	s_addc_u32 s4, s5, s19
	s_lshl_b64 s[8:9], s[16:17], 2
	v_sub_co_ci_u32_e32 v6, vcc_lo, s3, v2, vcc_lo
	v_mov_b32_e32 v1, 0
	s_add_u32 s5, s6, s8
	s_addc_u32 s6, s7, s9
	s_mul_i32 s2, s35, 3
	s_lshl_b32 s3, s35, 1
	s_mov_b32 s7, 0
	s_add_i32 s8, s35, s35
                                        ; implicit-def: $sgpr9
	s_branch .LBB68_61
.LBB68_58:                              ;   in Loop: Header=BB68_61 Depth=1
	s_or_b32 exec_lo, exec_lo, s15
	s_delay_alu instid0(SALU_CYCLE_1)
	s_or_not1_b32 s0, s0, exec_lo
.LBB68_59:                              ;   in Loop: Header=BB68_61 Depth=1
	s_or_b32 exec_lo, exec_lo, s13
	s_delay_alu instid0(SALU_CYCLE_1) | instskip(SKIP_1) | instid1(SALU_CYCLE_1)
	s_and_not1_b32 s9, s9, exec_lo
	s_and_b32 s0, s0, exec_lo
	s_or_b32 s9, s9, s0
.LBB68_60:                              ;   in Loop: Header=BB68_61 Depth=1
	s_or_b32 exec_lo, exec_lo, s12
	s_delay_alu instid0(SALU_CYCLE_1) | instskip(NEXT) | instid1(SALU_CYCLE_1)
	s_and_b32 s0, exec_lo, s9
	s_or_b32 s7, s0, s7
	s_delay_alu instid0(SALU_CYCLE_1)
	s_and_not1_b32 exec_lo, exec_lo, s7
	s_cbranch_execz .LBB68_65
.LBB68_61:                              ; =>This Inner Loop Header: Depth=1
	v_lshlrev_b64 v[2:3], 3, v[0:1]
	v_bfe_u32 v17, v0, 5, 25
	s_or_b32 s9, s9, exec_lo
	s_mov_b32 s12, exec_lo
	s_delay_alu instid0(VALU_DEP_2) | instskip(NEXT) | instid1(VALU_DEP_3)
	v_add_co_u32 v7, vcc_lo, s30, v2
	v_add_co_ci_u32_e32 v8, vcc_lo, s31, v3, vcc_lo
	v_add_co_u32 v9, vcc_lo, s10, v2
	v_add_co_ci_u32_e32 v10, vcc_lo, s11, v3, vcc_lo
	global_load_b64 v[7:8], v[7:8], off
	v_add_co_u32 v11, vcc_lo, s33, v2
	v_add_co_ci_u32_e32 v12, vcc_lo, s34, v3, vcc_lo
	global_load_b64 v[2:3], v[9:10], off
	v_mad_u64_u32 v[9:10], null, v5, v17, 0
	global_load_b64 v[13:14], v[11:12], off
	v_mov_b32_e32 v4, v10
	s_delay_alu instid0(VALU_DEP_1) | instskip(SKIP_1) | instid1(VALU_DEP_1)
	v_mad_u64_u32 v[15:16], null, v6, v17, v[4:5]
	s_waitcnt vmcnt(2)
	v_dual_mov_b32 v10, v15 :: v_dual_lshlrev_b32 v17, 16, v7
	s_delay_alu instid0(VALU_DEP_1) | instskip(SKIP_2) | instid1(VALU_DEP_3)
	v_lshlrev_b64 v[9:10], 2, v[9:10]
	v_and_b32_e32 v15, 0xffff0000, v7
	v_alignbit_b32 v7, v8, v7, 16
	v_add_co_u32 v9, vcc_lo, s5, v9
	s_delay_alu instid0(VALU_DEP_4)
	v_add_co_ci_u32_e32 v10, vcc_lo, s6, v10, vcc_lo
	s_waitcnt vmcnt(0)
	v_and_b32_e32 v18, 0xffff0000, v13
	v_and_b32_e32 v8, 0xffff0000, v8
	;; [unrolled: 1-line block ×3, first 2 shown]
	global_load_b32 v4, v[9:10], off
	v_lshlrev_b64 v[9:10], 2, v[0:1]
	v_add_f32_e32 v15, v15, v18
	v_lshlrev_b32_e32 v19, 16, v13
	v_alignbit_b32 v13, v14, v13, 16
	s_delay_alu instid0(VALU_DEP_3) | instskip(NEXT) | instid1(VALU_DEP_2)
	v_mul_f32_e32 v21, v28, v15
	v_and_b32_e32 v13, 0xffff0000, v13
	v_and_b32_e32 v14, 0xffff0000, v14
	s_delay_alu instid0(VALU_DEP_3) | instskip(NEXT) | instid1(VALU_DEP_2)
	v_bfe_u32 v25, v21, 16, 1
	v_dual_add_f32 v7, v7, v13 :: v_dual_add_f32 v8, v8, v14
	v_dual_add_f32 v17, v17, v19 :: v_dual_and_b32 v16, 0xffff0000, v2
	v_lshlrev_b32_e32 v20, 16, v2
	v_bfe_u32 v14, v15, 16, 1
	s_delay_alu instid0(VALU_DEP_4) | instskip(SKIP_3) | instid1(VALU_DEP_4)
	v_bfe_u32 v18, v8, 16, 1
	v_alignbit_b32 v2, v3, v2, 16
	v_mul_f32_e32 v19, v28, v17
	v_dual_mul_f32 v22, v28, v8 :: v_dual_and_b32 v3, 0xffff0000, v3
	v_add3_u32 v18, v8, v18, 0x7fff
	v_add3_u32 v14, v15, v14, 0x7fff
	s_delay_alu instid0(VALU_DEP_4)
	v_bfe_u32 v24, v19, 16, 1
	v_mul_f32_e32 v26, v28, v7
	v_cmp_o_f32_e32 vcc_lo, v8, v8
	v_and_b32_e32 v18, 0xffff0000, v18
	v_and_b32_e32 v14, 0xffff0000, v14
	v_add3_u32 v24, v19, v24, 0x7fff
	v_add3_u32 v25, v21, v25, 0x7fff
	v_bfe_u32 v29, v26, 16, 1
	v_cndmask_b32_e32 v8, 0x7fc00000, v18, vcc_lo
	v_cmp_o_f32_e32 vcc_lo, v15, v15
	v_and_b32_e32 v18, 0xffff0000, v24
	v_and_b32_e32 v24, 0xffff0000, v25
	v_add3_u32 v25, v26, v29, 0x7fff
	v_bfe_u32 v27, v22, 16, 1
	v_cndmask_b32_e32 v14, 0x7fc00000, v14, vcc_lo
	v_cmp_o_f32_e32 vcc_lo, v19, v19
	v_cmp_o_f32_e64 s0, v26, v26
	v_bfe_u32 v13, v17, 16, 1
	v_add3_u32 v27, v22, v27, 0x7fff
	v_bfe_u32 v23, v7, 16, 1
	v_cndmask_b32_e32 v18, 0x7fc00000, v18, vcc_lo
	v_cmp_o_f32_e32 vcc_lo, v21, v21
	v_and_b32_e32 v21, 0xffff0000, v25
	v_add3_u32 v13, v17, v13, 0x7fff
	v_add3_u32 v23, v7, v23, 0x7fff
	v_mul_f32_e32 v18, v18, v20
	s_delay_alu instid0(VALU_DEP_4) | instskip(SKIP_2) | instid1(VALU_DEP_4)
	v_cndmask_b32_e64 v21, 0x7fc00000, v21, s0
	v_cndmask_b32_e32 v19, 0x7fc00000, v24, vcc_lo
	v_cmp_o_f32_e32 vcc_lo, v22, v22
	v_bfe_u32 v20, v18, 16, 1
	v_lshrrev_b32_e32 v13, 16, v13
	v_lshrrev_b32_e32 v23, 16, v23
	s_delay_alu instid0(VALU_DEP_3) | instskip(NEXT) | instid1(VALU_DEP_1)
	v_add3_u32 v20, v18, v20, 0x7fff
	v_and_b32_e32 v20, 0xffff0000, v20
	s_waitcnt vmcnt(0)
	v_div_scale_f32 v30, null, v4, v4, 1.0
	s_delay_alu instid0(VALU_DEP_1) | instskip(SKIP_2) | instid1(VALU_DEP_1)
	v_rcp_f32_e32 v15, v30
	s_waitcnt_depctr 0xfff
	v_fma_f32 v24, -v30, v15, 1.0
	v_dual_fmac_f32 v15, v24, v15 :: v_dual_and_b32 v2, 0xffff0000, v2
	s_delay_alu instid0(VALU_DEP_1) | instskip(SKIP_1) | instid1(VALU_DEP_2)
	v_dual_mul_f32 v2, v21, v2 :: v_dual_and_b32 v27, 0xffff0000, v27
	v_mul_f32_e32 v16, v19, v16
	v_bfe_u32 v26, v2, 16, 1
	s_delay_alu instid0(VALU_DEP_3) | instskip(SKIP_1) | instid1(VALU_DEP_4)
	v_cndmask_b32_e32 v22, 0x7fc00000, v27, vcc_lo
	v_div_scale_f32 v25, vcc_lo, 1.0, v4, 1.0
	v_bfe_u32 v21, v16, 16, 1
	s_delay_alu instid0(VALU_DEP_3) | instskip(NEXT) | instid1(VALU_DEP_3)
	v_mul_f32_e32 v3, v22, v3
	v_mul_f32_e32 v19, v25, v15
	s_delay_alu instid0(VALU_DEP_3) | instskip(NEXT) | instid1(VALU_DEP_3)
	v_add3_u32 v21, v16, v21, 0x7fff
	v_bfe_u32 v24, v3, 16, 1
	s_delay_alu instid0(VALU_DEP_3) | instskip(NEXT) | instid1(VALU_DEP_1)
	v_fma_f32 v22, -v30, v19, v25
	v_fmac_f32_e32 v19, v22, v15
	s_delay_alu instid0(VALU_DEP_3) | instskip(SKIP_1) | instid1(VALU_DEP_3)
	v_add3_u32 v22, v3, v24, 0x7fff
	v_add3_u32 v24, v2, v26, 0x7fff
	v_fma_f32 v25, -v30, v19, v25
	s_delay_alu instid0(VALU_DEP_3) | instskip(NEXT) | instid1(VALU_DEP_3)
	v_and_b32_e32 v22, 0xffff0000, v22
	v_and_b32_e32 v24, 0xffff0000, v24
	s_delay_alu instid0(VALU_DEP_3) | instskip(SKIP_1) | instid1(VALU_DEP_2)
	v_div_fmas_f32 v15, v25, v15, v19
	v_cmp_o_f32_e32 vcc_lo, v18, v18
	v_div_fixup_f32 v4, v15, v4, 1.0
	v_cndmask_b32_e32 v18, 0x7fc00000, v20, vcc_lo
	v_cmp_o_f32_e32 vcc_lo, v2, v2
	v_and_b32_e32 v21, 0xffff0000, v21
	v_cndmask_b32_e32 v2, 0x7fc00000, v24, vcc_lo
	v_cmp_o_f32_e32 vcc_lo, v16, v16
	v_mul_f32_e32 v16, v4, v18
	s_delay_alu instid0(VALU_DEP_3) | instskip(SKIP_1) | instid1(VALU_DEP_2)
	v_dual_mul_f32 v2, v4, v2 :: v_dual_cndmask_b32 v15, 0x7fc00000, v21
	v_cmp_o_f32_e32 vcc_lo, v3, v3
	v_rndne_f32_e32 v2, v2
	s_delay_alu instid0(VALU_DEP_3) | instskip(SKIP_2) | instid1(VALU_DEP_3)
	v_mul_f32_e32 v15, v4, v15
	v_cndmask_b32_e32 v3, 0x7fc00000, v22, vcc_lo
	v_cmp_o_f32_e32 vcc_lo, v17, v17
	v_rndne_f32_e32 v15, v15
	s_delay_alu instid0(VALU_DEP_3) | instskip(SKIP_3) | instid1(VALU_DEP_4)
	v_mul_f32_e32 v3, v4, v3
	v_cndmask_b32_e32 v13, 0x7fc0, v13, vcc_lo
	v_cmp_o_f32_e32 vcc_lo, v7, v7
	v_rndne_f32_e32 v7, v16
	v_rndne_f32_e32 v3, v3
	s_delay_alu instid0(VALU_DEP_4) | instskip(SKIP_2) | instid1(VALU_DEP_2)
	v_or_b32_e32 v13, v13, v14
	v_cndmask_b32_e32 v4, 0x7fc0, v23, vcc_lo
	v_cmp_nlt_f32_e32 vcc_lo, 0x42fe0000, v2
	v_or3_b32 v4, 0, v4, v8
	v_cndmask_b32_e32 v16, 0x42fe0000, v2, vcc_lo
	v_cmp_nlt_f32_e32 vcc_lo, 0x42fe0000, v7
	v_cndmask_b32_e32 v17, 0x42fe0000, v7, vcc_lo
	v_cmp_nlt_f32_e32 vcc_lo, 0x42fe0000, v15
	v_cndmask_b32_e32 v18, 0x42fe0000, v15, vcc_lo
	v_cmp_ngt_f32_e32 vcc_lo, 0xc3000000, v2
	v_cndmask_b32_e32 v2, 0xc3000000, v16, vcc_lo
	v_cmp_nlt_f32_e32 vcc_lo, 0x42fe0000, v3
	s_delay_alu instid0(VALU_DEP_2) | instskip(SKIP_2) | instid1(VALU_DEP_3)
	v_cvt_i32_f32_e32 v2, v2
	v_cndmask_b32_e32 v16, 0x42fe0000, v3, vcc_lo
	v_cmp_ngt_f32_e32 vcc_lo, 0xc3000000, v15
	v_and_b32_e32 v2, 0xff, v2
	v_cndmask_b32_e32 v15, 0xc3000000, v18, vcc_lo
	v_cmp_ngt_f32_e32 vcc_lo, 0xc3000000, v7
	s_delay_alu instid0(VALU_DEP_3) | instskip(NEXT) | instid1(VALU_DEP_3)
	v_lshlrev_b32_e32 v2, 16, v2
	v_cvt_i32_f32_e32 v15, v15
	v_cndmask_b32_e32 v7, 0xc3000000, v17, vcc_lo
	v_cmp_ngt_f32_e32 vcc_lo, 0xc3000000, v3
	s_delay_alu instid0(VALU_DEP_3) | instskip(NEXT) | instid1(VALU_DEP_3)
	v_and_b32_e32 v15, 0xff, v15
	v_cvt_i32_f32_e32 v7, v7
	v_cndmask_b32_e32 v3, 0xc3000000, v16, vcc_lo
	s_delay_alu instid0(VALU_DEP_3) | instskip(NEXT) | instid1(VALU_DEP_2)
	v_lshlrev_b32_e32 v15, 8, v15
	v_cvt_i32_f32_e32 v14, v3
	v_or3_b32 v3, v13, 0, 0
	v_and_b32_e32 v13, 0xff, v7
	v_add_co_u32 v7, vcc_lo, s1, v9
	s_delay_alu instid0(VALU_DEP_4)
	v_lshl_or_b32 v14, v14, 24, v2
	v_add_nc_u32_e32 v2, s35, v0
	v_add_co_ci_u32_e32 v8, vcc_lo, s4, v10, vcc_lo
	global_store_b64 v[11:12], v[3:4], off
	v_or3_b32 v9, v14, v15, v13
	global_store_b32 v[7:8], v9, off
	v_cmpx_gt_u32_e64 s14, v2
	s_cbranch_execz .LBB68_60
; %bb.62:                               ;   in Loop: Header=BB68_61 Depth=1
	v_bfe_u32 v19, v2, 5, 25
	s_mov_b32 s13, exec_lo
	s_delay_alu instid0(VALU_DEP_1) | instskip(NEXT) | instid1(VALU_DEP_1)
	v_mad_u64_u32 v[13:14], null, v5, v19, 0
	v_dual_mov_b32 v3, v1 :: v_dual_mov_b32 v4, v14
	s_delay_alu instid0(VALU_DEP_1) | instskip(NEXT) | instid1(VALU_DEP_2)
	v_lshlrev_b64 v[7:8], 3, v[2:3]
	v_mad_u64_u32 v[17:18], null, v6, v19, v[4:5]
	s_delay_alu instid0(VALU_DEP_2) | instskip(NEXT) | instid1(VALU_DEP_3)
	v_add_co_u32 v9, vcc_lo, s30, v7
	v_add_co_ci_u32_e32 v10, vcc_lo, s31, v8, vcc_lo
	v_add_co_u32 v11, vcc_lo, s10, v7
	v_add_co_ci_u32_e32 v12, vcc_lo, s11, v8, vcc_lo
	;; [unrolled: 2-line block ×3, first 2 shown]
	global_load_b64 v[9:10], v[9:10], off
	global_load_b64 v[11:12], v[11:12], off
	v_mov_b32_e32 v14, v17
	global_load_b64 v[15:16], v[7:8], off
	v_lshlrev_b64 v[13:14], 2, v[13:14]
	s_delay_alu instid0(VALU_DEP_1) | instskip(NEXT) | instid1(VALU_DEP_2)
	v_add_co_u32 v13, vcc_lo, s5, v13
	v_add_co_ci_u32_e32 v14, vcc_lo, s6, v14, vcc_lo
	global_load_b32 v4, v[13:14], off
	v_lshlrev_b64 v[13:14], 2, v[2:3]
	s_waitcnt vmcnt(3)
	v_and_b32_e32 v3, 0xffff0000, v9
	s_waitcnt vmcnt(1)
	v_and_b32_e32 v19, 0xffff0000, v15
	v_lshlrev_b32_e32 v18, 16, v9
	v_alignbit_b32 v9, v10, v9, 16
	v_lshlrev_b32_e32 v20, 16, v15
	v_alignbit_b32 v15, v16, v15, 16
	s_delay_alu instid0(VALU_DEP_3) | instskip(NEXT) | instid1(VALU_DEP_2)
	v_and_b32_e32 v9, 0xffff0000, v9
	v_and_b32_e32 v15, 0xffff0000, v15
	s_delay_alu instid0(VALU_DEP_1) | instskip(SKIP_3) | instid1(VALU_DEP_2)
	v_dual_add_f32 v9, v9, v15 :: v_dual_and_b32 v10, 0xffff0000, v10
	v_and_b32_e32 v16, 0xffff0000, v16
	s_waitcnt vmcnt(0)
	v_div_scale_f32 v31, null, v4, v4, 1.0
	v_dual_mul_f32 v27, v28, v9 :: v_dual_add_f32 v10, v10, v16
	v_add_f32_e32 v3, v3, v19
	v_bfe_u32 v24, v9, 16, 1
	s_delay_alu instid0(VALU_DEP_3) | instskip(NEXT) | instid1(VALU_DEP_4)
	v_bfe_u32 v30, v27, 16, 1
	v_bfe_u32 v19, v10, 16, 1
	v_mul_f32_e32 v23, v28, v10
	v_dual_add_f32 v18, v18, v20 :: v_dual_and_b32 v17, 0xffff0000, v11
	v_cmp_o_f32_e32 vcc_lo, v10, v10
	s_delay_alu instid0(VALU_DEP_4)
	v_add3_u32 v19, v10, v19, 0x7fff
	v_lshlrev_b32_e32 v21, 16, v11
	v_bfe_u32 v16, v3, 16, 1
	v_mul_f32_e32 v20, v28, v18
	v_mul_f32_e32 v22, v28, v3
	v_and_b32_e32 v19, 0xffff0000, v19
	v_alignbit_b32 v11, v12, v11, 16
	v_add3_u32 v16, v3, v16, 0x7fff
	v_bfe_u32 v25, v20, 16, 1
	v_bfe_u32 v26, v22, 16, 1
	v_cndmask_b32_e32 v10, 0x7fc00000, v19, vcc_lo
	v_rcp_f32_e32 v19, v31
	v_and_b32_e32 v16, 0xffff0000, v16
	v_add3_u32 v25, v20, v25, 0x7fff
	v_cmp_o_f32_e32 vcc_lo, v3, v3
	v_cmp_o_f32_e64 s0, v20, v20
	v_bfe_u32 v29, v23, 16, 1
	v_add3_u32 v26, v22, v26, 0x7fff
	v_bfe_u32 v15, v18, 16, 1
	v_cndmask_b32_e32 v3, 0x7fc00000, v16, vcc_lo
	v_add3_u32 v24, v9, v24, 0x7fff
	v_fma_f32 v20, -v31, v19, 1.0
	v_and_b32_e32 v12, 0xffff0000, v12
	v_add3_u32 v29, v23, v29, 0x7fff
	v_add3_u32 v15, v18, v15, 0x7fff
	v_lshrrev_b32_e32 v24, 16, v24
	v_dual_fmac_f32 v19, v20, v19 :: v_dual_and_b32 v16, 0xffff0000, v25
	v_and_b32_e32 v25, 0xffff0000, v26
	v_add3_u32 v26, v27, v30, 0x7fff
	v_and_b32_e32 v29, 0xffff0000, v29
	v_div_scale_f32 v30, vcc_lo, 1.0, v4, 1.0
	v_cndmask_b32_e64 v16, 0x7fc00000, v16, s0
	v_cmp_o_f32_e64 s0, v22, v22
	v_lshrrev_b32_e32 v15, 16, v15
	s_delay_alu instid0(VALU_DEP_3) | instskip(NEXT) | instid1(VALU_DEP_3)
	v_mul_f32_e32 v16, v16, v21
	v_cndmask_b32_e64 v22, 0x7fc00000, v25, s0
	v_cmp_o_f32_e64 s0, v23, v23
	v_and_b32_e32 v25, 0xffff0000, v26
	v_mul_f32_e32 v21, v30, v19
	s_delay_alu instid0(VALU_DEP_4) | instskip(NEXT) | instid1(VALU_DEP_4)
	v_mul_f32_e32 v17, v22, v17
	v_cndmask_b32_e64 v23, 0x7fc00000, v29, s0
	v_cmp_o_f32_e64 s0, v27, v27
	v_and_b32_e32 v11, 0xffff0000, v11
	s_delay_alu instid0(VALU_DEP_4) | instskip(NEXT) | instid1(VALU_DEP_4)
	v_bfe_u32 v22, v17, 16, 1
	v_mul_f32_e32 v12, v23, v12
	s_delay_alu instid0(VALU_DEP_4)
	v_cndmask_b32_e64 v20, 0x7fc00000, v25, s0
	v_fma_f32 v23, -v31, v21, v30
	s_mov_b32 s0, -1
	v_add3_u32 v22, v17, v22, 0x7fff
	v_bfe_u32 v25, v12, 16, 1
	v_mul_f32_e32 v11, v20, v11
	v_bfe_u32 v20, v16, 16, 1
	s_delay_alu instid0(VALU_DEP_4) | instskip(NEXT) | instid1(VALU_DEP_4)
	v_dual_fmac_f32 v21, v23, v19 :: v_dual_and_b32 v22, 0xffff0000, v22
	v_add3_u32 v23, v12, v25, 0x7fff
	s_delay_alu instid0(VALU_DEP_3) | instskip(NEXT) | instid1(VALU_DEP_2)
	v_add3_u32 v20, v16, v20, 0x7fff
	v_and_b32_e32 v23, 0xffff0000, v23
	s_delay_alu instid0(VALU_DEP_2) | instskip(SKIP_1) | instid1(VALU_DEP_1)
	v_and_b32_e32 v20, 0xffff0000, v20
	v_bfe_u32 v26, v11, 16, 1
	v_add3_u32 v25, v11, v26, 0x7fff
	v_fma_f32 v26, -v31, v21, v30
	s_delay_alu instid0(VALU_DEP_2) | instskip(NEXT) | instid1(VALU_DEP_2)
	v_and_b32_e32 v25, 0xffff0000, v25
	v_div_fmas_f32 v19, v26, v19, v21
	v_cmp_o_f32_e32 vcc_lo, v16, v16
	s_delay_alu instid0(VALU_DEP_2) | instskip(SKIP_4) | instid1(VALU_DEP_2)
	v_div_fixup_f32 v4, v19, v4, 1.0
	v_cndmask_b32_e32 v16, 0x7fc00000, v20, vcc_lo
	v_cmp_o_f32_e32 vcc_lo, v11, v11
	v_cndmask_b32_e32 v11, 0x7fc00000, v25, vcc_lo
	v_cmp_o_f32_e32 vcc_lo, v17, v17
	v_mul_f32_e32 v11, v4, v11
	v_cndmask_b32_e32 v17, 0x7fc00000, v22, vcc_lo
	v_cmp_o_f32_e32 vcc_lo, v12, v12
	v_mul_f32_e32 v16, v4, v16
	s_delay_alu instid0(VALU_DEP_4) | instskip(NEXT) | instid1(VALU_DEP_4)
	v_rndne_f32_e32 v11, v11
	v_dual_mul_f32 v17, v4, v17 :: v_dual_cndmask_b32 v12, 0x7fc00000, v23
	v_cmp_o_f32_e32 vcc_lo, v18, v18
	s_delay_alu instid0(VALU_DEP_2) | instskip(SKIP_3) | instid1(VALU_DEP_4)
	v_dual_mul_f32 v4, v4, v12 :: v_dual_cndmask_b32 v15, 0x7fc0, v15
	v_cmp_o_f32_e32 vcc_lo, v9, v9
	v_rndne_f32_e32 v12, v16
	v_rndne_f32_e32 v16, v17
	;; [unrolled: 1-line block ×3, first 2 shown]
	v_or_b32_e32 v3, v15, v3
	v_cndmask_b32_e32 v9, 0x7fc0, v24, vcc_lo
	v_cmp_nlt_f32_e32 vcc_lo, 0x42fe0000, v11
	s_delay_alu instid0(VALU_DEP_2)
	v_or3_b32 v10, 0, v9, v10
	v_cndmask_b32_e32 v17, 0x42fe0000, v11, vcc_lo
	v_cmp_nlt_f32_e32 vcc_lo, 0x42fe0000, v12
	v_or3_b32 v9, v3, 0, 0
	v_add_nc_u32_e32 v3, s3, v0
	v_cndmask_b32_e32 v18, 0x42fe0000, v12, vcc_lo
	v_cmp_nlt_f32_e32 vcc_lo, 0x42fe0000, v16
	global_store_b64 v[7:8], v[9:10], off
	v_cndmask_b32_e32 v19, 0x42fe0000, v16, vcc_lo
	v_cmp_ngt_f32_e32 vcc_lo, 0xc3000000, v11
	v_cndmask_b32_e32 v11, 0xc3000000, v17, vcc_lo
	v_cmp_nlt_f32_e32 vcc_lo, 0x42fe0000, v4
	s_delay_alu instid0(VALU_DEP_2) | instskip(SKIP_2) | instid1(VALU_DEP_3)
	v_cvt_i32_f32_e32 v11, v11
	v_cndmask_b32_e32 v17, 0x42fe0000, v4, vcc_lo
	v_cmp_ngt_f32_e32 vcc_lo, 0xc3000000, v16
	v_and_b32_e32 v11, 0xff, v11
	v_cndmask_b32_e32 v16, 0xc3000000, v19, vcc_lo
	v_cmp_ngt_f32_e32 vcc_lo, 0xc3000000, v12
	s_delay_alu instid0(VALU_DEP_3) | instskip(NEXT) | instid1(VALU_DEP_3)
	v_lshlrev_b32_e32 v11, 16, v11
	v_cvt_i32_f32_e32 v16, v16
	s_delay_alu instid0(VALU_DEP_1) | instskip(SKIP_2) | instid1(VALU_DEP_3)
	v_and_b32_e32 v15, 0xff, v16
	v_cndmask_b32_e32 v12, 0xc3000000, v18, vcc_lo
	v_cmp_ngt_f32_e32 vcc_lo, 0xc3000000, v4
	v_lshlrev_b32_e32 v15, 8, v15
	s_delay_alu instid0(VALU_DEP_3) | instskip(SKIP_1) | instid1(VALU_DEP_2)
	v_cvt_i32_f32_e32 v12, v12
	v_cndmask_b32_e32 v4, 0xc3000000, v17, vcc_lo
	v_and_b32_e32 v16, 0xff, v12
	s_delay_alu instid0(VALU_DEP_2) | instskip(NEXT) | instid1(VALU_DEP_1)
	v_cvt_i32_f32_e32 v4, v4
	v_lshl_or_b32 v4, v4, 24, v11
	v_add_co_u32 v11, vcc_lo, s1, v13
	v_add_co_ci_u32_e32 v12, vcc_lo, s4, v14, vcc_lo
	s_delay_alu instid0(VALU_DEP_3)
	v_or3_b32 v4, v4, v15, v16
	global_store_b32 v[11:12], v4, off
	v_cmpx_gt_u32_e64 s14, v3
	s_cbranch_execz .LBB68_59
; %bb.63:                               ;   in Loop: Header=BB68_61 Depth=1
	v_mov_b32_e32 v4, v1
	v_bfe_u32 v19, v3, 5, 25
	v_add_nc_u32_e32 v0, s2, v0
	s_mov_b32 s15, exec_lo
	s_delay_alu instid0(VALU_DEP_3) | instskip(NEXT) | instid1(VALU_DEP_3)
	v_lshlrev_b64 v[7:8], 3, v[3:4]
	v_mad_u64_u32 v[13:14], null, v5, v19, 0
	s_delay_alu instid0(VALU_DEP_2) | instskip(NEXT) | instid1(VALU_DEP_3)
	v_add_co_u32 v9, vcc_lo, s30, v7
	v_add_co_ci_u32_e32 v10, vcc_lo, s31, v8, vcc_lo
	v_add_co_u32 v11, vcc_lo, s10, v7
	v_add_co_ci_u32_e32 v12, vcc_lo, s11, v8, vcc_lo
	v_add_co_u32 v7, vcc_lo, s33, v7
	v_add_co_ci_u32_e32 v8, vcc_lo, s34, v8, vcc_lo
	global_load_b64 v[9:10], v[9:10], off
	global_load_b64 v[11:12], v[11:12], off
	;; [unrolled: 1-line block ×3, first 2 shown]
	s_waitcnt vmcnt(0)
	v_mad_u64_u32 v[17:18], null, v6, v19, v[14:15]
	v_lshlrev_b32_e32 v18, 16, v9
	s_delay_alu instid0(VALU_DEP_2)
	v_dual_mov_b32 v14, v17 :: v_dual_and_b32 v19, 0xffff0000, v15
	v_and_b32_e32 v17, 0xffff0000, v11
	v_lshlrev_b32_e32 v20, 16, v15
	v_alignbit_b32 v15, v16, v15, 16
	v_and_b32_e32 v16, 0xffff0000, v16
	v_lshlrev_b64 v[13:14], 2, v[13:14]
	v_lshlrev_b64 v[3:4], 2, v[3:4]
	s_delay_alu instid0(VALU_DEP_4) | instskip(NEXT) | instid1(VALU_DEP_3)
	v_and_b32_e32 v15, 0xffff0000, v15
	v_add_co_u32 v13, vcc_lo, s5, v13
	s_delay_alu instid0(VALU_DEP_4) | instskip(SKIP_3) | instid1(VALU_DEP_1)
	v_add_co_ci_u32_e32 v14, vcc_lo, s6, v14, vcc_lo
	global_load_b32 v13, v[13:14], off
	v_and_b32_e32 v14, 0xffff0000, v9
	v_alignbit_b32 v9, v10, v9, 16
	v_and_b32_e32 v9, 0xffff0000, v9
	s_delay_alu instid0(VALU_DEP_1) | instskip(NEXT) | instid1(VALU_DEP_4)
	v_add_f32_e32 v9, v9, v15
	v_add_f32_e32 v14, v14, v19
	s_delay_alu instid0(VALU_DEP_2) | instskip(SKIP_1) | instid1(VALU_DEP_2)
	v_dual_mul_f32 v27, v28, v9 :: v_dual_and_b32 v10, 0xffff0000, v10
	v_bfe_u32 v24, v9, 16, 1
	v_add_f32_e32 v10, v10, v16
	s_delay_alu instid0(VALU_DEP_4) | instskip(NEXT) | instid1(VALU_DEP_4)
	v_bfe_u32 v16, v14, 16, 1
	v_bfe_u32 v30, v27, 16, 1
	s_delay_alu instid0(VALU_DEP_4) | instskip(NEXT) | instid1(VALU_DEP_4)
	v_add3_u32 v24, v9, v24, 0x7fff
	v_bfe_u32 v19, v10, 16, 1
	v_mul_f32_e32 v23, v28, v10
	v_dual_add_f32 v18, v18, v20 :: v_dual_lshlrev_b32 v21, 16, v11
	v_alignbit_b32 v11, v12, v11, 16
	s_delay_alu instid0(VALU_DEP_4) | instskip(SKIP_2) | instid1(VALU_DEP_4)
	v_add3_u32 v19, v10, v19, 0x7fff
	v_mul_f32_e32 v22, v28, v14
	v_cmp_o_f32_e32 vcc_lo, v10, v10
	v_dual_mul_f32 v20, v28, v18 :: v_dual_and_b32 v11, 0xffff0000, v11
	s_delay_alu instid0(VALU_DEP_4) | instskip(SKIP_2) | instid1(VALU_DEP_4)
	v_and_b32_e32 v19, 0xffff0000, v19
	v_add3_u32 v16, v14, v16, 0x7fff
	v_bfe_u32 v26, v22, 16, 1
	v_bfe_u32 v25, v20, 16, 1
	v_cmp_o_f32_e64 s0, v20, v20
	v_cndmask_b32_e32 v10, 0x7fc00000, v19, vcc_lo
	v_and_b32_e32 v16, 0xffff0000, v16
	v_cmp_o_f32_e32 vcc_lo, v14, v14
	v_add3_u32 v25, v20, v25, 0x7fff
	v_bfe_u32 v29, v23, 16, 1
	v_add3_u32 v26, v22, v26, 0x7fff
	v_bfe_u32 v15, v18, 16, 1
	v_lshrrev_b32_e32 v24, 16, v24
	s_delay_alu instid0(VALU_DEP_4) | instskip(NEXT) | instid1(VALU_DEP_3)
	v_add3_u32 v29, v23, v29, 0x7fff
	v_add3_u32 v15, v18, v15, 0x7fff
	s_delay_alu instid0(VALU_DEP_1) | instskip(SKIP_2) | instid1(VALU_DEP_1)
	v_lshrrev_b32_e32 v15, 16, v15
	s_waitcnt vmcnt(0)
	v_div_scale_f32 v31, null, v13, v13, 1.0
	v_rcp_f32_e32 v19, v31
	s_waitcnt_depctr 0xfff
	v_fma_f32 v20, -v31, v19, 1.0
	s_delay_alu instid0(VALU_DEP_1) | instskip(SKIP_1) | instid1(VALU_DEP_1)
	v_dual_fmac_f32 v19, v20, v19 :: v_dual_cndmask_b32 v14, 0x7fc00000, v16
	v_and_b32_e32 v16, 0xffff0000, v25
	v_cndmask_b32_e64 v16, 0x7fc00000, v16, s0
	v_and_b32_e32 v25, 0xffff0000, v26
	v_add3_u32 v26, v27, v30, 0x7fff
	v_div_scale_f32 v30, vcc_lo, 1.0, v13, 1.0
	s_delay_alu instid0(VALU_DEP_4) | instskip(SKIP_1) | instid1(VALU_DEP_3)
	v_mul_f32_e32 v16, v16, v21
	v_cmp_o_f32_e64 s0, v22, v22
	v_dual_mul_f32 v21, v30, v19 :: v_dual_and_b32 v12, 0xffff0000, v12
	v_and_b32_e32 v29, 0xffff0000, v29
	s_delay_alu instid0(VALU_DEP_3) | instskip(SKIP_2) | instid1(VALU_DEP_3)
	v_cndmask_b32_e64 v22, 0x7fc00000, v25, s0
	v_cmp_o_f32_e64 s0, v23, v23
	v_and_b32_e32 v25, 0xffff0000, v26
	v_mul_f32_e32 v17, v22, v17
	s_delay_alu instid0(VALU_DEP_3) | instskip(SKIP_1) | instid1(VALU_DEP_3)
	v_cndmask_b32_e64 v23, 0x7fc00000, v29, s0
	v_cmp_o_f32_e64 s0, v27, v27
	v_bfe_u32 v22, v17, 16, 1
	s_delay_alu instid0(VALU_DEP_3) | instskip(NEXT) | instid1(VALU_DEP_3)
	v_mul_f32_e32 v12, v23, v12
	v_cndmask_b32_e64 v20, 0x7fc00000, v25, s0
	v_fma_f32 v23, -v31, v21, v30
	s_mov_b32 s0, -1
	v_add3_u32 v22, v17, v22, 0x7fff
	v_bfe_u32 v25, v12, 16, 1
	v_mul_f32_e32 v11, v20, v11
	v_bfe_u32 v20, v16, 16, 1
	s_delay_alu instid0(VALU_DEP_4) | instskip(NEXT) | instid1(VALU_DEP_4)
	v_dual_fmac_f32 v21, v23, v19 :: v_dual_and_b32 v22, 0xffff0000, v22
	v_add3_u32 v23, v12, v25, 0x7fff
	s_delay_alu instid0(VALU_DEP_4) | instskip(NEXT) | instid1(VALU_DEP_4)
	v_bfe_u32 v26, v11, 16, 1
	v_add3_u32 v20, v16, v20, 0x7fff
	s_delay_alu instid0(VALU_DEP_2) | instskip(SKIP_1) | instid1(VALU_DEP_3)
	v_add3_u32 v25, v11, v26, 0x7fff
	v_fma_f32 v26, -v31, v21, v30
	v_and_b32_e32 v20, 0xffff0000, v20
	s_delay_alu instid0(VALU_DEP_3) | instskip(NEXT) | instid1(VALU_DEP_3)
	v_and_b32_e32 v25, 0xffff0000, v25
	v_div_fmas_f32 v19, v26, v19, v21
	v_cmp_o_f32_e32 vcc_lo, v16, v16
	s_delay_alu instid0(VALU_DEP_2) | instskip(SKIP_2) | instid1(VALU_DEP_2)
	v_div_fixup_f32 v13, v19, v13, 1.0
	v_cndmask_b32_e32 v16, 0x7fc00000, v20, vcc_lo
	v_cmp_o_f32_e32 vcc_lo, v11, v11
	v_dual_mul_f32 v16, v13, v16 :: v_dual_and_b32 v23, 0xffff0000, v23
	v_cndmask_b32_e32 v11, 0x7fc00000, v25, vcc_lo
	v_cmp_o_f32_e32 vcc_lo, v17, v17
	s_delay_alu instid0(VALU_DEP_2) | instskip(SKIP_2) | instid1(VALU_DEP_3)
	v_mul_f32_e32 v11, v13, v11
	v_cndmask_b32_e32 v17, 0x7fc00000, v22, vcc_lo
	v_cmp_o_f32_e32 vcc_lo, v12, v12
	v_rndne_f32_e32 v11, v11
	s_delay_alu instid0(VALU_DEP_3) | instskip(SKIP_1) | instid1(VALU_DEP_2)
	v_dual_mul_f32 v17, v13, v17 :: v_dual_cndmask_b32 v12, 0x7fc00000, v23
	v_cmp_o_f32_e32 vcc_lo, v18, v18
	v_dual_mul_f32 v12, v13, v12 :: v_dual_cndmask_b32 v15, 0x7fc0, v15
	v_cmp_o_f32_e32 vcc_lo, v9, v9
	v_rndne_f32_e32 v13, v16
	v_rndne_f32_e32 v16, v17
	s_delay_alu instid0(VALU_DEP_4) | instskip(SKIP_3) | instid1(VALU_DEP_2)
	v_rndne_f32_e32 v12, v12
	v_or_b32_e32 v14, v15, v14
	v_cndmask_b32_e32 v9, 0x7fc0, v24, vcc_lo
	v_cmp_nlt_f32_e32 vcc_lo, 0x42fe0000, v11
	v_or3_b32 v10, 0, v9, v10
	v_cndmask_b32_e32 v17, 0x42fe0000, v11, vcc_lo
	v_cmp_nlt_f32_e32 vcc_lo, 0x42fe0000, v13
	v_or3_b32 v9, v14, 0, 0
	v_cndmask_b32_e32 v18, 0x42fe0000, v13, vcc_lo
	v_cmp_nlt_f32_e32 vcc_lo, 0x42fe0000, v16
	global_store_b64 v[7:8], v[9:10], off
	v_cndmask_b32_e32 v19, 0x42fe0000, v16, vcc_lo
	v_cmp_ngt_f32_e32 vcc_lo, 0xc3000000, v11
	v_cndmask_b32_e32 v11, 0xc3000000, v17, vcc_lo
	v_cmp_nlt_f32_e32 vcc_lo, 0x42fe0000, v12
	s_delay_alu instid0(VALU_DEP_2) | instskip(SKIP_2) | instid1(VALU_DEP_3)
	v_cvt_i32_f32_e32 v11, v11
	v_cndmask_b32_e32 v17, 0x42fe0000, v12, vcc_lo
	v_cmp_ngt_f32_e32 vcc_lo, 0xc3000000, v16
	v_and_b32_e32 v11, 0xff, v11
	v_cndmask_b32_e32 v16, 0xc3000000, v19, vcc_lo
	v_cmp_ngt_f32_e32 vcc_lo, 0xc3000000, v13
	s_delay_alu instid0(VALU_DEP_3) | instskip(NEXT) | instid1(VALU_DEP_3)
	v_lshlrev_b32_e32 v11, 16, v11
	v_cvt_i32_f32_e32 v16, v16
	v_cndmask_b32_e32 v13, 0xc3000000, v18, vcc_lo
	v_cmp_ngt_f32_e32 vcc_lo, 0xc3000000, v12
	s_delay_alu instid0(VALU_DEP_3) | instskip(NEXT) | instid1(VALU_DEP_3)
	v_and_b32_e32 v15, 0xff, v16
	v_cvt_i32_f32_e32 v13, v13
	v_cndmask_b32_e32 v12, 0xc3000000, v17, vcc_lo
	v_add_co_u32 v3, vcc_lo, s1, v3
	s_delay_alu instid0(VALU_DEP_4) | instskip(NEXT) | instid1(VALU_DEP_4)
	v_lshlrev_b32_e32 v14, 8, v15
	v_and_b32_e32 v13, 0xff, v13
	s_delay_alu instid0(VALU_DEP_4) | instskip(SKIP_1) | instid1(VALU_DEP_2)
	v_cvt_i32_f32_e32 v12, v12
	v_add_co_ci_u32_e32 v4, vcc_lo, s4, v4, vcc_lo
	v_lshl_or_b32 v11, v12, 24, v11
	s_delay_alu instid0(VALU_DEP_1)
	v_or3_b32 v11, v11, v14, v13
	global_store_b32 v[3:4], v11, off
	v_cmpx_gt_u32_e64 s14, v0
	s_cbranch_execz .LBB68_58
; %bb.64:                               ;   in Loop: Header=BB68_61 Depth=1
	v_lshlrev_b64 v[3:4], 3, v[0:1]
	v_bfe_u32 v17, v0, 5, 25
	s_delay_alu instid0(VALU_DEP_1) | instskip(NEXT) | instid1(VALU_DEP_3)
	v_mad_u64_u32 v[11:12], null, v5, v17, 0
	v_add_co_u32 v7, vcc_lo, s30, v3
	s_delay_alu instid0(VALU_DEP_4)
	v_add_co_ci_u32_e32 v8, vcc_lo, s31, v4, vcc_lo
	v_add_co_u32 v9, vcc_lo, s10, v3
	v_add_co_ci_u32_e32 v10, vcc_lo, s11, v4, vcc_lo
	v_add_co_u32 v3, vcc_lo, s33, v3
	v_add_co_ci_u32_e32 v4, vcc_lo, s34, v4, vcc_lo
	global_load_b64 v[7:8], v[7:8], off
	global_load_b64 v[9:10], v[9:10], off
	;; [unrolled: 1-line block ×3, first 2 shown]
	s_waitcnt vmcnt(1)
	v_lshlrev_b32_e32 v20, 16, v9
	s_waitcnt vmcnt(0)
	v_mad_u64_u32 v[15:16], null, v6, v17, v[12:13]
	v_and_b32_e32 v18, 0xffff0000, v13
	v_lshlrev_b32_e32 v19, 16, v13
	v_lshlrev_b32_e32 v17, 16, v7
	v_alignbit_b32 v13, v14, v13, 16
	s_delay_alu instid0(VALU_DEP_1) | instskip(NEXT) | instid1(VALU_DEP_1)
	v_dual_mov_b32 v12, v15 :: v_dual_and_b32 v13, 0xffff0000, v13
	v_lshlrev_b64 v[11:12], 2, v[11:12]
	s_delay_alu instid0(VALU_DEP_1) | instskip(NEXT) | instid1(VALU_DEP_2)
	v_add_co_u32 v11, vcc_lo, s5, v11
	v_add_co_ci_u32_e32 v12, vcc_lo, s6, v12, vcc_lo
	global_load_b32 v15, v[11:12], off
	v_lshlrev_b64 v[11:12], 2, v[0:1]
	v_add3_u32 v0, s8, s35, v2
	v_and_b32_e32 v2, 0xffff0000, v7
	v_alignbit_b32 v7, v8, v7, 16
	s_delay_alu instid0(VALU_DEP_1) | instskip(NEXT) | instid1(VALU_DEP_1)
	v_and_b32_e32 v7, 0xffff0000, v7
	v_dual_add_f32 v7, v7, v13 :: v_dual_add_f32 v2, v2, v18
	v_dual_add_f32 v17, v17, v19 :: v_dual_and_b32 v16, 0xffff0000, v9
	v_alignbit_b32 v9, v10, v9, 16
	v_and_b32_e32 v8, 0xffff0000, v8
	s_delay_alu instid0(VALU_DEP_4)
	v_mul_f32_e32 v26, v28, v7
	v_mul_f32_e32 v21, v28, v2
	;; [unrolled: 1-line block ×3, first 2 shown]
	v_and_b32_e32 v9, 0xffff0000, v9
	v_and_b32_e32 v14, 0xffff0000, v14
	v_bfe_u32 v29, v26, 16, 1
	v_bfe_u32 v25, v21, 16, 1
	;; [unrolled: 1-line block ×3, first 2 shown]
	v_and_b32_e32 v10, 0xffff0000, v10
	v_add_f32_e32 v8, v8, v14
	v_bfe_u32 v14, v2, 16, 1
	v_add3_u32 v25, v21, v25, 0x7fff
	v_add3_u32 v24, v19, v24, 0x7fff
	v_cmp_o_f32_e64 s0, v26, v26
	v_bfe_u32 v18, v8, 16, 1
	v_add3_u32 v14, v2, v14, 0x7fff
	v_cmp_o_f32_e32 vcc_lo, v8, v8
	v_mul_f32_e32 v22, v28, v8
	v_bfe_u32 v13, v17, 16, 1
	v_add3_u32 v18, v8, v18, 0x7fff
	v_and_b32_e32 v14, 0xffff0000, v14
	v_bfe_u32 v23, v7, 16, 1
	v_bfe_u32 v27, v22, 16, 1
	v_add3_u32 v13, v17, v13, 0x7fff
	v_and_b32_e32 v18, 0xffff0000, v18
	s_delay_alu instid0(VALU_DEP_4) | instskip(NEXT) | instid1(VALU_DEP_4)
	v_add3_u32 v23, v7, v23, 0x7fff
	v_add3_u32 v27, v22, v27, 0x7fff
	s_delay_alu instid0(VALU_DEP_4) | instskip(NEXT) | instid1(VALU_DEP_4)
	v_lshrrev_b32_e32 v13, 16, v13
	v_cndmask_b32_e32 v8, 0x7fc00000, v18, vcc_lo
	v_cmp_o_f32_e32 vcc_lo, v2, v2
	v_and_b32_e32 v18, 0xffff0000, v24
	v_and_b32_e32 v24, 0xffff0000, v25
	v_add3_u32 v25, v26, v29, 0x7fff
	v_lshrrev_b32_e32 v23, 16, v23
	v_cndmask_b32_e32 v2, 0x7fc00000, v14, vcc_lo
	v_cmp_o_f32_e32 vcc_lo, v19, v19
	v_cndmask_b32_e32 v18, 0x7fc00000, v18, vcc_lo
	v_cmp_o_f32_e32 vcc_lo, v21, v21
	;; [unrolled: 2-line block ×3, first 2 shown]
	s_delay_alu instid0(VALU_DEP_4) | instskip(NEXT) | instid1(VALU_DEP_3)
	v_dual_mul_f32 v18, v18, v20 :: v_dual_and_b32 v21, 0xffff0000, v25
	v_mul_f32_e32 v16, v19, v16
	s_delay_alu instid0(VALU_DEP_2) | instskip(NEXT) | instid1(VALU_DEP_3)
	v_cndmask_b32_e64 v21, 0x7fc00000, v21, s0
	v_bfe_u32 v20, v18, 16, 1
	s_delay_alu instid0(VALU_DEP_2) | instskip(NEXT) | instid1(VALU_DEP_2)
	v_mul_f32_e32 v9, v21, v9
	v_add3_u32 v20, v18, v20, 0x7fff
	v_bfe_u32 v21, v16, 16, 1
	s_delay_alu instid0(VALU_DEP_3) | instskip(NEXT) | instid1(VALU_DEP_3)
	v_bfe_u32 v26, v9, 16, 1
	v_and_b32_e32 v20, 0xffff0000, v20
	s_delay_alu instid0(VALU_DEP_3) | instskip(NEXT) | instid1(VALU_DEP_1)
	v_add3_u32 v21, v16, v21, 0x7fff
	v_and_b32_e32 v21, 0xffff0000, v21
	s_waitcnt vmcnt(0)
	v_div_scale_f32 v30, null, v15, v15, 1.0
	s_delay_alu instid0(VALU_DEP_1) | instskip(SKIP_2) | instid1(VALU_DEP_1)
	v_rcp_f32_e32 v14, v30
	s_waitcnt_depctr 0xfff
	v_fma_f32 v24, -v30, v14, 1.0
	v_dual_fmac_f32 v14, v24, v14 :: v_dual_and_b32 v27, 0xffff0000, v27
	s_delay_alu instid0(VALU_DEP_1) | instskip(SKIP_1) | instid1(VALU_DEP_2)
	v_cndmask_b32_e32 v22, 0x7fc00000, v27, vcc_lo
	v_div_scale_f32 v25, vcc_lo, 1.0, v15, 1.0
	v_mul_f32_e32 v10, v22, v10
	s_delay_alu instid0(VALU_DEP_2) | instskip(NEXT) | instid1(VALU_DEP_2)
	v_mul_f32_e32 v19, v25, v14
	v_bfe_u32 v24, v10, 16, 1
	s_delay_alu instid0(VALU_DEP_2) | instskip(NEXT) | instid1(VALU_DEP_1)
	v_fma_f32 v22, -v30, v19, v25
	v_fmac_f32_e32 v19, v22, v14
	s_delay_alu instid0(VALU_DEP_3) | instskip(SKIP_1) | instid1(VALU_DEP_3)
	v_add3_u32 v22, v10, v24, 0x7fff
	v_add3_u32 v24, v9, v26, 0x7fff
	v_fma_f32 v25, -v30, v19, v25
	s_delay_alu instid0(VALU_DEP_3) | instskip(NEXT) | instid1(VALU_DEP_3)
	v_and_b32_e32 v22, 0xffff0000, v22
	v_and_b32_e32 v24, 0xffff0000, v24
	s_delay_alu instid0(VALU_DEP_3) | instskip(SKIP_1) | instid1(VALU_DEP_2)
	v_div_fmas_f32 v14, v25, v14, v19
	v_cmp_o_f32_e32 vcc_lo, v18, v18
	v_div_fixup_f32 v14, v14, v15, 1.0
	v_cndmask_b32_e32 v18, 0x7fc00000, v20, vcc_lo
	v_cmp_o_f32_e32 vcc_lo, v9, v9
	v_cndmask_b32_e32 v9, 0x7fc00000, v24, vcc_lo
	v_cmp_o_f32_e32 vcc_lo, v16, v16
	s_delay_alu instid0(VALU_DEP_4) | instskip(NEXT) | instid1(VALU_DEP_3)
	v_mul_f32_e32 v16, v14, v18
	v_mul_f32_e32 v9, v14, v9
	v_cndmask_b32_e32 v15, 0x7fc00000, v21, vcc_lo
	v_cmp_o_f32_e32 vcc_lo, v10, v10
	s_delay_alu instid0(VALU_DEP_3) | instskip(NEXT) | instid1(VALU_DEP_3)
	v_rndne_f32_e32 v9, v9
	v_dual_mul_f32 v15, v14, v15 :: v_dual_cndmask_b32 v10, 0x7fc00000, v22
	v_cmp_o_f32_e32 vcc_lo, v17, v17
	s_delay_alu instid0(VALU_DEP_2) | instskip(NEXT) | instid1(VALU_DEP_3)
	v_rndne_f32_e32 v15, v15
	v_dual_mul_f32 v10, v14, v10 :: v_dual_cndmask_b32 v13, 0x7fc0, v13
	v_cmp_o_f32_e32 vcc_lo, v7, v7
	v_rndne_f32_e32 v14, v16
	s_delay_alu instid0(VALU_DEP_3) | instskip(NEXT) | instid1(VALU_DEP_4)
	v_rndne_f32_e32 v10, v10
	v_or_b32_e32 v2, v13, v2
	v_cndmask_b32_e32 v7, 0x7fc0, v23, vcc_lo
	v_cmp_nlt_f32_e32 vcc_lo, 0x42fe0000, v9
	v_cndmask_b32_e32 v16, 0x42fe0000, v9, vcc_lo
	v_cmp_nlt_f32_e32 vcc_lo, 0x42fe0000, v14
	;; [unrolled: 2-line block ×3, first 2 shown]
	v_cndmask_b32_e32 v18, 0x42fe0000, v15, vcc_lo
	v_cmp_ngt_f32_e32 vcc_lo, 0xc3000000, v9
	v_cndmask_b32_e32 v9, 0xc3000000, v16, vcc_lo
	v_cmp_nlt_f32_e32 vcc_lo, 0x42fe0000, v10
	s_delay_alu instid0(VALU_DEP_2) | instskip(SKIP_2) | instid1(VALU_DEP_3)
	v_cvt_i32_f32_e32 v9, v9
	v_cndmask_b32_e32 v16, 0x42fe0000, v10, vcc_lo
	v_cmp_ngt_f32_e32 vcc_lo, 0xc3000000, v15
	v_and_b32_e32 v9, 0xff, v9
	v_cndmask_b32_e32 v15, 0xc3000000, v18, vcc_lo
	v_cmp_ngt_f32_e32 vcc_lo, 0xc3000000, v14
	s_delay_alu instid0(VALU_DEP_3) | instskip(SKIP_1) | instid1(VALU_DEP_4)
	v_lshlrev_b32_e32 v9, 16, v9
	v_or3_b32 v8, 0, v7, v8
	v_cvt_i32_f32_e32 v15, v15
	v_cndmask_b32_e32 v14, 0xc3000000, v17, vcc_lo
	v_cmp_ngt_f32_e32 vcc_lo, 0xc3000000, v10
	v_or3_b32 v7, v2, 0, 0
	s_delay_alu instid0(VALU_DEP_3)
	v_cvt_i32_f32_e32 v13, v14
	v_cndmask_b32_e32 v10, 0xc3000000, v16, vcc_lo
	v_and_b32_e32 v14, 0xff, v15
	global_store_b64 v[3:4], v[7:8], off
	v_and_b32_e32 v2, 0xff, v13
	v_cvt_i32_f32_e32 v10, v10
	v_lshlrev_b32_e32 v13, 8, v14
	s_delay_alu instid0(VALU_DEP_2) | instskip(SKIP_3) | instid1(VALU_DEP_4)
	v_lshl_or_b32 v14, v10, 24, v9
	v_add_co_u32 v9, vcc_lo, s1, v11
	v_add_co_ci_u32_e32 v10, vcc_lo, s4, v12, vcc_lo
	v_cmp_le_u32_e32 vcc_lo, s14, v0
	v_or3_b32 v2, v14, v13, v2
	s_or_not1_b32 s0, vcc_lo, exec_lo
	global_store_b32 v[9:10], v2, off
	s_branch .LBB68_58
.LBB68_65:
	s_nop 0
	s_sendmsg sendmsg(MSG_DEALLOC_VGPRS)
	s_endpgm
.LBB68_66:
                                        ; implicit-def: $vgpr3_vgpr4
	s_branch .LBB68_51
.LBB68_67:
                                        ; implicit-def: $vgpr1_vgpr2
	s_branch .LBB68_56
	.section	.rodata,"a",@progbits
	.p2align	6, 0x0
	.amdhsa_kernel _ZN4vllm31rms_norm_per_block_quant_kernelIN3c108BFloat16EaLb1ELb1ELi128EEEvPT0_PfPKT_S8_PKffiiPS6_l
		.amdhsa_group_segment_fixed_size 4228
		.amdhsa_private_segment_fixed_size 0
		.amdhsa_kernarg_size 328
		.amdhsa_user_sgpr_count 15
		.amdhsa_user_sgpr_dispatch_ptr 0
		.amdhsa_user_sgpr_queue_ptr 0
		.amdhsa_user_sgpr_kernarg_segment_ptr 1
		.amdhsa_user_sgpr_dispatch_id 0
		.amdhsa_user_sgpr_private_segment_size 0
		.amdhsa_wavefront_size32 1
		.amdhsa_uses_dynamic_stack 0
		.amdhsa_enable_private_segment 0
		.amdhsa_system_sgpr_workgroup_id_x 1
		.amdhsa_system_sgpr_workgroup_id_y 0
		.amdhsa_system_sgpr_workgroup_id_z 0
		.amdhsa_system_sgpr_workgroup_info 0
		.amdhsa_system_vgpr_workitem_id 0
		.amdhsa_next_free_vgpr 54
		.amdhsa_next_free_sgpr 43
		.amdhsa_reserve_vcc 1
		.amdhsa_float_round_mode_32 0
		.amdhsa_float_round_mode_16_64 0
		.amdhsa_float_denorm_mode_32 3
		.amdhsa_float_denorm_mode_16_64 3
		.amdhsa_dx10_clamp 1
		.amdhsa_ieee_mode 1
		.amdhsa_fp16_overflow 0
		.amdhsa_workgroup_processor_mode 1
		.amdhsa_memory_ordered 1
		.amdhsa_forward_progress 0
		.amdhsa_shared_vgpr_count 0
		.amdhsa_exception_fp_ieee_invalid_op 0
		.amdhsa_exception_fp_denorm_src 0
		.amdhsa_exception_fp_ieee_div_zero 0
		.amdhsa_exception_fp_ieee_overflow 0
		.amdhsa_exception_fp_ieee_underflow 0
		.amdhsa_exception_fp_ieee_inexact 0
		.amdhsa_exception_int_div_zero 0
	.end_amdhsa_kernel
	.section	.text._ZN4vllm31rms_norm_per_block_quant_kernelIN3c108BFloat16EaLb1ELb1ELi128EEEvPT0_PfPKT_S8_PKffiiPS6_l,"axG",@progbits,_ZN4vllm31rms_norm_per_block_quant_kernelIN3c108BFloat16EaLb1ELb1ELi128EEEvPT0_PfPKT_S8_PKffiiPS6_l,comdat
.Lfunc_end68:
	.size	_ZN4vllm31rms_norm_per_block_quant_kernelIN3c108BFloat16EaLb1ELb1ELi128EEEvPT0_PfPKT_S8_PKffiiPS6_l, .Lfunc_end68-_ZN4vllm31rms_norm_per_block_quant_kernelIN3c108BFloat16EaLb1ELb1ELi128EEEvPT0_PfPKT_S8_PKffiiPS6_l
                                        ; -- End function
	.section	.AMDGPU.csdata,"",@progbits
; Kernel info:
; codeLenInByte = 13928
; NumSgprs: 45
; NumVgprs: 54
; ScratchSize: 0
; MemoryBound: 0
; FloatMode: 240
; IeeeMode: 1
; LDSByteSize: 4228 bytes/workgroup (compile time only)
; SGPRBlocks: 5
; VGPRBlocks: 6
; NumSGPRsForWavesPerEU: 45
; NumVGPRsForWavesPerEU: 54
; Occupancy: 16
; WaveLimiterHint : 0
; COMPUTE_PGM_RSRC2:SCRATCH_EN: 0
; COMPUTE_PGM_RSRC2:USER_SGPR: 15
; COMPUTE_PGM_RSRC2:TRAP_HANDLER: 0
; COMPUTE_PGM_RSRC2:TGID_X_EN: 1
; COMPUTE_PGM_RSRC2:TGID_Y_EN: 0
; COMPUTE_PGM_RSRC2:TGID_Z_EN: 0
; COMPUTE_PGM_RSRC2:TIDIG_COMP_CNT: 0
	.section	.text._ZN4vllm31rms_norm_per_block_quant_kernelIN3c108BFloat16ENS1_13Float8_e4m3fnELb1ELb0ELi128EEEvPT0_PfPKT_S9_PKffiiPS7_l,"axG",@progbits,_ZN4vllm31rms_norm_per_block_quant_kernelIN3c108BFloat16ENS1_13Float8_e4m3fnELb1ELb0ELi128EEEvPT0_PfPKT_S9_PKffiiPS7_l,comdat
	.protected	_ZN4vllm31rms_norm_per_block_quant_kernelIN3c108BFloat16ENS1_13Float8_e4m3fnELb1ELb0ELi128EEEvPT0_PfPKT_S9_PKffiiPS7_l ; -- Begin function _ZN4vllm31rms_norm_per_block_quant_kernelIN3c108BFloat16ENS1_13Float8_e4m3fnELb1ELb0ELi128EEEvPT0_PfPKT_S9_PKffiiPS7_l
	.globl	_ZN4vllm31rms_norm_per_block_quant_kernelIN3c108BFloat16ENS1_13Float8_e4m3fnELb1ELb0ELi128EEEvPT0_PfPKT_S9_PKffiiPS7_l
	.p2align	8
	.type	_ZN4vllm31rms_norm_per_block_quant_kernelIN3c108BFloat16ENS1_13Float8_e4m3fnELb1ELb0ELi128EEEvPT0_PfPKT_S9_PKffiiPS7_l,@function
_ZN4vllm31rms_norm_per_block_quant_kernelIN3c108BFloat16ENS1_13Float8_e4m3fnELb1ELb0ELi128EEEvPT0_PfPKT_S9_PKffiiPS7_l: ; @_ZN4vllm31rms_norm_per_block_quant_kernelIN3c108BFloat16ENS1_13Float8_e4m3fnELb1ELb0ELi128EEEvPT0_PfPKT_S9_PKffiiPS7_l
; %bb.0:
	s_clause 0x2
	s_load_b128 s[16:19], s[0:1], 0x28
	s_load_b256 s[4:11], s[0:1], 0x0
	s_load_b64 s[26:27], s[0:1], 0x38
	v_mov_b32_e32 v6, 0
	s_waitcnt lgkmcnt(0)
	s_ashr_i32 s3, s18, 31
	s_mul_hi_u32 s12, s18, s15
	s_mul_i32 s3, s3, s15
	s_ashr_i32 s21, s17, 31
	s_mul_i32 s2, s18, s15
	s_add_i32 s3, s12, s3
	s_mul_hi_u32 s13, s17, s15
	s_mul_i32 s12, s21, s15
	s_lshl_b64 s[24:25], s[2:3], 1
	s_mul_i32 s18, s17, s15
	s_add_i32 s19, s13, s12
	s_add_u32 s14, s8, s24
	s_addc_u32 s30, s9, s25
	s_lshl_b64 s[28:29], s[18:19], 1
	s_mov_b32 s3, 0
	s_add_u32 s31, s26, s28
	s_addc_u32 s33, s27, s29
	s_ashr_i32 s12, s17, 2
	s_add_u32 s22, s0, 0x48
	v_cmp_gt_u32_e64 s2, s12, v0
	s_mov_b32 s20, s17
	s_addc_u32 s23, s1, 0
	s_delay_alu instid0(VALU_DEP_1)
	s_and_saveexec_b32 s13, s2
	s_cbranch_execz .LBB69_10
; %bb.1:
	s_load_b32 s17, s[22:23], 0x0
	v_dual_mov_b32 v2, 0 :: v_dual_mov_b32 v1, v0
	s_waitcnt lgkmcnt(0)
	s_cmp_lt_u32 s15, s17
	s_cselect_b32 s17, 12, 18
	s_delay_alu instid0(SALU_CYCLE_1)
	s_add_u32 s34, s22, s17
	s_addc_u32 s35, s23, 0
                                        ; implicit-def: $sgpr17
	global_load_u16 v7, v2, s[34:35]
	s_waitcnt vmcnt(0)
	v_lshlrev_b32_e32 v9, 1, v7
	v_mul_lo_u32 v8, v7, 3
	v_add_nc_u32_e32 v10, v7, v7
	v_mov_b32_e32 v6, v2
	s_branch .LBB69_5
.LBB69_2:                               ;   in Loop: Header=BB69_5 Depth=1
	s_or_b32 exec_lo, exec_lo, s36
	s_delay_alu instid0(SALU_CYCLE_1)
	s_or_not1_b32 s36, s37, exec_lo
.LBB69_3:                               ;   in Loop: Header=BB69_5 Depth=1
	s_or_b32 exec_lo, exec_lo, s35
	s_delay_alu instid0(SALU_CYCLE_1) | instskip(SKIP_1) | instid1(SALU_CYCLE_1)
	s_and_not1_b32 s17, s17, exec_lo
	s_and_b32 s35, s36, exec_lo
	s_or_b32 s17, s17, s35
.LBB69_4:                               ;   in Loop: Header=BB69_5 Depth=1
	s_or_b32 exec_lo, exec_lo, s34
	s_delay_alu instid0(SALU_CYCLE_1) | instskip(NEXT) | instid1(SALU_CYCLE_1)
	s_and_b32 s34, exec_lo, s17
	s_or_b32 s3, s34, s3
	s_delay_alu instid0(SALU_CYCLE_1)
	s_and_not1_b32 exec_lo, exec_lo, s3
	s_cbranch_execz .LBB69_9
.LBB69_5:                               ; =>This Inner Loop Header: Depth=1
	v_lshlrev_b64 v[3:4], 3, v[1:2]
	s_or_b32 s17, s17, exec_lo
	s_mov_b32 s34, exec_lo
	s_delay_alu instid0(VALU_DEP_1) | instskip(NEXT) | instid1(VALU_DEP_2)
	v_add_co_u32 v11, vcc_lo, s14, v3
	v_add_co_ci_u32_e32 v12, vcc_lo, s30, v4, vcc_lo
	v_add_co_u32 v3, vcc_lo, s31, v3
	v_add_co_ci_u32_e32 v4, vcc_lo, s33, v4, vcc_lo
	global_load_b64 v[11:12], v[11:12], off
	global_load_b64 v[3:4], v[3:4], off
	s_waitcnt vmcnt(1)
	v_lshlrev_b32_e32 v5, 16, v11
	s_waitcnt vmcnt(0)
	v_lshlrev_b32_e32 v13, 16, v3
	v_and_b32_e32 v14, 0xffff0000, v11
	v_alignbit_b32 v11, v12, v11, 16
	s_delay_alu instid0(VALU_DEP_3) | instskip(NEXT) | instid1(VALU_DEP_1)
	v_add_f32_e32 v5, v5, v13
	v_dual_fmac_f32 v6, v5, v5 :: v_dual_and_b32 v5, 0xffff0000, v12
	v_and_b32_e32 v15, 0xffff0000, v3
	v_alignbit_b32 v3, v4, v3, 16
	s_delay_alu instid0(VALU_DEP_1) | instskip(SKIP_1) | instid1(VALU_DEP_1)
	v_and_b32_e32 v3, 0xffff0000, v3
	v_and_b32_e32 v4, 0xffff0000, v4
	v_dual_add_f32 v4, v5, v4 :: v_dual_and_b32 v11, 0xffff0000, v11
	v_add_f32_e32 v13, v14, v15
	s_delay_alu instid0(VALU_DEP_1) | instskip(NEXT) | instid1(VALU_DEP_1)
	v_dual_add_f32 v3, v11, v3 :: v_dual_fmac_f32 v6, v13, v13
	v_fmac_f32_e32 v6, v3, v3
	s_delay_alu instid0(VALU_DEP_1) | instskip(NEXT) | instid1(VALU_DEP_1)
	v_dual_fmac_f32 v6, v4, v4 :: v_dual_add_nc_u32 v3, v1, v7
	v_cmpx_gt_u32_e64 s12, v3
	s_cbranch_execz .LBB69_4
; %bb.6:                                ;   in Loop: Header=BB69_5 Depth=1
	v_mov_b32_e32 v4, v2
	s_mov_b32 s36, -1
	s_mov_b32 s35, exec_lo
	s_delay_alu instid0(VALU_DEP_1) | instskip(NEXT) | instid1(VALU_DEP_1)
	v_lshlrev_b64 v[4:5], 3, v[3:4]
	v_add_co_u32 v11, vcc_lo, s14, v4
	s_delay_alu instid0(VALU_DEP_2)
	v_add_co_ci_u32_e32 v12, vcc_lo, s30, v5, vcc_lo
	v_add_co_u32 v4, vcc_lo, s31, v4
	v_add_co_ci_u32_e32 v5, vcc_lo, s33, v5, vcc_lo
	global_load_b64 v[11:12], v[11:12], off
	global_load_b64 v[4:5], v[4:5], off
	s_waitcnt vmcnt(1)
	v_lshlrev_b32_e32 v13, 16, v11
	v_and_b32_e32 v15, 0xffff0000, v11
	v_alignbit_b32 v11, v12, v11, 16
	v_and_b32_e32 v12, 0xffff0000, v12
	s_waitcnt vmcnt(0)
	v_lshlrev_b32_e32 v14, 16, v4
	v_and_b32_e32 v16, 0xffff0000, v4
	v_alignbit_b32 v4, v5, v4, 16
	s_delay_alu instid0(VALU_DEP_1) | instskip(SKIP_1) | instid1(VALU_DEP_1)
	v_and_b32_e32 v4, 0xffff0000, v4
	v_and_b32_e32 v5, 0xffff0000, v5
	v_add_f32_e32 v5, v12, v5
	v_add_f32_e32 v13, v13, v14
	s_delay_alu instid0(VALU_DEP_1) | instskip(SKIP_1) | instid1(VALU_DEP_2)
	v_dual_fmac_f32 v6, v13, v13 :: v_dual_and_b32 v11, 0xffff0000, v11
	v_add_f32_e32 v14, v15, v16
	v_add_f32_e32 v4, v11, v4
	s_delay_alu instid0(VALU_DEP_2) | instskip(NEXT) | instid1(VALU_DEP_1)
	v_fmac_f32_e32 v6, v14, v14
	v_fmac_f32_e32 v6, v4, v4
	v_add_nc_u32_e32 v4, v9, v1
	s_delay_alu instid0(VALU_DEP_2) | instskip(NEXT) | instid1(VALU_DEP_2)
	v_fmac_f32_e32 v6, v5, v5
	v_cmpx_gt_u32_e64 s12, v4
	s_cbranch_execz .LBB69_3
; %bb.7:                                ;   in Loop: Header=BB69_5 Depth=1
	v_mov_b32_e32 v5, v2
	v_add_nc_u32_e32 v1, v8, v1
	s_mov_b32 s37, -1
	s_mov_b32 s36, exec_lo
	s_delay_alu instid0(VALU_DEP_2) | instskip(NEXT) | instid1(VALU_DEP_1)
	v_lshlrev_b64 v[4:5], 3, v[4:5]
	v_add_co_u32 v11, vcc_lo, s14, v4
	s_delay_alu instid0(VALU_DEP_2)
	v_add_co_ci_u32_e32 v12, vcc_lo, s30, v5, vcc_lo
	v_add_co_u32 v4, vcc_lo, s31, v4
	v_add_co_ci_u32_e32 v5, vcc_lo, s33, v5, vcc_lo
	global_load_b64 v[11:12], v[11:12], off
	global_load_b64 v[4:5], v[4:5], off
	s_waitcnt vmcnt(1)
	v_and_b32_e32 v15, 0xffff0000, v11
	s_waitcnt vmcnt(0)
	v_lshlrev_b32_e32 v14, 16, v4
	v_and_b32_e32 v16, 0xffff0000, v4
	v_lshlrev_b32_e32 v13, 16, v11
	v_alignbit_b32 v11, v12, v11, 16
	v_alignbit_b32 v4, v5, v4, 16
	s_delay_alu instid0(VALU_DEP_3) | instskip(NEXT) | instid1(VALU_DEP_1)
	v_dual_add_f32 v13, v13, v14 :: v_dual_and_b32 v12, 0xffff0000, v12
	v_fmac_f32_e32 v6, v13, v13
	s_delay_alu instid0(VALU_DEP_4) | instskip(NEXT) | instid1(VALU_DEP_1)
	v_dual_add_f32 v14, v15, v16 :: v_dual_and_b32 v11, 0xffff0000, v11
	v_dual_fmac_f32 v6, v14, v14 :: v_dual_and_b32 v5, 0xffff0000, v5
	s_delay_alu instid0(VALU_DEP_1) | instskip(NEXT) | instid1(VALU_DEP_1)
	v_dual_add_f32 v5, v12, v5 :: v_dual_and_b32 v4, 0xffff0000, v4
	v_add_f32_e32 v4, v11, v4
	s_delay_alu instid0(VALU_DEP_1) | instskip(NEXT) | instid1(VALU_DEP_1)
	v_fmac_f32_e32 v6, v4, v4
	v_fmac_f32_e32 v6, v5, v5
	v_cmpx_gt_u32_e64 s12, v1
	s_xor_b32 s36, exec_lo, s36
	s_cbranch_execz .LBB69_2
; %bb.8:                                ;   in Loop: Header=BB69_5 Depth=1
	v_lshlrev_b64 v[4:5], 3, v[1:2]
	s_delay_alu instid0(VALU_DEP_1) | instskip(NEXT) | instid1(VALU_DEP_2)
	v_add_co_u32 v11, vcc_lo, s14, v4
	v_add_co_ci_u32_e32 v12, vcc_lo, s30, v5, vcc_lo
	v_add_co_u32 v4, vcc_lo, s31, v4
	v_add_co_ci_u32_e32 v5, vcc_lo, s33, v5, vcc_lo
	global_load_b64 v[11:12], v[11:12], off
	global_load_b64 v[4:5], v[4:5], off
	s_waitcnt vmcnt(0)
	v_lshlrev_b32_e32 v13, 16, v4
	v_and_b32_e32 v14, 0xffff0000, v11
	v_alignbit_b32 v15, v5, v4, 16
	v_and_b32_e32 v4, 0xffff0000, v4
	v_lshlrev_b32_e32 v1, 16, v11
	v_alignbit_b32 v11, v12, v11, 16
	v_and_b32_e32 v12, 0xffff0000, v12
	s_delay_alu instid0(VALU_DEP_3) | instskip(NEXT) | instid1(VALU_DEP_1)
	v_dual_add_f32 v4, v14, v4 :: v_dual_add_f32 v1, v1, v13
	v_dual_fmac_f32 v6, v1, v1 :: v_dual_and_b32 v13, 0xffff0000, v15
	s_delay_alu instid0(VALU_DEP_4) | instskip(SKIP_1) | instid1(VALU_DEP_2)
	v_and_b32_e32 v11, 0xffff0000, v11
	v_add3_u32 v1, v10, v7, v3
	v_dual_fmac_f32 v6, v4, v4 :: v_dual_add_f32 v11, v11, v13
	v_and_b32_e32 v5, 0xffff0000, v5
	s_delay_alu instid0(VALU_DEP_3) | instskip(NEXT) | instid1(VALU_DEP_2)
	v_cmp_le_u32_e32 vcc_lo, s12, v1
	v_dual_fmac_f32 v6, v11, v11 :: v_dual_add_f32 v3, v12, v5
	s_or_not1_b32 s37, vcc_lo, exec_lo
	s_delay_alu instid0(VALU_DEP_1)
	v_fmac_f32_e32 v6, v3, v3
	s_branch .LBB69_2
.LBB69_9:
	s_or_b32 exec_lo, exec_lo, s3
.LBB69_10:
	s_delay_alu instid0(SALU_CYCLE_1) | instskip(SKIP_3) | instid1(VALU_DEP_2)
	s_or_b32 exec_lo, exec_lo, s13
	v_mbcnt_lo_u32_b32 v1, -1, 0
	s_load_b32 s3, s[22:23], 0xc
	v_and_b32_e32 v7, 0x3e0, v0
	v_cmp_ne_u32_e32 vcc_lo, 31, v1
	v_add_nc_u32_e32 v3, 1, v1
	v_add_co_ci_u32_e32 v2, vcc_lo, 0, v1, vcc_lo
	v_cmp_gt_u32_e32 vcc_lo, 30, v1
	s_delay_alu instid0(VALU_DEP_2)
	v_lshlrev_b32_e32 v2, 2, v2
	v_cndmask_b32_e64 v5, 0, 1, vcc_lo
	ds_bpermute_b32 v4, v2, v6
	s_waitcnt lgkmcnt(0)
	s_and_b32 s34, s3, 0xffff
	v_lshlrev_b32_e32 v5, 1, v5
	v_sub_nc_u32_e64 v12, s34, v7 clamp
	s_mov_b32 s3, exec_lo
	s_delay_alu instid0(VALU_DEP_1) | instskip(SKIP_2) | instid1(VALU_DEP_2)
	v_cmp_lt_u32_e32 vcc_lo, v3, v12
	v_add_f32_e32 v7, v6, v4
	v_add_lshl_u32 v4, v5, v1, 2
	v_cndmask_b32_e32 v7, v6, v7, vcc_lo
	v_cmp_gt_u32_e32 vcc_lo, 28, v1
	v_cndmask_b32_e64 v5, 0, 1, vcc_lo
	s_delay_alu instid0(VALU_DEP_1) | instskip(SKIP_2) | instid1(VALU_DEP_1)
	v_lshlrev_b32_e32 v8, 2, v5
	ds_bpermute_b32 v6, v4, v7
	v_add_nc_u32_e32 v5, 2, v1
	v_cmp_lt_u32_e32 vcc_lo, v5, v12
	s_waitcnt lgkmcnt(0)
	v_add_f32_e32 v9, v7, v6
	v_add_lshl_u32 v6, v8, v1, 2
	s_delay_alu instid0(VALU_DEP_2) | instskip(SKIP_3) | instid1(VALU_DEP_1)
	v_cndmask_b32_e32 v9, v7, v9, vcc_lo
	v_cmp_gt_u32_e32 vcc_lo, 24, v1
	ds_bpermute_b32 v8, v6, v9
	v_cndmask_b32_e64 v7, 0, 1, vcc_lo
	v_lshlrev_b32_e32 v10, 3, v7
	v_add_nc_u32_e32 v7, 4, v1
	s_delay_alu instid0(VALU_DEP_1) | instskip(SKIP_3) | instid1(VALU_DEP_2)
	v_cmp_lt_u32_e32 vcc_lo, v7, v12
	s_waitcnt lgkmcnt(0)
	v_add_f32_e32 v11, v9, v8
	v_add_lshl_u32 v8, v10, v1, 2
	v_cndmask_b32_e32 v11, v9, v11, vcc_lo
	v_cmp_gt_u32_e32 vcc_lo, 16, v1
	ds_bpermute_b32 v10, v8, v11
	v_cndmask_b32_e64 v9, 0, 1, vcc_lo
	s_delay_alu instid0(VALU_DEP_1) | instskip(SKIP_1) | instid1(VALU_DEP_1)
	v_lshlrev_b32_e32 v13, 4, v9
	v_add_nc_u32_e32 v9, 8, v1
	v_cmp_lt_u32_e32 vcc_lo, v9, v12
	s_waitcnt lgkmcnt(0)
	v_add_f32_e32 v14, v11, v10
	v_add_lshl_u32 v10, v13, v1, 2
	s_delay_alu instid0(VALU_DEP_2)
	v_cndmask_b32_e32 v13, v11, v14, vcc_lo
	v_add_nc_u32_e32 v11, 16, v1
	ds_bpermute_b32 v14, v10, v13
	v_cmp_lt_u32_e32 vcc_lo, v11, v12
	s_waitcnt lgkmcnt(0)
	v_add_f32_e32 v14, v13, v14
	s_delay_alu instid0(VALU_DEP_1)
	v_cndmask_b32_e32 v12, v13, v14, vcc_lo
	v_cmpx_eq_u32_e32 0, v1
	s_cbranch_execz .LBB69_12
; %bb.11:
	v_lshrrev_b32_e32 v13, 3, v0
	s_delay_alu instid0(VALU_DEP_1)
	v_and_b32_e32 v13, 0x7c, v13
	ds_store_b32 v13, v12 offset:4096
.LBB69_12:
	s_or_b32 exec_lo, exec_lo, s3
	s_delay_alu instid0(SALU_CYCLE_1)
	s_mov_b32 s3, exec_lo
	s_waitcnt lgkmcnt(0)
	s_barrier
	buffer_gl0_inv
	v_cmpx_gt_u32_e32 32, v0
	s_cbranch_execz .LBB69_14
; %bb.13:
	v_lshlrev_b32_e32 v1, 2, v1
	s_add_i32 s13, s34, 31
	s_delay_alu instid0(SALU_CYCLE_1) | instskip(NEXT) | instid1(SALU_CYCLE_1)
	s_lshr_b32 s13, s13, 5
	v_cmp_gt_u32_e32 vcc_lo, s13, v3
	ds_load_b32 v1, v1 offset:4096
	s_waitcnt lgkmcnt(0)
	ds_bpermute_b32 v2, v2, v1
	s_waitcnt lgkmcnt(0)
	v_add_f32_e32 v2, v1, v2
	s_delay_alu instid0(VALU_DEP_1) | instskip(SKIP_4) | instid1(VALU_DEP_1)
	v_cndmask_b32_e32 v1, v1, v2, vcc_lo
	v_cmp_gt_u32_e32 vcc_lo, s13, v5
	ds_bpermute_b32 v2, v4, v1
	s_waitcnt lgkmcnt(0)
	v_add_f32_e32 v2, v1, v2
	v_cndmask_b32_e32 v1, v1, v2, vcc_lo
	v_cmp_gt_u32_e32 vcc_lo, s13, v7
	ds_bpermute_b32 v2, v6, v1
	s_waitcnt lgkmcnt(0)
	v_add_f32_e32 v2, v1, v2
	s_delay_alu instid0(VALU_DEP_1) | instskip(SKIP_4) | instid1(VALU_DEP_1)
	v_cndmask_b32_e32 v1, v1, v2, vcc_lo
	v_cmp_gt_u32_e32 vcc_lo, s13, v9
	ds_bpermute_b32 v2, v8, v1
	s_waitcnt lgkmcnt(0)
	v_add_f32_e32 v2, v1, v2
	v_cndmask_b32_e32 v1, v1, v2, vcc_lo
	v_cmp_gt_u32_e32 vcc_lo, s13, v11
	ds_bpermute_b32 v2, v10, v1
	s_waitcnt lgkmcnt(0)
	v_add_f32_e32 v2, v1, v2
	s_delay_alu instid0(VALU_DEP_1)
	v_cndmask_b32_e32 v12, v1, v2, vcc_lo
.LBB69_14:
	s_or_b32 exec_lo, exec_lo, s3
	s_delay_alu instid0(SALU_CYCLE_1)
	s_mov_b32 s3, exec_lo
	v_cmpx_eq_u32_e32 0, v0
	s_cbranch_execz .LBB69_16
; %bb.15:
	v_cvt_f32_i32_e32 v1, s20
	s_delay_alu instid0(VALU_DEP_1) | instskip(SKIP_1) | instid1(VALU_DEP_2)
	v_div_scale_f32 v2, null, v1, v1, v12
	v_div_scale_f32 v5, vcc_lo, v12, v1, v12
	v_rcp_f32_e32 v3, v2
	s_waitcnt_depctr 0xfff
	v_fma_f32 v4, -v2, v3, 1.0
	s_delay_alu instid0(VALU_DEP_1) | instskip(NEXT) | instid1(VALU_DEP_1)
	v_fmac_f32_e32 v3, v4, v3
	v_mul_f32_e32 v4, v5, v3
	s_delay_alu instid0(VALU_DEP_1) | instskip(NEXT) | instid1(VALU_DEP_1)
	v_fma_f32 v6, -v2, v4, v5
	v_fmac_f32_e32 v4, v6, v3
	s_delay_alu instid0(VALU_DEP_1) | instskip(NEXT) | instid1(VALU_DEP_1)
	v_fma_f32 v2, -v2, v4, v5
	v_div_fmas_f32 v2, v2, v3, v4
	s_delay_alu instid0(VALU_DEP_1) | instskip(NEXT) | instid1(VALU_DEP_1)
	v_div_fixup_f32 v1, v2, v1, v12
	v_add_f32_e32 v1, s16, v1
	s_delay_alu instid0(VALU_DEP_1) | instskip(SKIP_1) | instid1(VALU_DEP_2)
	v_mul_f32_e32 v2, 0x4b800000, v1
	v_cmp_gt_f32_e32 vcc_lo, 0x800000, v1
	v_cndmask_b32_e32 v1, v1, v2, vcc_lo
	s_delay_alu instid0(VALU_DEP_1) | instskip(SKIP_2) | instid1(VALU_DEP_1)
	v_rsq_f32_e32 v1, v1
	s_waitcnt_depctr 0xfff
	v_mul_f32_e32 v2, 0x45800000, v1
	v_dual_cndmask_b32 v1, v1, v2 :: v_dual_mov_b32 v2, 0
	ds_store_b32 v2, v1 offset:4224
.LBB69_16:
	s_or_b32 exec_lo, exec_lo, s3
	s_ashr_i32 s3, s20, 31
	s_waitcnt lgkmcnt(0)
	s_lshr_b32 s3, s3, 25
	s_barrier
	s_add_i32 s3, s20, s3
	buffer_gl0_inv
	s_ashr_i32 s16, s3, 7
	s_ashr_i32 s3, s3, 31
	s_abs_i32 s13, s16
	s_delay_alu instid0(SALU_CYCLE_1) | instskip(SKIP_1) | instid1(VALU_DEP_1)
	v_cvt_f32_u32_e32 v1, s13
	s_sub_i32 s22, 0, s13
	v_rcp_iflag_f32_e32 v1, v1
	s_waitcnt_depctr 0xfff
	v_mul_f32_e32 v1, 0x4f7ffffe, v1
	s_delay_alu instid0(VALU_DEP_1) | instskip(NEXT) | instid1(VALU_DEP_1)
	v_cvt_u32_f32_e32 v1, v1
	v_readfirstlane_b32 s17, v1
	s_delay_alu instid0(VALU_DEP_1) | instskip(NEXT) | instid1(SALU_CYCLE_1)
	s_mul_i32 s22, s22, s17
	s_mul_hi_u32 s22, s17, s22
	s_delay_alu instid0(SALU_CYCLE_1) | instskip(NEXT) | instid1(SALU_CYCLE_1)
	s_add_i32 s17, s17, s22
	s_mul_hi_u32 s17, s34, s17
	s_delay_alu instid0(SALU_CYCLE_1) | instskip(SKIP_2) | instid1(SALU_CYCLE_1)
	s_mul_i32 s22, s17, s13
	s_add_i32 s23, s17, 1
	s_sub_i32 s22, s34, s22
	s_sub_i32 s35, s22, s13
	s_cmp_ge_u32 s22, s13
	s_cselect_b32 s17, s23, s17
	s_cselect_b32 s22, s35, s22
	s_add_i32 s23, s17, 1
	s_cmp_ge_u32 s22, s13
	s_cselect_b32 s13, s23, s17
	s_delay_alu instid0(SALU_CYCLE_1) | instskip(NEXT) | instid1(SALU_CYCLE_1)
	s_xor_b32 s13, s13, s3
	s_sub_i32 s22, s13, s3
	s_delay_alu instid0(SALU_CYCLE_1) | instskip(SKIP_3) | instid1(VALU_DEP_1)
	s_abs_i32 s3, s22
	s_ashr_i32 s23, s22, 31
	v_cvt_f32_u32_e32 v1, s3
	s_sub_i32 s13, 0, s3
	v_rcp_iflag_f32_e32 v1, v1
	s_waitcnt_depctr 0xfff
	v_mul_f32_e32 v1, 0x4f7ffffe, v1
	s_delay_alu instid0(VALU_DEP_1) | instskip(NEXT) | instid1(VALU_DEP_1)
	v_cvt_u32_f32_e32 v1, v1
	v_mul_lo_u32 v2, s13, v1
	s_ashr_i32 s13, s12, 31
	s_delay_alu instid0(VALU_DEP_1) | instskip(NEXT) | instid1(VALU_DEP_1)
	v_mul_hi_u32 v2, v1, v2
	v_add_nc_u32_e32 v1, v1, v2
	s_delay_alu instid0(VALU_DEP_1) | instskip(NEXT) | instid1(VALU_DEP_1)
	v_mul_hi_u32 v1, v0, v1
	v_mul_lo_u32 v2, v1, s3
	v_add_nc_u32_e32 v3, 1, v1
	s_delay_alu instid0(VALU_DEP_2) | instskip(NEXT) | instid1(VALU_DEP_1)
	v_sub_nc_u32_e32 v2, v0, v2
	v_subrev_nc_u32_e32 v4, s3, v2
	v_cmp_le_u32_e32 vcc_lo, s3, v2
	s_delay_alu instid0(VALU_DEP_2) | instskip(NEXT) | instid1(VALU_DEP_1)
	v_dual_cndmask_b32 v1, v1, v3 :: v_dual_cndmask_b32 v2, v2, v4
	v_dual_mov_b32 v4, 0 :: v_dual_add_nc_u32 v3, 1, v1
	s_delay_alu instid0(VALU_DEP_2) | instskip(SKIP_2) | instid1(VALU_DEP_1)
	v_cmp_le_u32_e32 vcc_lo, s3, v2
	ds_load_b32 v28, v4 offset:4224
	v_cndmask_b32_e32 v1, v1, v3, vcc_lo
	v_xor_b32_e32 v1, s23, v1
	s_delay_alu instid0(VALU_DEP_1) | instskip(NEXT) | instid1(VALU_DEP_1)
	v_subrev_nc_u32_e32 v1, s23, v1
	v_ashrrev_i32_e32 v2, 31, v1
	v_mul_lo_u32 v3, v1, s22
	s_delay_alu instid0(VALU_DEP_2) | instskip(NEXT) | instid1(VALU_DEP_2)
	v_lshlrev_b64 v[7:8], 5, v[1:2]
	v_sub_nc_u32_e32 v3, v0, v3
	s_delay_alu instid0(VALU_DEP_2) | instskip(NEXT) | instid1(VALU_DEP_3)
	v_add_co_u32 v5, vcc_lo, v7, 32
	v_add_co_ci_u32_e32 v6, vcc_lo, 0, v8, vcc_lo
	s_delay_alu instid0(VALU_DEP_1) | instskip(SKIP_4) | instid1(VALU_DEP_3)
	v_cmp_gt_i64_e32 vcc_lo, s[12:13], v[5:6]
	v_cndmask_b32_e32 v6, s13, v6, vcc_lo
	v_cndmask_b32_e32 v5, s12, v5, vcc_lo
	v_add_co_u32 v7, vcc_lo, v7, v3
	v_add_co_ci_u32_e32 v8, vcc_lo, 0, v8, vcc_lo
	v_ashrrev_i32_e32 v10, 31, v5
	v_mov_b32_e32 v9, v5
	s_mov_b32 s13, exec_lo
	s_delay_alu instid0(VALU_DEP_1)
	v_cmpx_lt_i64_e64 v[7:8], v[9:10]
	s_cbranch_execz .LBB69_26
; %bb.17:
	v_lshlrev_b64 v[13:14], 8, v[1:2]
	v_lshlrev_b64 v[11:12], 3, v[3:4]
	s_mul_i32 s3, s22, 24
	s_mul_hi_i32 s17, s22, 24
	s_add_u32 s35, s8, s3
	s_delay_alu instid0(VALU_DEP_2) | instskip(SKIP_2) | instid1(VALU_DEP_2)
	v_add_co_u32 v4, vcc_lo, s24, v13
	v_add_co_ci_u32_e32 v15, vcc_lo, s25, v14, vcc_lo
	s_addc_u32 s24, s9, s17
	v_add_co_u32 v17, vcc_lo, s35, v4
	s_lshl_b64 s[36:37], s[22:23], 4
	s_delay_alu instid0(VALU_DEP_2)
	v_add_co_ci_u32_e32 v18, vcc_lo, s24, v15, vcc_lo
	s_lshl_b64 s[24:25], s[22:23], 5
	s_add_u32 s35, s8, s36
	s_addc_u32 s40, s9, s37
	s_lshl_b64 s[38:39], s[22:23], 3
	v_add_co_u32 v19, vcc_lo, s35, v4
	s_add_u32 s35, s8, s38
	v_add_co_ci_u32_e32 v20, vcc_lo, s40, v15, vcc_lo
	s_addc_u32 s40, s9, s39
	v_add_co_u32 v21, vcc_lo, s35, v4
	v_add_co_ci_u32_e32 v22, vcc_lo, s40, v15, vcc_lo
	v_add_co_u32 v23, vcc_lo, s8, v4
	s_add_u32 s8, s10, s3
	v_add_co_ci_u32_e32 v24, vcc_lo, s9, v15, vcc_lo
	s_addc_u32 s9, s11, s17
	v_add_co_u32 v25, vcc_lo, s8, v13
	s_add_u32 s8, s10, s36
	v_add_co_ci_u32_e32 v26, vcc_lo, s9, v14, vcc_lo
	s_addc_u32 s9, s11, s37
	;; [unrolled: 4-line block ×3, first 2 shown]
	v_add_co_u32 v30, vcc_lo, s8, v13
	v_add_co_ci_u32_e32 v31, vcc_lo, s9, v14, vcc_lo
	v_add_co_u32 v32, vcc_lo, s10, v13
	v_add_co_ci_u32_e32 v33, vcc_lo, s11, v14, vcc_lo
	v_add_co_u32 v4, vcc_lo, s28, v13
	v_add_co_ci_u32_e32 v13, vcc_lo, s29, v14, vcc_lo
	s_add_u32 s3, s26, s3
	s_addc_u32 s8, s27, s17
	s_delay_alu instid0(VALU_DEP_2)
	v_add_co_u32 v34, vcc_lo, s3, v4
	s_add_u32 s3, s26, s36
	v_add_co_ci_u32_e32 v35, vcc_lo, s8, v13, vcc_lo
	s_addc_u32 s8, s27, s37
	v_add_co_u32 v36, vcc_lo, s3, v4
	s_add_u32 s3, s26, s38
	v_add_co_ci_u32_e32 v37, vcc_lo, s8, v13, vcc_lo
	s_addc_u32 s8, s27, s39
	v_add_co_u32 v38, vcc_lo, s3, v4
	v_add_co_ci_u32_e32 v39, vcc_lo, s8, v13, vcc_lo
	v_add_co_u32 v40, vcc_lo, s26, v4
	v_add_co_ci_u32_e32 v41, vcc_lo, s27, v13, vcc_lo
	v_mov_b32_e32 v14, v8
	v_dual_mov_b32 v4, 0 :: v_dual_mov_b32 v13, v7
	s_mul_hi_i32 s17, s22, 3
	s_mul_i32 s26, s22, 3
	s_lshl_b64 s[8:9], s[22:23], 1
	s_mov_b32 s27, 0
                                        ; implicit-def: $sgpr28
	s_branch .LBB69_21
.LBB69_18:                              ;   in Loop: Header=BB69_21 Depth=1
	s_or_b32 exec_lo, exec_lo, s36
	s_delay_alu instid0(SALU_CYCLE_1)
	s_or_not1_b32 s3, s3, exec_lo
.LBB69_19:                              ;   in Loop: Header=BB69_21 Depth=1
	s_or_b32 exec_lo, exec_lo, s35
	s_delay_alu instid0(SALU_CYCLE_1) | instskip(SKIP_1) | instid1(SALU_CYCLE_1)
	s_and_not1_b32 s28, s28, exec_lo
	s_and_b32 s3, s3, exec_lo
	s_or_b32 s28, s28, s3
.LBB69_20:                              ;   in Loop: Header=BB69_21 Depth=1
	s_or_b32 exec_lo, exec_lo, s29
	s_delay_alu instid0(SALU_CYCLE_1) | instskip(NEXT) | instid1(SALU_CYCLE_1)
	s_and_b32 s3, exec_lo, s28
	s_or_b32 s27, s3, s27
	s_delay_alu instid0(SALU_CYCLE_1)
	s_and_not1_b32 exec_lo, exec_lo, s27
	s_cbranch_execz .LBB69_25
.LBB69_21:                              ; =>This Inner Loop Header: Depth=1
	v_add_co_u32 v15, vcc_lo, v23, v11
	v_add_co_ci_u32_e32 v16, vcc_lo, v24, v12, vcc_lo
	v_add_co_u32 v42, vcc_lo, v32, v11
	v_add_co_ci_u32_e32 v43, vcc_lo, v33, v12, vcc_lo
	;; [unrolled: 2-line block ×3, first 2 shown]
	global_load_b64 v[15:16], v[15:16], off
	global_load_b64 v[42:43], v[42:43], off
	global_load_b64 v[44:45], v[44:45], off
	s_or_b32 s28, s28, exec_lo
	s_mov_b32 s29, exec_lo
	s_waitcnt vmcnt(2)
	v_lshlrev_b32_e32 v48, 16, v15
	s_waitcnt vmcnt(0)
	v_and_b32_e32 v50, 0xffff0000, v44
	v_lshlrev_b32_e32 v49, 16, v44
	v_alignbit_b32 v44, v45, v44, 16
	s_delay_alu instid0(VALU_DEP_1) | instskip(SKIP_2) | instid1(VALU_DEP_1)
	v_and_b32_e32 v44, 0xffff0000, v44
	v_and_b32_e32 v46, 0xffff0000, v15
	v_alignbit_b32 v15, v16, v15, 16
	v_and_b32_e32 v15, 0xffff0000, v15
	s_delay_alu instid0(VALU_DEP_1) | instskip(SKIP_2) | instid1(VALU_DEP_2)
	v_dual_add_f32 v15, v15, v44 :: v_dual_add_f32 v46, v46, v50
	v_dual_add_f32 v48, v48, v49 :: v_dual_and_b32 v47, 0xffff0000, v42
	s_waitcnt lgkmcnt(0)
	v_dual_mul_f32 v15, v28, v15 :: v_dual_and_b32 v16, 0xffff0000, v16
	s_delay_alu instid0(VALU_DEP_3) | instskip(NEXT) | instid1(VALU_DEP_3)
	v_dual_mul_f32 v46, v28, v46 :: v_dual_and_b32 v45, 0xffff0000, v45
	v_mul_f32_e32 v48, v28, v48
	s_delay_alu instid0(VALU_DEP_3) | instskip(NEXT) | instid1(VALU_DEP_3)
	v_bfe_u32 v51, v15, 16, 1
	v_dual_add_f32 v16, v16, v45 :: v_dual_lshlrev_b32 v45, 16, v42
	s_delay_alu instid0(VALU_DEP_3) | instskip(SKIP_1) | instid1(VALU_DEP_3)
	v_bfe_u32 v44, v48, 16, 1
	v_alignbit_b32 v42, v43, v42, 16
	v_dual_mul_f32 v16, v28, v16 :: v_dual_and_b32 v43, 0xffff0000, v43
	v_bfe_u32 v49, v46, 16, 1
	s_delay_alu instid0(VALU_DEP_4)
	v_add3_u32 v44, v48, v44, 0x7fff
	v_cmp_o_f32_e32 vcc_lo, v48, v48
	v_and_b32_e32 v42, 0xffff0000, v42
	v_bfe_u32 v50, v16, 16, 1
	v_add3_u32 v49, v46, v49, 0x7fff
	v_and_b32_e32 v44, 0xffff0000, v44
	v_add3_u32 v51, v15, v51, 0x7fff
	s_delay_alu instid0(VALU_DEP_4) | instskip(NEXT) | instid1(VALU_DEP_4)
	v_add3_u32 v50, v16, v50, 0x7fff
	v_and_b32_e32 v49, 0xffff0000, v49
	s_delay_alu instid0(VALU_DEP_4)
	v_cndmask_b32_e32 v44, 0x7fc00000, v44, vcc_lo
	v_cmp_o_f32_e32 vcc_lo, v46, v46
	v_and_b32_e32 v48, 0xffff0000, v51
	v_and_b32_e32 v50, 0xffff0000, v50
	v_cndmask_b32_e32 v46, 0x7fc00000, v49, vcc_lo
	v_cmp_o_f32_e32 vcc_lo, v16, v16
	s_delay_alu instid0(VALU_DEP_3) | instskip(SKIP_1) | instid1(VALU_DEP_4)
	v_cndmask_b32_e32 v16, 0x7fc00000, v50, vcc_lo
	v_cmp_o_f32_e32 vcc_lo, v15, v15
	v_dual_mul_f32 v44, v44, v45 :: v_dual_mul_f32 v45, v46, v47
	s_delay_alu instid0(VALU_DEP_3) | instskip(SKIP_1) | instid1(VALU_DEP_3)
	v_mul_f32_e32 v43, v16, v43
	v_cndmask_b32_e32 v15, 0x7fc00000, v48, vcc_lo
	v_bfe_u32 v46, v44, 16, 1
	s_delay_alu instid0(VALU_DEP_4) | instskip(SKIP_1) | instid1(VALU_DEP_4)
	v_bfe_u32 v16, v45, 16, 1
	v_cmp_o_f32_e32 vcc_lo, v44, v44
	v_mul_f32_e32 v42, v15, v42
	s_delay_alu instid0(VALU_DEP_4) | instskip(NEXT) | instid1(VALU_DEP_4)
	v_add3_u32 v15, v44, v46, 0x7fff
	v_add3_u32 v16, v45, v16, 0x7fff
	v_bfe_u32 v46, v43, 16, 1
	s_delay_alu instid0(VALU_DEP_4) | instskip(NEXT) | instid1(VALU_DEP_4)
	v_bfe_u32 v47, v42, 16, 1
	v_and_b32_e32 v15, 0xffff0000, v15
	s_delay_alu instid0(VALU_DEP_4) | instskip(NEXT) | instid1(VALU_DEP_4)
	v_and_b32_e32 v16, 0xffff0000, v16
	v_add3_u32 v46, v43, v46, 0x7fff
	s_delay_alu instid0(VALU_DEP_4) | instskip(NEXT) | instid1(VALU_DEP_4)
	v_add3_u32 v47, v42, v47, 0x7fff
	v_cndmask_b32_e64 v44, 0x7fc00000, |v15|, vcc_lo
	v_cmp_o_f32_e32 vcc_lo, v45, v45
	s_delay_alu instid0(VALU_DEP_4) | instskip(NEXT) | instid1(VALU_DEP_4)
	v_and_b32_e32 v46, 0xffff0000, v46
	v_and_b32_e32 v47, 0xffff0000, v47
	v_cndmask_b32_e64 v45, 0x7fc00000, |v16|, vcc_lo
	v_add_co_u32 v15, vcc_lo, v13, s22
	v_add_co_ci_u32_e32 v16, vcc_lo, s23, v14, vcc_lo
	v_cmp_o_f32_e32 vcc_lo, v42, v42
	s_delay_alu instid0(VALU_DEP_4) | instskip(SKIP_3) | instid1(VALU_DEP_1)
	v_max3_f32 v4, v4, v44, v45
	v_cndmask_b32_e64 v42, 0x7fc00000, |v47|, vcc_lo
	v_cmp_o_f32_e32 vcc_lo, v43, v43
	v_cndmask_b32_e64 v43, 0x7fc00000, |v46|, vcc_lo
	v_max3_f32 v4, v4, v42, v43
	v_cmpx_lt_i64_e64 v[15:16], v[9:10]
	s_cbranch_execz .LBB69_20
; %bb.22:                               ;   in Loop: Header=BB69_21 Depth=1
	v_add_co_u32 v42, vcc_lo, v21, v11
	v_add_co_ci_u32_e32 v43, vcc_lo, v22, v12, vcc_lo
	v_add_co_u32 v44, vcc_lo, v30, v11
	v_add_co_ci_u32_e32 v45, vcc_lo, v31, v12, vcc_lo
	;; [unrolled: 2-line block ×3, first 2 shown]
	global_load_b64 v[42:43], v[42:43], off
	global_load_b64 v[44:45], v[44:45], off
	;; [unrolled: 1-line block ×3, first 2 shown]
	s_mov_b32 s3, -1
	s_mov_b32 s35, exec_lo
	s_waitcnt vmcnt(2)
	v_lshlrev_b32_e32 v50, 16, v42
	s_waitcnt vmcnt(0)
	v_lshlrev_b32_e32 v51, 16, v46
	v_and_b32_e32 v52, 0xffff0000, v46
	v_alignbit_b32 v46, v47, v46, 16
	v_and_b32_e32 v47, 0xffff0000, v47
	v_and_b32_e32 v48, 0xffff0000, v42
	v_alignbit_b32 v42, v43, v42, 16
	v_and_b32_e32 v43, 0xffff0000, v43
	s_delay_alu instid0(VALU_DEP_1) | instskip(NEXT) | instid1(VALU_DEP_4)
	v_dual_add_f32 v43, v43, v47 :: v_dual_and_b32 v46, 0xffff0000, v46
	v_add_f32_e32 v48, v48, v52
	v_lshlrev_b32_e32 v47, 16, v44
	s_delay_alu instid0(VALU_DEP_3) | instskip(NEXT) | instid1(VALU_DEP_3)
	v_mul_f32_e32 v43, v28, v43
	v_mul_f32_e32 v48, v28, v48
	v_dual_add_f32 v50, v50, v51 :: v_dual_and_b32 v49, 0xffff0000, v44
	v_alignbit_b32 v44, v45, v44, 16
	v_and_b32_e32 v45, 0xffff0000, v45
	v_and_b32_e32 v42, 0xffff0000, v42
	v_bfe_u32 v51, v48, 16, 1
	v_mul_f32_e32 v50, v28, v50
	v_bfe_u32 v52, v43, 16, 1
	v_and_b32_e32 v44, 0xffff0000, v44
	v_add_f32_e32 v42, v42, v46
	v_add3_u32 v51, v48, v51, 0x7fff
	v_bfe_u32 v46, v50, 16, 1
	v_cmp_o_f32_e32 vcc_lo, v50, v50
	v_add3_u32 v52, v43, v52, 0x7fff
	s_delay_alu instid0(VALU_DEP_4) | instskip(NEXT) | instid1(VALU_DEP_4)
	v_dual_mul_f32 v42, v28, v42 :: v_dual_and_b32 v51, 0xffff0000, v51
	v_add3_u32 v46, v50, v46, 0x7fff
	s_delay_alu instid0(VALU_DEP_3) | instskip(NEXT) | instid1(VALU_DEP_3)
	v_and_b32_e32 v52, 0xffff0000, v52
	v_bfe_u32 v53, v42, 16, 1
	s_delay_alu instid0(VALU_DEP_3) | instskip(NEXT) | instid1(VALU_DEP_2)
	v_and_b32_e32 v46, 0xffff0000, v46
	v_add3_u32 v53, v42, v53, 0x7fff
	s_delay_alu instid0(VALU_DEP_2) | instskip(SKIP_1) | instid1(VALU_DEP_3)
	v_cndmask_b32_e32 v46, 0x7fc00000, v46, vcc_lo
	v_cmp_o_f32_e32 vcc_lo, v48, v48
	v_and_b32_e32 v50, 0xffff0000, v53
	s_delay_alu instid0(VALU_DEP_3) | instskip(SKIP_2) | instid1(VALU_DEP_2)
	v_mul_f32_e32 v46, v46, v47
	v_cndmask_b32_e32 v48, 0x7fc00000, v51, vcc_lo
	v_cmp_o_f32_e32 vcc_lo, v43, v43
	v_mul_f32_e32 v47, v48, v49
	v_cndmask_b32_e32 v43, 0x7fc00000, v52, vcc_lo
	v_cmp_o_f32_e32 vcc_lo, v42, v42
	v_bfe_u32 v48, v46, 16, 1
	s_delay_alu instid0(VALU_DEP_3) | instskip(SKIP_2) | instid1(VALU_DEP_2)
	v_dual_mul_f32 v45, v43, v45 :: v_dual_cndmask_b32 v42, 0x7fc00000, v50
	v_bfe_u32 v43, v47, 16, 1
	v_cmp_o_f32_e32 vcc_lo, v46, v46
	v_add3_u32 v43, v47, v43, 0x7fff
	s_delay_alu instid0(VALU_DEP_4) | instskip(SKIP_2) | instid1(VALU_DEP_4)
	v_mul_f32_e32 v44, v42, v44
	v_add3_u32 v42, v46, v48, 0x7fff
	v_bfe_u32 v48, v45, 16, 1
	v_and_b32_e32 v43, 0xffff0000, v43
	s_delay_alu instid0(VALU_DEP_4) | instskip(NEXT) | instid1(VALU_DEP_4)
	v_bfe_u32 v49, v44, 16, 1
	v_and_b32_e32 v42, 0xffff0000, v42
	s_delay_alu instid0(VALU_DEP_4) | instskip(NEXT) | instid1(VALU_DEP_3)
	v_add3_u32 v48, v45, v48, 0x7fff
	v_add3_u32 v49, v44, v49, 0x7fff
	s_delay_alu instid0(VALU_DEP_3) | instskip(SKIP_1) | instid1(VALU_DEP_4)
	v_cndmask_b32_e64 v46, 0x7fc00000, |v42|, vcc_lo
	v_cmp_o_f32_e32 vcc_lo, v47, v47
	v_and_b32_e32 v48, 0xffff0000, v48
	s_delay_alu instid0(VALU_DEP_4) | instskip(SKIP_4) | instid1(VALU_DEP_4)
	v_and_b32_e32 v49, 0xffff0000, v49
	v_cndmask_b32_e64 v47, 0x7fc00000, |v43|, vcc_lo
	v_add_co_u32 v42, vcc_lo, s8, v13
	v_add_co_ci_u32_e32 v43, vcc_lo, s9, v14, vcc_lo
	v_cmp_o_f32_e32 vcc_lo, v44, v44
	v_max3_f32 v4, v4, v46, v47
	v_cndmask_b32_e64 v44, 0x7fc00000, |v49|, vcc_lo
	v_cmp_o_f32_e32 vcc_lo, v45, v45
	v_cndmask_b32_e64 v45, 0x7fc00000, |v48|, vcc_lo
	s_delay_alu instid0(VALU_DEP_1)
	v_max3_f32 v4, v4, v44, v45
	v_cmpx_lt_i64_e64 v[42:43], v[9:10]
	s_cbranch_execz .LBB69_19
; %bb.23:                               ;   in Loop: Header=BB69_21 Depth=1
	v_add_co_u32 v42, vcc_lo, v19, v11
	v_add_co_ci_u32_e32 v43, vcc_lo, v20, v12, vcc_lo
	v_add_co_u32 v44, vcc_lo, v27, v11
	v_add_co_ci_u32_e32 v45, vcc_lo, v29, v12, vcc_lo
	;; [unrolled: 2-line block ×3, first 2 shown]
	global_load_b64 v[42:43], v[42:43], off
	global_load_b64 v[44:45], v[44:45], off
	;; [unrolled: 1-line block ×3, first 2 shown]
	s_waitcnt vmcnt(2)
	v_lshlrev_b32_e32 v50, 16, v42
	s_waitcnt vmcnt(0)
	v_lshlrev_b32_e32 v51, 16, v46
	v_and_b32_e32 v52, 0xffff0000, v46
	v_alignbit_b32 v46, v47, v46, 16
	v_and_b32_e32 v47, 0xffff0000, v47
	v_and_b32_e32 v48, 0xffff0000, v42
	v_alignbit_b32 v42, v43, v42, 16
	v_and_b32_e32 v43, 0xffff0000, v43
	s_delay_alu instid0(VALU_DEP_1) | instskip(NEXT) | instid1(VALU_DEP_4)
	v_dual_add_f32 v43, v43, v47 :: v_dual_and_b32 v46, 0xffff0000, v46
	v_add_f32_e32 v48, v48, v52
	v_lshlrev_b32_e32 v47, 16, v44
	s_delay_alu instid0(VALU_DEP_3) | instskip(NEXT) | instid1(VALU_DEP_3)
	v_mul_f32_e32 v43, v28, v43
	v_mul_f32_e32 v48, v28, v48
	v_dual_add_f32 v50, v50, v51 :: v_dual_and_b32 v49, 0xffff0000, v44
	v_alignbit_b32 v44, v45, v44, 16
	v_and_b32_e32 v45, 0xffff0000, v45
	v_and_b32_e32 v42, 0xffff0000, v42
	v_bfe_u32 v51, v48, 16, 1
	v_mul_f32_e32 v50, v28, v50
	v_bfe_u32 v52, v43, 16, 1
	v_and_b32_e32 v44, 0xffff0000, v44
	v_add_f32_e32 v42, v42, v46
	v_add3_u32 v51, v48, v51, 0x7fff
	v_bfe_u32 v46, v50, 16, 1
	v_cmp_o_f32_e32 vcc_lo, v50, v50
	v_add3_u32 v52, v43, v52, 0x7fff
	s_delay_alu instid0(VALU_DEP_4) | instskip(NEXT) | instid1(VALU_DEP_4)
	v_dual_mul_f32 v42, v28, v42 :: v_dual_and_b32 v51, 0xffff0000, v51
	v_add3_u32 v46, v50, v46, 0x7fff
	s_delay_alu instid0(VALU_DEP_3) | instskip(NEXT) | instid1(VALU_DEP_3)
	v_and_b32_e32 v52, 0xffff0000, v52
	v_bfe_u32 v53, v42, 16, 1
	s_delay_alu instid0(VALU_DEP_3) | instskip(NEXT) | instid1(VALU_DEP_2)
	v_and_b32_e32 v46, 0xffff0000, v46
	v_add3_u32 v53, v42, v53, 0x7fff
	s_delay_alu instid0(VALU_DEP_2) | instskip(SKIP_1) | instid1(VALU_DEP_3)
	v_cndmask_b32_e32 v46, 0x7fc00000, v46, vcc_lo
	v_cmp_o_f32_e32 vcc_lo, v48, v48
	v_and_b32_e32 v50, 0xffff0000, v53
	s_delay_alu instid0(VALU_DEP_3) | instskip(SKIP_2) | instid1(VALU_DEP_2)
	v_mul_f32_e32 v46, v46, v47
	v_cndmask_b32_e32 v48, 0x7fc00000, v51, vcc_lo
	v_cmp_o_f32_e32 vcc_lo, v43, v43
	v_mul_f32_e32 v47, v48, v49
	v_cndmask_b32_e32 v43, 0x7fc00000, v52, vcc_lo
	v_cmp_o_f32_e32 vcc_lo, v42, v42
	v_bfe_u32 v48, v46, 16, 1
	s_delay_alu instid0(VALU_DEP_3) | instskip(SKIP_2) | instid1(VALU_DEP_2)
	v_dual_mul_f32 v43, v43, v45 :: v_dual_cndmask_b32 v42, 0x7fc00000, v50
	v_bfe_u32 v45, v47, 16, 1
	v_cmp_o_f32_e32 vcc_lo, v46, v46
	v_add3_u32 v45, v47, v45, 0x7fff
	s_delay_alu instid0(VALU_DEP_4) | instskip(SKIP_2) | instid1(VALU_DEP_4)
	v_mul_f32_e32 v42, v42, v44
	v_add3_u32 v44, v46, v48, 0x7fff
	v_bfe_u32 v48, v43, 16, 1
	v_and_b32_e32 v45, 0xffff0000, v45
	s_delay_alu instid0(VALU_DEP_4) | instskip(NEXT) | instid1(VALU_DEP_4)
	v_bfe_u32 v49, v42, 16, 1
	v_and_b32_e32 v44, 0xffff0000, v44
	s_delay_alu instid0(VALU_DEP_4) | instskip(NEXT) | instid1(VALU_DEP_3)
	v_add3_u32 v48, v43, v48, 0x7fff
	v_add3_u32 v49, v42, v49, 0x7fff
	s_delay_alu instid0(VALU_DEP_3) | instskip(SKIP_1) | instid1(VALU_DEP_4)
	v_cndmask_b32_e64 v44, 0x7fc00000, |v44|, vcc_lo
	v_cmp_o_f32_e32 vcc_lo, v47, v47
	v_and_b32_e32 v47, 0xffff0000, v48
	s_delay_alu instid0(VALU_DEP_4) | instskip(SKIP_4) | instid1(VALU_DEP_4)
	v_and_b32_e32 v46, 0xffff0000, v49
	v_cndmask_b32_e64 v45, 0x7fc00000, |v45|, vcc_lo
	v_add_co_u32 v13, vcc_lo, s26, v13
	v_add_co_ci_u32_e32 v14, vcc_lo, s17, v14, vcc_lo
	v_cmp_o_f32_e32 vcc_lo, v42, v42
	v_max3_f32 v4, v4, v44, v45
	v_cndmask_b32_e64 v42, 0x7fc00000, |v46|, vcc_lo
	v_cmp_o_f32_e32 vcc_lo, v43, v43
	v_cndmask_b32_e64 v43, 0x7fc00000, |v47|, vcc_lo
	v_cmp_lt_i64_e32 vcc_lo, v[13:14], v[9:10]
                                        ; implicit-def: $vgpr13_vgpr14
	s_delay_alu instid0(VALU_DEP_2) | instskip(SKIP_1) | instid1(SALU_CYCLE_1)
	v_max3_f32 v4, v4, v42, v43
	s_and_saveexec_b32 s36, vcc_lo
	s_xor_b32 s36, exec_lo, s36
	s_cbranch_execz .LBB69_18
; %bb.24:                               ;   in Loop: Header=BB69_21 Depth=1
	v_add_co_u32 v13, vcc_lo, v17, v11
	v_add_co_ci_u32_e32 v14, vcc_lo, v18, v12, vcc_lo
	v_add_co_u32 v42, vcc_lo, v25, v11
	v_add_co_ci_u32_e32 v43, vcc_lo, v26, v12, vcc_lo
	;; [unrolled: 2-line block ×3, first 2 shown]
	global_load_b64 v[13:14], v[13:14], off
	global_load_b64 v[42:43], v[42:43], off
	;; [unrolled: 1-line block ×3, first 2 shown]
	v_add_co_u32 v17, vcc_lo, v17, s24
	v_add_co_ci_u32_e32 v18, vcc_lo, s25, v18, vcc_lo
	v_add_co_u32 v19, vcc_lo, v19, s24
	v_add_co_ci_u32_e32 v20, vcc_lo, s25, v20, vcc_lo
	;; [unrolled: 2-line block ×10, first 2 shown]
	s_add_u32 s3, s22, s22
	s_addc_u32 s37, s23, s23
	s_add_u32 s3, s3, s22
	s_addc_u32 s37, s37, s23
	s_waitcnt vmcnt(2)
	v_lshlrev_b32_e32 v48, 16, v13
	s_waitcnt vmcnt(0)
	v_and_b32_e32 v50, 0xffff0000, v44
	v_lshlrev_b32_e32 v49, 16, v44
	v_alignbit_b32 v44, v45, v44, 16
	s_delay_alu instid0(VALU_DEP_1) | instskip(SKIP_2) | instid1(VALU_DEP_1)
	v_and_b32_e32 v44, 0xffff0000, v44
	v_and_b32_e32 v46, 0xffff0000, v13
	v_alignbit_b32 v13, v14, v13, 16
	v_and_b32_e32 v13, 0xffff0000, v13
	s_delay_alu instid0(VALU_DEP_1) | instskip(SKIP_1) | instid1(VALU_DEP_2)
	v_dual_add_f32 v13, v13, v44 :: v_dual_add_f32 v46, v46, v50
	v_dual_add_f32 v48, v48, v49 :: v_dual_and_b32 v47, 0xffff0000, v42
	v_dual_mul_f32 v13, v28, v13 :: v_dual_and_b32 v14, 0xffff0000, v14
	s_delay_alu instid0(VALU_DEP_3) | instskip(NEXT) | instid1(VALU_DEP_3)
	v_dual_mul_f32 v46, v28, v46 :: v_dual_and_b32 v45, 0xffff0000, v45
	v_mul_f32_e32 v48, v28, v48
	s_delay_alu instid0(VALU_DEP_3) | instskip(NEXT) | instid1(VALU_DEP_3)
	v_bfe_u32 v51, v13, 16, 1
	v_dual_add_f32 v14, v14, v45 :: v_dual_lshlrev_b32 v45, 16, v42
	s_delay_alu instid0(VALU_DEP_3) | instskip(SKIP_2) | instid1(VALU_DEP_4)
	v_bfe_u32 v44, v48, 16, 1
	v_bfe_u32 v49, v46, 16, 1
	v_alignbit_b32 v42, v43, v42, 16
	v_dual_mul_f32 v14, v28, v14 :: v_dual_and_b32 v43, 0xffff0000, v43
	s_delay_alu instid0(VALU_DEP_4) | instskip(NEXT) | instid1(VALU_DEP_4)
	v_add3_u32 v44, v48, v44, 0x7fff
	v_add3_u32 v49, v46, v49, 0x7fff
	v_cmp_o_f32_e32 vcc_lo, v48, v48
	s_delay_alu instid0(VALU_DEP_4)
	v_bfe_u32 v50, v14, 16, 1
	v_and_b32_e32 v42, 0xffff0000, v42
	v_and_b32_e32 v44, 0xffff0000, v44
	;; [unrolled: 1-line block ×3, first 2 shown]
	v_add3_u32 v51, v13, v51, 0x7fff
	v_add3_u32 v50, v14, v50, 0x7fff
	s_delay_alu instid0(VALU_DEP_4) | instskip(SKIP_1) | instid1(VALU_DEP_4)
	v_cndmask_b32_e32 v44, 0x7fc00000, v44, vcc_lo
	v_cmp_o_f32_e32 vcc_lo, v46, v46
	v_and_b32_e32 v48, 0xffff0000, v51
	s_delay_alu instid0(VALU_DEP_4) | instskip(SKIP_2) | instid1(VALU_DEP_3)
	v_and_b32_e32 v50, 0xffff0000, v50
	v_cndmask_b32_e32 v46, 0x7fc00000, v49, vcc_lo
	v_cmp_o_f32_e32 vcc_lo, v14, v14
	v_cndmask_b32_e32 v14, 0x7fc00000, v50, vcc_lo
	v_cmp_o_f32_e32 vcc_lo, v13, v13
	s_delay_alu instid0(VALU_DEP_4) | instskip(NEXT) | instid1(VALU_DEP_3)
	v_dual_mul_f32 v44, v44, v45 :: v_dual_mul_f32 v45, v46, v47
	v_mul_f32_e32 v43, v14, v43
	v_cndmask_b32_e32 v13, 0x7fc00000, v48, vcc_lo
	s_delay_alu instid0(VALU_DEP_3) | instskip(NEXT) | instid1(VALU_DEP_4)
	v_bfe_u32 v14, v44, 16, 1
	v_bfe_u32 v46, v45, 16, 1
	v_cmp_o_f32_e32 vcc_lo, v44, v44
	s_delay_alu instid0(VALU_DEP_4) | instskip(NEXT) | instid1(VALU_DEP_4)
	v_mul_f32_e32 v42, v13, v42
	v_add3_u32 v14, v44, v14, 0x7fff
	v_bfe_u32 v13, v43, 16, 1
	v_add3_u32 v46, v45, v46, 0x7fff
	s_delay_alu instid0(VALU_DEP_4) | instskip(NEXT) | instid1(VALU_DEP_4)
	v_bfe_u32 v47, v42, 16, 1
	v_and_b32_e32 v14, 0xffff0000, v14
	s_delay_alu instid0(VALU_DEP_4) | instskip(NEXT) | instid1(VALU_DEP_4)
	v_add3_u32 v13, v43, v13, 0x7fff
	v_and_b32_e32 v46, 0xffff0000, v46
	s_delay_alu instid0(VALU_DEP_4) | instskip(NEXT) | instid1(VALU_DEP_4)
	v_add3_u32 v47, v42, v47, 0x7fff
	v_cndmask_b32_e64 v44, 0x7fc00000, |v14|, vcc_lo
	v_cmp_o_f32_e32 vcc_lo, v45, v45
	v_and_b32_e32 v48, 0xffff0000, v13
	v_cndmask_b32_e64 v45, 0x7fc00000, |v46|, vcc_lo
	v_add_co_u32 v13, vcc_lo, s3, v15
	v_add_co_ci_u32_e32 v14, vcc_lo, s37, v16, vcc_lo
	v_cmp_o_f32_e32 vcc_lo, v43, v43
	v_and_b32_e32 v15, 0xffff0000, v47
	v_max3_f32 v4, v4, v44, v45
	v_add_co_u32 v40, s3, v40, s24
	v_cndmask_b32_e64 v16, 0x7fc00000, |v48|, vcc_lo
	v_cmp_o_f32_e32 vcc_lo, v42, v42
	v_add_co_ci_u32_e64 v41, s3, s25, v41, s3
	v_cndmask_b32_e64 v15, 0x7fc00000, |v15|, vcc_lo
	v_add_co_u32 v38, vcc_lo, v38, s24
	v_add_co_ci_u32_e32 v39, vcc_lo, s25, v39, vcc_lo
	v_cmp_ge_i64_e32 vcc_lo, v[13:14], v[9:10]
	s_delay_alu instid0(VALU_DEP_4)
	v_max3_f32 v4, v4, v15, v16
	s_or_not1_b32 s3, vcc_lo, exec_lo
	s_branch .LBB69_18
.LBB69_25:
	s_or_b32 exec_lo, exec_lo, s27
.LBB69_26:
	s_delay_alu instid0(SALU_CYCLE_1)
	s_or_b32 exec_lo, exec_lo, s13
	s_lshr_b32 s13, s34, 5
	s_ashr_i32 s17, s16, 31
	v_cvt_f32_u32_e32 v9, s13
	s_sub_i32 s8, 0, s13
	s_add_i32 s9, s16, s13
	v_lshlrev_b32_e32 v29, 2, v0
	s_add_i32 s9, s9, -1
	v_rcp_iflag_f32_e32 v9, v9
	s_abs_i32 s24, s9
	s_ashr_i32 s9, s9, 31
	ds_store_b32 v29, v4
	s_waitcnt lgkmcnt(0)
	s_barrier
	buffer_gl0_inv
	v_mul_f32_e32 v9, 0x4f7ffffe, v9
	s_delay_alu instid0(VALU_DEP_1) | instskip(NEXT) | instid1(VALU_DEP_1)
	v_cvt_u32_f32_e32 v9, v9
	v_readfirstlane_b32 s3, v9
	s_delay_alu instid0(VALU_DEP_1) | instskip(NEXT) | instid1(SALU_CYCLE_1)
	s_mul_i32 s8, s8, s3
	s_mul_hi_u32 s8, s3, s8
	s_delay_alu instid0(SALU_CYCLE_1) | instskip(NEXT) | instid1(SALU_CYCLE_1)
	s_add_i32 s3, s3, s8
	s_mul_hi_u32 s3, s24, s3
	s_delay_alu instid0(SALU_CYCLE_1) | instskip(NEXT) | instid1(SALU_CYCLE_1)
	s_mul_i32 s8, s3, s13
	s_sub_i32 s8, s24, s8
	s_add_i32 s24, s3, 1
	s_sub_i32 s25, s8, s13
	s_cmp_ge_u32 s8, s13
	s_cselect_b32 s3, s24, s3
	s_cselect_b32 s8, s25, s8
	s_add_i32 s24, s3, 1
	s_cmp_ge_u32 s8, s13
	s_cselect_b32 s3, s24, s3
	s_delay_alu instid0(SALU_CYCLE_1) | instskip(NEXT) | instid1(SALU_CYCLE_1)
	s_xor_b32 s3, s3, s9
	s_sub_i32 s8, s3, s9
	s_delay_alu instid0(SALU_CYCLE_1) | instskip(NEXT) | instid1(SALU_CYCLE_1)
	s_ashr_i32 s9, s8, 31
	v_cmp_lt_i64_e64 s3, s[8:9], 1
	s_delay_alu instid0(VALU_DEP_1)
	s_and_b32 vcc_lo, exec_lo, s3
	s_cbranch_vccnz .LBB69_46
; %bb.27:
	v_lshrrev_b32_e32 v9, 5, v0
	v_and_b32_e32 v4, 31, v0
	s_mov_b64 s[24:25], 0
	s_mov_b64 s[26:27], src_shared_base
	s_delay_alu instid0(VALU_DEP_2) | instskip(NEXT) | instid1(VALU_DEP_2)
	v_mul_lo_u32 v19, s22, v9
	v_add_co_u32 v11, s3, v4, 16
	s_delay_alu instid0(VALU_DEP_1) | instskip(SKIP_1) | instid1(VALU_DEP_1)
	v_add_co_ci_u32_e64 v12, null, 0, 0, s3
	v_add_co_u32 v13, s3, v4, 8
	v_add_co_ci_u32_e64 v14, null, 0, 0, s3
	v_add_co_u32 v15, s3, v4, 4
	v_dual_mov_b32 v10, 0 :: v_dual_lshlrev_b32 v21, 2, v19
	v_lshlrev_b32_e32 v22, 2, v4
	v_add_co_ci_u32_e64 v16, null, 0, 0, s3
	v_add_co_u32 v17, s3, v4, 2
	s_delay_alu instid0(VALU_DEP_1) | instskip(SKIP_1) | instid1(VALU_DEP_1)
	v_add_co_ci_u32_e64 v18, null, 0, 0, s3
	v_add_co_u32 v19, s3, v4, 1
	v_add_co_ci_u32_e64 v20, null, 0, 0, s3
	v_add3_u32 v30, v21, v22, 0x80
	s_mul_i32 s3, s22, s13
	s_delay_alu instid0(SALU_CYCLE_1)
	s_lshl_b32 s28, s3, 2
	s_branch .LBB69_30
.LBB69_28:                              ;   in Loop: Header=BB69_30 Depth=1
	s_or_b32 exec_lo, exec_lo, s3
	v_mov_b32_e32 v22, s27
	flat_load_b32 v21, v[21:22] glc dlc
	s_waitcnt vmcnt(0)
.LBB69_29:                              ;   in Loop: Header=BB69_30 Depth=1
	s_or_b32 exec_lo, exec_lo, s26
	s_add_u32 s24, s24, 1
	v_add_nc_u32_e32 v30, s28, v30
	s_addc_u32 s25, s25, 0
	s_delay_alu instid0(SALU_CYCLE_1)
	s_cmp_eq_u64 s[24:25], s[8:9]
	s_cbranch_scc1 .LBB69_46
.LBB69_30:                              ; =>This Loop Header: Depth=1
                                        ;     Child Loop BB69_33 Depth 2
	s_waitcnt lgkmcnt(0)
	v_mad_u64_u32 v[21:22], null, s24, s13, v[9:10]
	s_mov_b32 s26, exec_lo
	s_delay_alu instid0(VALU_DEP_1) | instskip(NEXT) | instid1(VALU_DEP_1)
	v_mad_u64_u32 v[23:24], null, s25, s13, v[22:23]
	v_mov_b32_e32 v22, v23
	s_delay_alu instid0(VALU_DEP_1)
	v_cmpx_gt_i64_e64 s[16:17], v[21:22]
	s_cbranch_execz .LBB69_29
; %bb.31:                               ;   in Loop: Header=BB69_30 Depth=1
	v_mul_lo_u32 v24, v22, s22
	v_mul_lo_u32 v25, v21, s23
	v_mad_u64_u32 v[22:23], null, v21, s22, 0
	s_delay_alu instid0(VALU_DEP_1) | instskip(NEXT) | instid1(VALU_DEP_2)
	v_add3_u32 v23, v23, v25, v24
	v_add_co_u32 v24, vcc_lo, v22, s22
	v_add_co_u32 v31, s3, v22, v4
	s_delay_alu instid0(VALU_DEP_3) | instskip(SKIP_2) | instid1(VALU_DEP_2)
	v_add_co_ci_u32_e32 v25, vcc_lo, s23, v23, vcc_lo
	v_add_co_ci_u32_e64 v21, s3, 0, v23, s3
	s_mov_b32 s3, exec_lo
	v_cmp_gt_i64_e32 vcc_lo, s[20:21], v[24:25]
	v_cndmask_b32_e32 v25, s21, v25, vcc_lo
	v_cndmask_b32_e32 v24, s20, v24, vcc_lo
	v_add_co_u32 v26, vcc_lo, v31, 32
	v_add_co_ci_u32_e32 v27, vcc_lo, 0, v21, vcc_lo
	v_lshlrev_b32_e32 v21, 2, v31
	s_delay_alu instid0(VALU_DEP_2)
	v_cmpx_lt_i64_e64 v[26:27], v[24:25]
	s_cbranch_execz .LBB69_34
; %bb.32:                               ;   in Loop: Header=BB69_30 Depth=1
	ds_load_b32 v33, v21
	v_mov_b32_e32 v32, v30
	s_mov_b32 s29, 0
.LBB69_33:                              ;   Parent Loop BB69_30 Depth=1
                                        ; =>  This Inner Loop Header: Depth=2
	ds_load_b32 v34, v32
	v_add_co_u32 v26, vcc_lo, v26, 32
	v_add_co_ci_u32_e32 v27, vcc_lo, 0, v27, vcc_lo
	s_waitcnt lgkmcnt(1)
	v_dual_max_f32 v33, v33, v33 :: v_dual_add_nc_u32 v32, 0x80, v32
	s_delay_alu instid0(VALU_DEP_2) | instskip(SKIP_3) | instid1(VALU_DEP_1)
	v_cmp_ge_i64_e32 vcc_lo, v[26:27], v[24:25]
	s_or_b32 s29, vcc_lo, s29
	s_waitcnt lgkmcnt(0)
	v_max_f32_e32 v34, v34, v34
	v_max_f32_e32 v33, v33, v34
	ds_store_b32 v21, v33
	s_and_not1_b32 exec_lo, exec_lo, s29
	s_cbranch_execnz .LBB69_33
.LBB69_34:                              ;   in Loop: Header=BB69_30 Depth=1
	s_or_b32 exec_lo, exec_lo, s3
	v_sub_co_u32 v22, vcc_lo, v24, v22
	v_sub_co_ci_u32_e32 v23, vcc_lo, v25, v23, vcc_lo
	s_mov_b32 s3, exec_lo
	s_delay_alu instid0(VALU_DEP_1) | instskip(SKIP_1) | instid1(VALU_DEP_1)
	v_cmp_gt_i64_e32 vcc_lo, 32, v[22:23]
	v_dual_cndmask_b32 v24, 0, v23 :: v_dual_cndmask_b32 v23, 32, v22
	v_cmpx_lt_i64_e64 v[11:12], v[23:24]
	s_cbranch_execz .LBB69_36
; %bb.35:                               ;   in Loop: Header=BB69_30 Depth=1
	v_dual_mov_b32 v22, s27 :: v_dual_add_nc_u32 v25, 64, v21
	v_mov_b32_e32 v26, s27
	flat_load_b32 v27, v[21:22] glc dlc
	s_waitcnt vmcnt(0)
	flat_load_b32 v25, v[25:26] glc dlc
	s_waitcnt vmcnt(0) lgkmcnt(0)
	v_dual_max_f32 v26, v27, v27 :: v_dual_max_f32 v25, v25, v25
	s_delay_alu instid0(VALU_DEP_1)
	v_max_f32_e32 v25, v26, v25
	flat_store_b32 v[21:22], v25 dlc
	s_waitcnt_vscnt null, 0x0
.LBB69_36:                              ;   in Loop: Header=BB69_30 Depth=1
	s_or_b32 exec_lo, exec_lo, s3
	s_delay_alu instid0(SALU_CYCLE_1)
	s_mov_b32 s3, exec_lo
	v_cmpx_lt_i64_e64 v[13:14], v[23:24]
	s_cbranch_execz .LBB69_38
; %bb.37:                               ;   in Loop: Header=BB69_30 Depth=1
	v_dual_mov_b32 v22, s27 :: v_dual_add_nc_u32 v25, 32, v21
	v_mov_b32_e32 v26, s27
	flat_load_b32 v27, v[21:22] glc dlc
	s_waitcnt vmcnt(0)
	flat_load_b32 v25, v[25:26] glc dlc
	s_waitcnt vmcnt(0) lgkmcnt(0)
	v_dual_max_f32 v26, v27, v27 :: v_dual_max_f32 v25, v25, v25
	s_delay_alu instid0(VALU_DEP_1)
	v_max_f32_e32 v25, v26, v25
	flat_store_b32 v[21:22], v25 dlc
	s_waitcnt_vscnt null, 0x0
.LBB69_38:                              ;   in Loop: Header=BB69_30 Depth=1
	s_or_b32 exec_lo, exec_lo, s3
	s_delay_alu instid0(SALU_CYCLE_1)
	s_mov_b32 s3, exec_lo
	v_cmpx_ge_i64_e64 v[15:16], v[23:24]
	s_xor_b32 s3, exec_lo, s3
; %bb.39:                               ;   in Loop: Header=BB69_30 Depth=1
                                        ; implicit-def: $vgpr21
; %bb.40:                               ;   in Loop: Header=BB69_30 Depth=1
	s_delay_alu instid0(SALU_CYCLE_1)
	s_and_not1_saveexec_b32 s3, s3
	s_cbranch_execz .LBB69_42
; %bb.41:                               ;   in Loop: Header=BB69_30 Depth=1
	v_dual_mov_b32 v22, s27 :: v_dual_add_nc_u32 v25, 16, v21
	v_mov_b32_e32 v26, s27
	flat_load_b32 v27, v[21:22] glc dlc
	s_waitcnt vmcnt(0)
	flat_load_b32 v25, v[25:26] glc dlc
	s_waitcnt vmcnt(0) lgkmcnt(0)
	v_dual_max_f32 v26, v27, v27 :: v_dual_max_f32 v25, v25, v25
	s_delay_alu instid0(VALU_DEP_1)
	v_max_f32_e32 v25, v26, v25
	flat_store_b32 v[21:22], v25 dlc
	s_waitcnt_vscnt null, 0x0
.LBB69_42:                              ;   in Loop: Header=BB69_30 Depth=1
	s_or_b32 exec_lo, exec_lo, s3
	v_lshlrev_b32_e32 v21, 2, v31
	s_mov_b32 s3, exec_lo
	v_cmpx_lt_i64_e64 v[17:18], v[23:24]
	s_cbranch_execz .LBB69_44
; %bb.43:                               ;   in Loop: Header=BB69_30 Depth=1
	s_delay_alu instid0(VALU_DEP_2)
	v_dual_mov_b32 v22, s27 :: v_dual_add_nc_u32 v25, 8, v21
	v_mov_b32_e32 v26, s27
	flat_load_b32 v27, v[21:22] glc dlc
	s_waitcnt vmcnt(0)
	flat_load_b32 v25, v[25:26] glc dlc
	s_waitcnt vmcnt(0) lgkmcnt(0)
	v_dual_max_f32 v26, v27, v27 :: v_dual_max_f32 v25, v25, v25
	s_delay_alu instid0(VALU_DEP_1)
	v_max_f32_e32 v25, v26, v25
	flat_store_b32 v[21:22], v25 dlc
	s_waitcnt_vscnt null, 0x0
.LBB69_44:                              ;   in Loop: Header=BB69_30 Depth=1
	s_or_b32 exec_lo, exec_lo, s3
	s_delay_alu instid0(SALU_CYCLE_1)
	s_mov_b32 s3, exec_lo
	v_cmpx_lt_i64_e64 v[19:20], v[23:24]
	s_cbranch_execz .LBB69_28
; %bb.45:                               ;   in Loop: Header=BB69_30 Depth=1
	v_dual_mov_b32 v22, s27 :: v_dual_add_nc_u32 v23, 4, v21
	v_mov_b32_e32 v24, s27
	flat_load_b32 v25, v[21:22] glc dlc
	s_waitcnt vmcnt(0)
	flat_load_b32 v23, v[23:24] glc dlc
	s_waitcnt vmcnt(0) lgkmcnt(0)
	v_dual_max_f32 v24, v25, v25 :: v_dual_max_f32 v23, v23, v23
	s_delay_alu instid0(VALU_DEP_1)
	v_max_f32_e32 v23, v24, v23
	flat_store_b32 v[21:22], v23 dlc
	s_waitcnt_vscnt null, 0x0
	s_branch .LBB69_28
.LBB69_46:
	v_cmp_lt_i64_e32 vcc_lo, v[7:8], v[5:6]
	v_cmp_eq_u32_e64 s3, 0, v3
	s_mul_i32 s13, s17, s15
	s_mul_hi_u32 s17, s16, s15
	s_mul_i32 s8, s16, s15
	s_waitcnt lgkmcnt(0)
	s_and_b32 s9, s3, vcc_lo
	s_barrier
	buffer_gl0_inv
	s_and_saveexec_b32 s3, s9
	s_cbranch_execz .LBB69_50
; %bb.47:
	s_load_b64 s[0:1], s[0:1], 0x20
	ds_load_b32 v3, v29
	s_waitcnt lgkmcnt(0)
	s_cmp_eq_u64 s[0:1], 0
	s_cbranch_scc1 .LBB69_49
; %bb.48:
	s_load_b32 s0, s[0:1], 0x0
	v_max_f32_e32 v3, v3, v3
	s_waitcnt lgkmcnt(0)
	v_max_f32_e64 v4, s0, s0
	s_delay_alu instid0(VALU_DEP_1)
	v_min_f32_e32 v3, v3, v4
.LBB69_49:
	s_delay_alu instid0(VALU_DEP_1) | instskip(SKIP_2) | instid1(VALU_DEP_2)
	v_div_scale_f32 v4, null, 0x43e00000, 0x43e00000, v3
	v_div_scale_f32 v7, vcc_lo, v3, 0x43e00000, v3
	s_add_i32 s9, s17, s13
	v_rcp_f32_e32 v5, v4
	v_lshlrev_b64 v[1:2], 2, v[1:2]
	s_lshl_b64 s[0:1], s[8:9], 2
	s_delay_alu instid0(SALU_CYCLE_1) | instskip(SKIP_3) | instid1(VALU_DEP_1)
	s_add_u32 s0, s6, s0
	s_addc_u32 s1, s7, s1
	s_waitcnt_depctr 0xfff
	v_fma_f32 v6, -v4, v5, 1.0
	v_fmac_f32_e32 v5, v6, v5
	s_delay_alu instid0(VALU_DEP_1) | instskip(NEXT) | instid1(VALU_DEP_1)
	v_mul_f32_e32 v6, v7, v5
	v_fma_f32 v8, -v4, v6, v7
	s_delay_alu instid0(VALU_DEP_1) | instskip(NEXT) | instid1(VALU_DEP_1)
	v_fmac_f32_e32 v6, v8, v5
	v_fma_f32 v4, -v4, v6, v7
	s_delay_alu instid0(VALU_DEP_1) | instskip(SKIP_2) | instid1(VALU_DEP_3)
	v_div_fmas_f32 v4, v4, v5, v6
	v_add_co_u32 v1, vcc_lo, s0, v1
	v_add_co_ci_u32_e32 v2, vcc_lo, s1, v2, vcc_lo
	v_div_fixup_f32 v3, v4, 0x43e00000, v3
	s_delay_alu instid0(VALU_DEP_1)
	v_max_f32_e32 v3, 0x36924925, v3
	global_store_b32 v[1:2], v3, off
.LBB69_50:
	s_or_b32 exec_lo, exec_lo, s3
	s_waitcnt_vscnt null, 0x0
	s_barrier
	buffer_gl0_inv
	s_and_saveexec_b32 s0, s2
	s_cbranch_execz .LBB69_155
; %bb.51:
	s_add_u32 s2, s4, s18
	s_addc_u32 s3, s5, s19
	s_add_i32 s9, s17, s13
	v_mov_b32_e32 v1, 0
	s_lshl_b64 s[0:1], s[8:9], 2
	s_mul_i32 s4, s34, 3
	s_add_u32 s0, s6, s0
	s_addc_u32 s1, s7, s1
	s_lshl_b32 s5, s34, 1
	s_mov_b32 s6, 0
	s_mov_b32 s7, 0x43e00000
	s_add_i32 s8, s34, s34
	s_branch .LBB69_57
.LBB69_52:                              ;   in Loop: Header=BB69_57 Depth=1
	s_or_b32 exec_lo, exec_lo, s17
.LBB69_53:                              ;   in Loop: Header=BB69_57 Depth=1
	s_delay_alu instid0(SALU_CYCLE_1)
	s_or_b32 exec_lo, exec_lo, s16
	v_lshrrev_b32_e32 v5, 24, v12
	v_lshrrev_b32_e32 v9, 24, v10
	v_lshlrev_b32_e32 v10, 24, v3
	v_lshrrev_b32_e32 v7, 24, v7
	v_and_b32_e32 v8, 0xff, v8
	v_and_b32_e32 v5, 0x80, v5
	;; [unrolled: 1-line block ×3, first 2 shown]
	s_delay_alu instid0(VALU_DEP_3) | instskip(NEXT) | instid1(VALU_DEP_3)
	v_and_or_b32 v7, 0x80, v7, v8
	v_and_or_b32 v5, 0xff, v11, v5
	v_and_b32_e32 v11, 0x80000000, v4
	v_lshlrev_b64 v[3:4], 2, v[0:1]
	v_and_or_b32 v6, 0xff, v6, v9
	v_add3_u32 v0, s8, s34, v2
	v_lshlrev_b32_e32 v5, 16, v5
	s_delay_alu instid0(VALU_DEP_3) | instskip(SKIP_1) | instid1(VALU_DEP_3)
	v_lshlrev_b32_e32 v6, 8, v6
	v_add_co_u32 v2, vcc_lo, s2, v3
	v_or3_b32 v5, v11, v10, v5
	v_add_co_ci_u32_e32 v3, vcc_lo, s3, v4, vcc_lo
	v_cmp_le_u32_e32 vcc_lo, s12, v0
	s_delay_alu instid0(VALU_DEP_3)
	v_or3_b32 v4, v5, v6, v7
	s_or_not1_b32 s16, vcc_lo, exec_lo
	global_store_b32 v[2:3], v4, off
.LBB69_54:                              ;   in Loop: Header=BB69_57 Depth=1
	s_or_b32 exec_lo, exec_lo, s15
	s_delay_alu instid0(SALU_CYCLE_1)
	s_or_not1_b32 s15, s16, exec_lo
.LBB69_55:                              ;   in Loop: Header=BB69_57 Depth=1
	s_or_b32 exec_lo, exec_lo, s13
	s_delay_alu instid0(SALU_CYCLE_1)
	s_or_not1_b32 s13, s15, exec_lo
.LBB69_56:                              ;   in Loop: Header=BB69_57 Depth=1
	s_or_b32 exec_lo, exec_lo, s9
	s_delay_alu instid0(SALU_CYCLE_1) | instskip(NEXT) | instid1(SALU_CYCLE_1)
	s_and_b32 s9, exec_lo, s13
	s_or_b32 s6, s9, s6
	s_delay_alu instid0(SALU_CYCLE_1)
	s_and_not1_b32 exec_lo, exec_lo, s6
	s_cbranch_execz .LBB69_155
.LBB69_57:                              ; =>This Inner Loop Header: Depth=1
	v_lshlrev_b64 v[2:3], 3, v[0:1]
	s_mov_b32 s9, exec_lo
	s_delay_alu instid0(VALU_DEP_1) | instskip(NEXT) | instid1(VALU_DEP_2)
	v_add_co_u32 v4, vcc_lo, s14, v2
	v_add_co_ci_u32_e32 v5, vcc_lo, s30, v3, vcc_lo
	v_add_co_u32 v12, vcc_lo, s31, v2
	v_add_co_ci_u32_e32 v13, vcc_lo, s33, v3, vcc_lo
	;; [unrolled: 2-line block ×3, first 2 shown]
	global_load_b64 v[5:6], v[4:5], off
	global_load_b64 v[7:8], v[12:13], off
	v_lshrrev_b32_e32 v4, 3, v0
	global_load_b64 v[2:3], v[2:3], off
	s_waitcnt vmcnt(2)
	v_lshlrev_b32_e32 v9, 16, v5
	s_waitcnt vmcnt(0)
	v_lshlrev_b32_e32 v14, 16, v2
	v_lshlrev_b32_e32 v10, 16, v7
	s_delay_alu instid0(VALU_DEP_1) | instskip(SKIP_2) | instid1(VALU_DEP_1)
	v_dual_add_f32 v11, v9, v10 :: v_dual_and_b32 v4, 0x7fffffc, v4
	global_load_b32 v4, v4, s[0:1]
	v_mul_f32_e32 v9, v28, v11
	v_bfe_u32 v10, v9, 16, 1
	s_delay_alu instid0(VALU_DEP_1) | instskip(NEXT) | instid1(VALU_DEP_1)
	v_add3_u32 v10, v9, v10, 0x7fff
	v_and_b32_e32 v10, 0xffff0000, v10
	v_cmp_o_f32_e32 vcc_lo, v9, v9
	s_delay_alu instid0(VALU_DEP_2) | instskip(NEXT) | instid1(VALU_DEP_1)
	v_cndmask_b32_e32 v9, 0x7fc00000, v10, vcc_lo
	v_mul_f32_e32 v9, v9, v14
	s_delay_alu instid0(VALU_DEP_1) | instskip(SKIP_1) | instid1(VALU_DEP_2)
	v_bfe_u32 v10, v9, 16, 1
	v_cmp_o_f32_e32 vcc_lo, v9, v9
	v_add3_u32 v10, v9, v10, 0x7fff
	s_delay_alu instid0(VALU_DEP_1) | instskip(NEXT) | instid1(VALU_DEP_1)
	v_and_b32_e32 v10, 0xffff0000, v10
	v_cndmask_b32_e32 v14, 0x7fc00000, v10, vcc_lo
	v_and_b32_e32 v10, 0xffff0000, v5
	v_alignbit_b32 v5, v6, v5, 16
	v_and_b32_e32 v6, 0xffff0000, v6
	s_waitcnt vmcnt(0)
	v_div_scale_f32 v15, null, v4, v4, v14
	v_div_scale_f32 v17, vcc_lo, v14, v4, v14
	s_delay_alu instid0(VALU_DEP_2) | instskip(SKIP_2) | instid1(VALU_DEP_1)
	v_rcp_f32_e32 v16, v15
	s_waitcnt_depctr 0xfff
	v_fma_f32 v9, -v15, v16, 1.0
	v_fmac_f32_e32 v16, v9, v16
	v_alignbit_b32 v9, v8, v7, 16
	v_and_b32_e32 v7, 0xffff0000, v7
	v_and_b32_e32 v8, 0xffff0000, v8
	s_delay_alu instid0(VALU_DEP_4) | instskip(NEXT) | instid1(VALU_DEP_4)
	v_dual_mul_f32 v18, v17, v16 :: v_dual_and_b32 v5, 0xffff0000, v5
	v_and_b32_e32 v19, 0xffff0000, v9
	s_delay_alu instid0(VALU_DEP_4) | instskip(NEXT) | instid1(VALU_DEP_4)
	v_add_f32_e32 v9, v10, v7
	v_add_f32_e32 v8, v6, v8
	s_delay_alu instid0(VALU_DEP_4) | instskip(NEXT) | instid1(VALU_DEP_3)
	v_fma_f32 v7, -v15, v18, v17
	v_bfe_u32 v6, v9, 16, 1
	s_delay_alu instid0(VALU_DEP_2) | instskip(NEXT) | instid1(VALU_DEP_4)
	v_fmac_f32_e32 v18, v7, v16
	v_bfe_u32 v7, v8, 16, 1
	s_delay_alu instid0(VALU_DEP_3) | instskip(NEXT) | instid1(VALU_DEP_3)
	v_add3_u32 v6, v9, v6, 0x7fff
	v_fma_f32 v15, -v15, v18, v17
	s_delay_alu instid0(VALU_DEP_3) | instskip(NEXT) | instid1(VALU_DEP_3)
	v_add3_u32 v7, v8, v7, 0x7fff
	v_and_b32_e32 v6, 0xffff0000, v6
	s_delay_alu instid0(VALU_DEP_3)
	v_div_fmas_f32 v15, v15, v16, v18
	v_cmp_o_f32_e32 vcc_lo, v9, v9
	v_add_f32_e32 v10, v5, v19
	v_bfe_u32 v5, v11, 16, 1
	v_and_b32_e32 v7, 0xffff0000, v7
	v_div_fixup_f32 v14, v15, v4, v14
	v_cndmask_b32_e32 v15, 0x7fc00000, v6, vcc_lo
	v_bfe_u32 v19, v10, 16, 1
	v_add3_u32 v5, v11, v5, 0x7fff
	v_cmp_o_f32_e32 vcc_lo, v11, v11
	v_minmax_f32 v6, v14, s7, 0xc3e00000
	s_delay_alu instid0(VALU_DEP_4) | instskip(NEXT) | instid1(VALU_DEP_4)
	v_add3_u32 v17, v10, v19, 0x7fff
	v_lshrrev_b32_e32 v5, 16, v5
	s_delay_alu instid0(VALU_DEP_3) | instskip(NEXT) | instid1(VALU_DEP_3)
	v_and_b32_e32 v11, 0x7fffffff, v6
	v_lshrrev_b32_e32 v16, 16, v17
	s_delay_alu instid0(VALU_DEP_3)
	v_cndmask_b32_e32 v5, 0x7fc0, v5, vcc_lo
	v_cmp_o_f32_e32 vcc_lo, v8, v8
	v_cndmask_b32_e32 v7, 0x7fc00000, v7, vcc_lo
	v_cmp_o_f32_e32 vcc_lo, v10, v10
	v_cndmask_b32_e32 v14, 0x7fc0, v16, vcc_lo
	v_or_b32_e32 v16, v5, v15
	v_mov_b32_e32 v5, 0x7f
	s_delay_alu instid0(VALU_DEP_3) | instskip(NEXT) | instid1(VALU_DEP_3)
	v_or3_b32 v15, 0, v14, v7
	v_or3_b32 v14, v16, 0, 0
	v_mov_b32_e32 v7, 0x7f
	global_store_b64 v[12:13], v[14:15], off
	v_cmpx_gt_u32_e32 0x43f00000, v11
	s_cbranch_execz .LBB69_63
; %bb.58:                               ;   in Loop: Header=BB69_57 Depth=1
	s_mov_b32 s13, exec_lo
                                        ; implicit-def: $vgpr7
	v_cmpx_lt_u32_e32 0x3c7fffff, v11
	s_xor_b32 s13, exec_lo, s13
; %bb.59:                               ;   in Loop: Header=BB69_57 Depth=1
	v_bfe_u32 v7, v6, 20, 1
	s_delay_alu instid0(VALU_DEP_1) | instskip(NEXT) | instid1(VALU_DEP_1)
	v_add3_u32 v7, v6, v7, 0x407ffff
	v_lshrrev_b32_e32 v7, 20, v7
; %bb.60:                               ;   in Loop: Header=BB69_57 Depth=1
	s_and_not1_saveexec_b32 s13, s13
; %bb.61:                               ;   in Loop: Header=BB69_57 Depth=1
	v_add_f32_e64 v7, 0x46800000, |v6|
; %bb.62:                               ;   in Loop: Header=BB69_57 Depth=1
	s_or_b32 exec_lo, exec_lo, s13
.LBB69_63:                              ;   in Loop: Header=BB69_57 Depth=1
	s_delay_alu instid0(SALU_CYCLE_1) | instskip(SKIP_2) | instid1(VALU_DEP_1)
	s_or_b32 exec_lo, exec_lo, s9
	v_dual_mul_f32 v9, v28, v9 :: v_dual_and_b32 v12, 0xffff0000, v2
	s_mov_b32 s9, exec_lo
	v_bfe_u32 v11, v9, 16, 1
	v_cmp_o_f32_e32 vcc_lo, v9, v9
	s_delay_alu instid0(VALU_DEP_2) | instskip(NEXT) | instid1(VALU_DEP_1)
	v_add3_u32 v11, v9, v11, 0x7fff
	v_and_b32_e32 v11, 0xffff0000, v11
	s_delay_alu instid0(VALU_DEP_1) | instskip(NEXT) | instid1(VALU_DEP_1)
	v_cndmask_b32_e32 v9, 0x7fc00000, v11, vcc_lo
	v_mul_f32_e32 v9, v9, v12
	s_delay_alu instid0(VALU_DEP_1) | instskip(SKIP_1) | instid1(VALU_DEP_2)
	v_bfe_u32 v11, v9, 16, 1
	v_cmp_o_f32_e32 vcc_lo, v9, v9
	v_add3_u32 v11, v9, v11, 0x7fff
	s_delay_alu instid0(VALU_DEP_1) | instskip(NEXT) | instid1(VALU_DEP_1)
	v_and_b32_e32 v11, 0xffff0000, v11
	v_cndmask_b32_e32 v9, 0x7fc00000, v11, vcc_lo
	s_delay_alu instid0(VALU_DEP_1) | instskip(NEXT) | instid1(VALU_DEP_1)
	v_div_scale_f32 v11, null, v4, v4, v9
	v_rcp_f32_e32 v12, v11
	s_waitcnt_depctr 0xfff
	v_fma_f32 v13, -v11, v12, 1.0
	s_delay_alu instid0(VALU_DEP_1) | instskip(SKIP_1) | instid1(VALU_DEP_1)
	v_fmac_f32_e32 v12, v13, v12
	v_div_scale_f32 v13, vcc_lo, v9, v4, v9
	v_mul_f32_e32 v14, v13, v12
	s_delay_alu instid0(VALU_DEP_1) | instskip(NEXT) | instid1(VALU_DEP_1)
	v_fma_f32 v15, -v11, v14, v13
	v_fmac_f32_e32 v14, v15, v12
	s_delay_alu instid0(VALU_DEP_1) | instskip(NEXT) | instid1(VALU_DEP_1)
	v_fma_f32 v11, -v11, v14, v13
	v_div_fmas_f32 v11, v11, v12, v14
	s_delay_alu instid0(VALU_DEP_1) | instskip(NEXT) | instid1(VALU_DEP_1)
	v_div_fixup_f32 v9, v11, v4, v9
	v_minmax_f32 v9, v9, s7, 0xc3e00000
	s_delay_alu instid0(VALU_DEP_1) | instskip(NEXT) | instid1(VALU_DEP_1)
	v_and_b32_e32 v11, 0x7fffffff, v9
	v_cmpx_gt_u32_e32 0x43f00000, v11
	s_cbranch_execz .LBB69_69
; %bb.64:                               ;   in Loop: Header=BB69_57 Depth=1
	s_mov_b32 s13, exec_lo
                                        ; implicit-def: $vgpr5
	v_cmpx_lt_u32_e32 0x3c7fffff, v11
	s_xor_b32 s13, exec_lo, s13
; %bb.65:                               ;   in Loop: Header=BB69_57 Depth=1
	v_bfe_u32 v5, v9, 20, 1
	s_delay_alu instid0(VALU_DEP_1) | instskip(NEXT) | instid1(VALU_DEP_1)
	v_add3_u32 v5, v9, v5, 0x407ffff
	v_lshrrev_b32_e32 v5, 20, v5
; %bb.66:                               ;   in Loop: Header=BB69_57 Depth=1
	s_and_not1_saveexec_b32 s13, s13
; %bb.67:                               ;   in Loop: Header=BB69_57 Depth=1
	v_add_f32_e64 v5, 0x46800000, |v9|
; %bb.68:                               ;   in Loop: Header=BB69_57 Depth=1
	s_or_b32 exec_lo, exec_lo, s13
.LBB69_69:                              ;   in Loop: Header=BB69_57 Depth=1
	s_delay_alu instid0(SALU_CYCLE_1) | instskip(SKIP_3) | instid1(VALU_DEP_2)
	s_or_b32 exec_lo, exec_lo, s9
	v_mul_f32_e32 v10, v28, v10
	v_alignbit_b32 v2, v3, v2, 16
	s_mov_b32 s9, exec_lo
	v_bfe_u32 v11, v10, 16, 1
	s_delay_alu instid0(VALU_DEP_2) | instskip(NEXT) | instid1(VALU_DEP_2)
	v_and_b32_e32 v2, 0xffff0000, v2
	v_add3_u32 v11, v10, v11, 0x7fff
	s_delay_alu instid0(VALU_DEP_1) | instskip(SKIP_1) | instid1(VALU_DEP_2)
	v_and_b32_e32 v11, 0xffff0000, v11
	v_cmp_o_f32_e32 vcc_lo, v10, v10
	v_cndmask_b32_e32 v10, 0x7fc00000, v11, vcc_lo
	s_delay_alu instid0(VALU_DEP_1) | instskip(NEXT) | instid1(VALU_DEP_1)
	v_mul_f32_e32 v2, v10, v2
	v_bfe_u32 v10, v2, 16, 1
	v_cmp_o_f32_e32 vcc_lo, v2, v2
	s_delay_alu instid0(VALU_DEP_2) | instskip(NEXT) | instid1(VALU_DEP_1)
	v_add3_u32 v10, v2, v10, 0x7fff
	v_and_b32_e32 v10, 0xffff0000, v10
	s_delay_alu instid0(VALU_DEP_1) | instskip(NEXT) | instid1(VALU_DEP_1)
	v_cndmask_b32_e32 v2, 0x7fc00000, v10, vcc_lo
	v_div_scale_f32 v10, null, v4, v4, v2
	v_div_scale_f32 v13, vcc_lo, v2, v4, v2
	s_delay_alu instid0(VALU_DEP_2) | instskip(SKIP_2) | instid1(VALU_DEP_1)
	v_rcp_f32_e32 v11, v10
	s_waitcnt_depctr 0xfff
	v_fma_f32 v12, -v10, v11, 1.0
	v_fmac_f32_e32 v11, v12, v11
	s_delay_alu instid0(VALU_DEP_1) | instskip(NEXT) | instid1(VALU_DEP_1)
	v_mul_f32_e32 v12, v13, v11
	v_fma_f32 v14, -v10, v12, v13
	s_delay_alu instid0(VALU_DEP_1) | instskip(NEXT) | instid1(VALU_DEP_1)
	v_fmac_f32_e32 v12, v14, v11
	v_fma_f32 v10, -v10, v12, v13
	s_delay_alu instid0(VALU_DEP_1) | instskip(NEXT) | instid1(VALU_DEP_1)
	v_div_fmas_f32 v10, v10, v11, v12
	v_div_fixup_f32 v2, v10, v4, v2
	v_mov_b32_e32 v10, 0x7f
	s_delay_alu instid0(VALU_DEP_2) | instskip(SKIP_1) | instid1(VALU_DEP_2)
	v_minmax_f32 v11, v2, s7, 0xc3e00000
	v_mov_b32_e32 v2, 0x7f
	v_and_b32_e32 v12, 0x7fffffff, v11
	s_delay_alu instid0(VALU_DEP_1)
	v_cmpx_gt_u32_e32 0x43f00000, v12
	s_cbranch_execz .LBB69_75
; %bb.70:                               ;   in Loop: Header=BB69_57 Depth=1
	s_mov_b32 s13, exec_lo
                                        ; implicit-def: $vgpr10
	v_cmpx_lt_u32_e32 0x3c7fffff, v12
	s_xor_b32 s13, exec_lo, s13
; %bb.71:                               ;   in Loop: Header=BB69_57 Depth=1
	v_bfe_u32 v10, v11, 20, 1
	s_delay_alu instid0(VALU_DEP_1) | instskip(NEXT) | instid1(VALU_DEP_1)
	v_add3_u32 v10, v11, v10, 0x407ffff
	v_lshrrev_b32_e32 v10, 20, v10
; %bb.72:                               ;   in Loop: Header=BB69_57 Depth=1
	s_and_not1_saveexec_b32 s13, s13
; %bb.73:                               ;   in Loop: Header=BB69_57 Depth=1
	v_add_f32_e64 v10, 0x46800000, |v11|
; %bb.74:                               ;   in Loop: Header=BB69_57 Depth=1
	s_or_b32 exec_lo, exec_lo, s13
.LBB69_75:                              ;   in Loop: Header=BB69_57 Depth=1
	s_delay_alu instid0(SALU_CYCLE_1) | instskip(SKIP_2) | instid1(VALU_DEP_1)
	s_or_b32 exec_lo, exec_lo, s9
	v_dual_mul_f32 v8, v28, v8 :: v_dual_and_b32 v3, 0xffff0000, v3
	s_mov_b32 s9, exec_lo
	v_bfe_u32 v12, v8, 16, 1
	v_cmp_o_f32_e32 vcc_lo, v8, v8
	s_delay_alu instid0(VALU_DEP_2) | instskip(NEXT) | instid1(VALU_DEP_1)
	v_add3_u32 v12, v8, v12, 0x7fff
	v_and_b32_e32 v12, 0xffff0000, v12
	s_delay_alu instid0(VALU_DEP_1) | instskip(NEXT) | instid1(VALU_DEP_1)
	v_cndmask_b32_e32 v8, 0x7fc00000, v12, vcc_lo
	v_mul_f32_e32 v3, v8, v3
	s_delay_alu instid0(VALU_DEP_1) | instskip(SKIP_1) | instid1(VALU_DEP_2)
	v_bfe_u32 v8, v3, 16, 1
	v_cmp_o_f32_e32 vcc_lo, v3, v3
	v_add3_u32 v8, v3, v8, 0x7fff
	s_delay_alu instid0(VALU_DEP_1) | instskip(NEXT) | instid1(VALU_DEP_1)
	v_and_b32_e32 v8, 0xffff0000, v8
	v_cndmask_b32_e32 v3, 0x7fc00000, v8, vcc_lo
	s_delay_alu instid0(VALU_DEP_1) | instskip(NEXT) | instid1(VALU_DEP_1)
	v_div_scale_f32 v8, null, v4, v4, v3
	v_rcp_f32_e32 v12, v8
	s_waitcnt_depctr 0xfff
	v_fma_f32 v13, -v8, v12, 1.0
	s_delay_alu instid0(VALU_DEP_1) | instskip(SKIP_1) | instid1(VALU_DEP_1)
	v_fmac_f32_e32 v12, v13, v12
	v_div_scale_f32 v13, vcc_lo, v3, v4, v3
	v_mul_f32_e32 v14, v13, v12
	s_delay_alu instid0(VALU_DEP_1) | instskip(NEXT) | instid1(VALU_DEP_1)
	v_fma_f32 v15, -v8, v14, v13
	v_fmac_f32_e32 v14, v15, v12
	s_delay_alu instid0(VALU_DEP_1) | instskip(NEXT) | instid1(VALU_DEP_1)
	v_fma_f32 v8, -v8, v14, v13
	v_div_fmas_f32 v8, v8, v12, v14
	s_delay_alu instid0(VALU_DEP_1) | instskip(NEXT) | instid1(VALU_DEP_1)
	v_div_fixup_f32 v3, v8, v4, v3
	v_minmax_f32 v3, v3, s7, 0xc3e00000
	s_delay_alu instid0(VALU_DEP_1) | instskip(NEXT) | instid1(VALU_DEP_1)
	v_and_b32_e32 v4, 0x7fffffff, v3
	v_cmpx_gt_u32_e32 0x43f00000, v4
	s_cbranch_execz .LBB69_81
; %bb.76:                               ;   in Loop: Header=BB69_57 Depth=1
	s_mov_b32 s13, exec_lo
                                        ; implicit-def: $vgpr2
	v_cmpx_lt_u32_e32 0x3c7fffff, v4
	s_xor_b32 s13, exec_lo, s13
; %bb.77:                               ;   in Loop: Header=BB69_57 Depth=1
	v_bfe_u32 v2, v3, 20, 1
	s_delay_alu instid0(VALU_DEP_1) | instskip(NEXT) | instid1(VALU_DEP_1)
	v_add3_u32 v2, v3, v2, 0x407ffff
	v_lshrrev_b32_e32 v2, 20, v2
; %bb.78:                               ;   in Loop: Header=BB69_57 Depth=1
	s_and_not1_saveexec_b32 s13, s13
; %bb.79:                               ;   in Loop: Header=BB69_57 Depth=1
	v_add_f32_e64 v2, 0x46800000, |v3|
; %bb.80:                               ;   in Loop: Header=BB69_57 Depth=1
	s_or_b32 exec_lo, exec_lo, s13
.LBB69_81:                              ;   in Loop: Header=BB69_57 Depth=1
	s_delay_alu instid0(SALU_CYCLE_1)
	s_or_b32 exec_lo, exec_lo, s9
	v_lshrrev_b32_e32 v4, 24, v11
	v_lshrrev_b32_e32 v8, 24, v9
	;; [unrolled: 1-line block ×3, first 2 shown]
	v_lshlrev_b32_e32 v2, 24, v2
	v_and_b32_e32 v9, 0x80000000, v3
	v_and_b32_e32 v4, 0x80, v4
	;; [unrolled: 1-line block ×4, first 2 shown]
	s_mov_b32 s13, -1
	s_mov_b32 s9, exec_lo
	v_and_or_b32 v4, 0xff, v10, v4
	v_and_or_b32 v5, 0xff, v5, v8
	;; [unrolled: 1-line block ×3, first 2 shown]
	s_delay_alu instid0(VALU_DEP_3) | instskip(SKIP_1) | instid1(VALU_DEP_4)
	v_lshlrev_b32_e32 v8, 16, v4
	v_lshlrev_b64 v[3:4], 2, v[0:1]
	v_lshlrev_b32_e32 v5, 8, v5
	s_delay_alu instid0(VALU_DEP_3) | instskip(SKIP_1) | instid1(VALU_DEP_4)
	v_or3_b32 v7, v9, v2, v8
	v_add_nc_u32_e32 v2, s34, v0
	v_add_co_u32 v3, vcc_lo, s2, v3
	v_add_co_ci_u32_e32 v4, vcc_lo, s3, v4, vcc_lo
	s_delay_alu instid0(VALU_DEP_4)
	v_or3_b32 v5, v7, v5, v6
	global_store_b32 v[3:4], v5, off
	v_cmpx_gt_u32_e64 s12, v2
	s_cbranch_execz .LBB69_56
; %bb.82:                               ;   in Loop: Header=BB69_57 Depth=1
	v_mov_b32_e32 v3, v1
	s_mov_b32 s13, exec_lo
	s_delay_alu instid0(VALU_DEP_1) | instskip(NEXT) | instid1(VALU_DEP_1)
	v_lshlrev_b64 v[4:5], 3, v[2:3]
	v_add_co_u32 v6, vcc_lo, s14, v4
	s_delay_alu instid0(VALU_DEP_2)
	v_add_co_ci_u32_e32 v7, vcc_lo, s30, v5, vcc_lo
	v_add_co_u32 v14, vcc_lo, s31, v4
	v_add_co_ci_u32_e32 v15, vcc_lo, s33, v5, vcc_lo
	v_add_co_u32 v4, vcc_lo, s10, v4
	v_add_co_ci_u32_e32 v5, vcc_lo, s11, v5, vcc_lo
	global_load_b64 v[7:8], v[6:7], off
	global_load_b64 v[9:10], v[14:15], off
	v_lshrrev_b32_e32 v6, 3, v2
	global_load_b64 v[4:5], v[4:5], off
	v_and_b32_e32 v6, 0x7fffffc, v6
	global_load_b32 v6, v6, s[0:1]
	s_waitcnt vmcnt(3)
	v_lshlrev_b32_e32 v11, 16, v7
	s_waitcnt vmcnt(1)
	v_lshlrev_b32_e32 v16, 16, v4
	v_lshlrev_b32_e32 v12, 16, v9
	s_delay_alu instid0(VALU_DEP_1) | instskip(NEXT) | instid1(VALU_DEP_1)
	v_add_f32_e32 v13, v11, v12
	v_mul_f32_e32 v11, v28, v13
	s_delay_alu instid0(VALU_DEP_1) | instskip(NEXT) | instid1(VALU_DEP_1)
	v_bfe_u32 v12, v11, 16, 1
	v_add3_u32 v12, v11, v12, 0x7fff
	s_delay_alu instid0(VALU_DEP_1) | instskip(SKIP_1) | instid1(VALU_DEP_2)
	v_and_b32_e32 v12, 0xffff0000, v12
	v_cmp_o_f32_e32 vcc_lo, v11, v11
	v_cndmask_b32_e32 v11, 0x7fc00000, v12, vcc_lo
	s_delay_alu instid0(VALU_DEP_1) | instskip(NEXT) | instid1(VALU_DEP_1)
	v_mul_f32_e32 v11, v11, v16
	v_bfe_u32 v12, v11, 16, 1
	v_cmp_o_f32_e32 vcc_lo, v11, v11
	s_delay_alu instid0(VALU_DEP_2) | instskip(NEXT) | instid1(VALU_DEP_1)
	v_add3_u32 v12, v11, v12, 0x7fff
	v_and_b32_e32 v12, 0xffff0000, v12
	s_delay_alu instid0(VALU_DEP_1)
	v_cndmask_b32_e32 v16, 0x7fc00000, v12, vcc_lo
	v_and_b32_e32 v12, 0xffff0000, v7
	v_alignbit_b32 v7, v8, v7, 16
	v_and_b32_e32 v8, 0xffff0000, v8
	s_waitcnt vmcnt(0)
	v_div_scale_f32 v17, null, v6, v6, v16
	v_div_scale_f32 v19, vcc_lo, v16, v6, v16
	s_delay_alu instid0(VALU_DEP_2) | instskip(SKIP_2) | instid1(VALU_DEP_1)
	v_rcp_f32_e32 v18, v17
	s_waitcnt_depctr 0xfff
	v_fma_f32 v11, -v17, v18, 1.0
	v_fmac_f32_e32 v18, v11, v18
	v_alignbit_b32 v11, v10, v9, 16
	v_and_b32_e32 v9, 0xffff0000, v9
	v_and_b32_e32 v10, 0xffff0000, v10
	s_delay_alu instid0(VALU_DEP_4) | instskip(NEXT) | instid1(VALU_DEP_4)
	v_dual_mul_f32 v20, v19, v18 :: v_dual_and_b32 v7, 0xffff0000, v7
	v_and_b32_e32 v21, 0xffff0000, v11
	s_delay_alu instid0(VALU_DEP_4) | instskip(NEXT) | instid1(VALU_DEP_4)
	v_add_f32_e32 v11, v12, v9
	v_add_f32_e32 v10, v8, v10
	s_delay_alu instid0(VALU_DEP_4) | instskip(NEXT) | instid1(VALU_DEP_3)
	v_fma_f32 v9, -v17, v20, v19
	v_bfe_u32 v8, v11, 16, 1
	s_delay_alu instid0(VALU_DEP_2) | instskip(NEXT) | instid1(VALU_DEP_4)
	v_fmac_f32_e32 v20, v9, v18
	v_bfe_u32 v9, v10, 16, 1
	s_delay_alu instid0(VALU_DEP_3) | instskip(NEXT) | instid1(VALU_DEP_3)
	v_add3_u32 v8, v11, v8, 0x7fff
	v_fma_f32 v17, -v17, v20, v19
	s_delay_alu instid0(VALU_DEP_3) | instskip(NEXT) | instid1(VALU_DEP_3)
	v_add3_u32 v9, v10, v9, 0x7fff
	v_and_b32_e32 v8, 0xffff0000, v8
	s_delay_alu instid0(VALU_DEP_3)
	v_div_fmas_f32 v17, v17, v18, v20
	v_cmp_o_f32_e32 vcc_lo, v11, v11
	v_add_f32_e32 v12, v7, v21
	v_bfe_u32 v7, v13, 16, 1
	v_and_b32_e32 v9, 0xffff0000, v9
	v_div_fixup_f32 v16, v17, v6, v16
	v_cndmask_b32_e32 v17, 0x7fc00000, v8, vcc_lo
	v_bfe_u32 v21, v12, 16, 1
	v_add3_u32 v7, v13, v7, 0x7fff
	v_cmp_o_f32_e32 vcc_lo, v13, v13
	v_minmax_f32 v8, v16, s7, 0xc3e00000
	s_delay_alu instid0(VALU_DEP_4) | instskip(NEXT) | instid1(VALU_DEP_4)
	v_add3_u32 v19, v12, v21, 0x7fff
	v_lshrrev_b32_e32 v7, 16, v7
	s_delay_alu instid0(VALU_DEP_3) | instskip(NEXT) | instid1(VALU_DEP_3)
	v_and_b32_e32 v13, 0x7fffffff, v8
	v_lshrrev_b32_e32 v18, 16, v19
	s_delay_alu instid0(VALU_DEP_3)
	v_cndmask_b32_e32 v7, 0x7fc0, v7, vcc_lo
	v_cmp_o_f32_e32 vcc_lo, v10, v10
	v_cndmask_b32_e32 v9, 0x7fc00000, v9, vcc_lo
	v_cmp_o_f32_e32 vcc_lo, v12, v12
	v_cndmask_b32_e32 v16, 0x7fc0, v18, vcc_lo
	v_or_b32_e32 v18, v7, v17
	v_mov_b32_e32 v7, 0x7f
	s_delay_alu instid0(VALU_DEP_3) | instskip(NEXT) | instid1(VALU_DEP_3)
	v_or3_b32 v17, 0, v16, v9
	v_or3_b32 v16, v18, 0, 0
	v_mov_b32_e32 v9, 0x7f
	global_store_b64 v[14:15], v[16:17], off
	v_cmpx_gt_u32_e32 0x43f00000, v13
	s_cbranch_execz .LBB69_88
; %bb.83:                               ;   in Loop: Header=BB69_57 Depth=1
	s_mov_b32 s15, exec_lo
                                        ; implicit-def: $vgpr9
	v_cmpx_lt_u32_e32 0x3c7fffff, v13
	s_xor_b32 s15, exec_lo, s15
; %bb.84:                               ;   in Loop: Header=BB69_57 Depth=1
	v_bfe_u32 v9, v8, 20, 1
	s_delay_alu instid0(VALU_DEP_1) | instskip(NEXT) | instid1(VALU_DEP_1)
	v_add3_u32 v9, v8, v9, 0x407ffff
	v_lshrrev_b32_e32 v9, 20, v9
; %bb.85:                               ;   in Loop: Header=BB69_57 Depth=1
	s_and_not1_saveexec_b32 s15, s15
; %bb.86:                               ;   in Loop: Header=BB69_57 Depth=1
	v_add_f32_e64 v9, 0x46800000, |v8|
; %bb.87:                               ;   in Loop: Header=BB69_57 Depth=1
	s_or_b32 exec_lo, exec_lo, s15
.LBB69_88:                              ;   in Loop: Header=BB69_57 Depth=1
	s_delay_alu instid0(SALU_CYCLE_1) | instskip(SKIP_2) | instid1(VALU_DEP_1)
	s_or_b32 exec_lo, exec_lo, s13
	v_dual_mul_f32 v11, v28, v11 :: v_dual_and_b32 v14, 0xffff0000, v4
	s_mov_b32 s13, exec_lo
	v_bfe_u32 v13, v11, 16, 1
	v_cmp_o_f32_e32 vcc_lo, v11, v11
	s_delay_alu instid0(VALU_DEP_2) | instskip(NEXT) | instid1(VALU_DEP_1)
	v_add3_u32 v13, v11, v13, 0x7fff
	v_and_b32_e32 v13, 0xffff0000, v13
	s_delay_alu instid0(VALU_DEP_1) | instskip(NEXT) | instid1(VALU_DEP_1)
	v_cndmask_b32_e32 v11, 0x7fc00000, v13, vcc_lo
	v_mul_f32_e32 v11, v11, v14
	s_delay_alu instid0(VALU_DEP_1) | instskip(SKIP_1) | instid1(VALU_DEP_2)
	v_bfe_u32 v13, v11, 16, 1
	v_cmp_o_f32_e32 vcc_lo, v11, v11
	v_add3_u32 v13, v11, v13, 0x7fff
	s_delay_alu instid0(VALU_DEP_1) | instskip(NEXT) | instid1(VALU_DEP_1)
	v_and_b32_e32 v13, 0xffff0000, v13
	v_cndmask_b32_e32 v11, 0x7fc00000, v13, vcc_lo
	s_delay_alu instid0(VALU_DEP_1) | instskip(NEXT) | instid1(VALU_DEP_1)
	v_div_scale_f32 v13, null, v6, v6, v11
	v_rcp_f32_e32 v14, v13
	s_waitcnt_depctr 0xfff
	v_fma_f32 v15, -v13, v14, 1.0
	s_delay_alu instid0(VALU_DEP_1) | instskip(SKIP_1) | instid1(VALU_DEP_1)
	v_fmac_f32_e32 v14, v15, v14
	v_div_scale_f32 v15, vcc_lo, v11, v6, v11
	v_mul_f32_e32 v16, v15, v14
	s_delay_alu instid0(VALU_DEP_1) | instskip(NEXT) | instid1(VALU_DEP_1)
	v_fma_f32 v17, -v13, v16, v15
	v_fmac_f32_e32 v16, v17, v14
	s_delay_alu instid0(VALU_DEP_1) | instskip(NEXT) | instid1(VALU_DEP_1)
	v_fma_f32 v13, -v13, v16, v15
	v_div_fmas_f32 v13, v13, v14, v16
	s_delay_alu instid0(VALU_DEP_1) | instskip(NEXT) | instid1(VALU_DEP_1)
	v_div_fixup_f32 v11, v13, v6, v11
	v_minmax_f32 v11, v11, s7, 0xc3e00000
	s_delay_alu instid0(VALU_DEP_1) | instskip(NEXT) | instid1(VALU_DEP_1)
	v_and_b32_e32 v13, 0x7fffffff, v11
	v_cmpx_gt_u32_e32 0x43f00000, v13
	s_cbranch_execz .LBB69_94
; %bb.89:                               ;   in Loop: Header=BB69_57 Depth=1
	s_mov_b32 s15, exec_lo
                                        ; implicit-def: $vgpr7
	v_cmpx_lt_u32_e32 0x3c7fffff, v13
	s_xor_b32 s15, exec_lo, s15
; %bb.90:                               ;   in Loop: Header=BB69_57 Depth=1
	v_bfe_u32 v7, v11, 20, 1
	s_delay_alu instid0(VALU_DEP_1) | instskip(NEXT) | instid1(VALU_DEP_1)
	v_add3_u32 v7, v11, v7, 0x407ffff
	v_lshrrev_b32_e32 v7, 20, v7
; %bb.91:                               ;   in Loop: Header=BB69_57 Depth=1
	s_and_not1_saveexec_b32 s15, s15
; %bb.92:                               ;   in Loop: Header=BB69_57 Depth=1
	v_add_f32_e64 v7, 0x46800000, |v11|
; %bb.93:                               ;   in Loop: Header=BB69_57 Depth=1
	s_or_b32 exec_lo, exec_lo, s15
.LBB69_94:                              ;   in Loop: Header=BB69_57 Depth=1
	s_delay_alu instid0(SALU_CYCLE_1) | instskip(SKIP_3) | instid1(VALU_DEP_2)
	s_or_b32 exec_lo, exec_lo, s13
	v_mul_f32_e32 v12, v28, v12
	v_alignbit_b32 v4, v5, v4, 16
	s_mov_b32 s13, exec_lo
	v_bfe_u32 v13, v12, 16, 1
	s_delay_alu instid0(VALU_DEP_2) | instskip(NEXT) | instid1(VALU_DEP_2)
	v_and_b32_e32 v4, 0xffff0000, v4
	v_add3_u32 v13, v12, v13, 0x7fff
	s_delay_alu instid0(VALU_DEP_1) | instskip(SKIP_1) | instid1(VALU_DEP_2)
	v_and_b32_e32 v13, 0xffff0000, v13
	v_cmp_o_f32_e32 vcc_lo, v12, v12
	v_cndmask_b32_e32 v12, 0x7fc00000, v13, vcc_lo
	s_delay_alu instid0(VALU_DEP_1) | instskip(NEXT) | instid1(VALU_DEP_1)
	v_mul_f32_e32 v4, v12, v4
	v_bfe_u32 v12, v4, 16, 1
	v_cmp_o_f32_e32 vcc_lo, v4, v4
	s_delay_alu instid0(VALU_DEP_2) | instskip(NEXT) | instid1(VALU_DEP_1)
	v_add3_u32 v12, v4, v12, 0x7fff
	v_and_b32_e32 v12, 0xffff0000, v12
	s_delay_alu instid0(VALU_DEP_1) | instskip(NEXT) | instid1(VALU_DEP_1)
	v_cndmask_b32_e32 v4, 0x7fc00000, v12, vcc_lo
	v_div_scale_f32 v12, null, v6, v6, v4
	v_div_scale_f32 v15, vcc_lo, v4, v6, v4
	s_delay_alu instid0(VALU_DEP_2) | instskip(SKIP_2) | instid1(VALU_DEP_1)
	v_rcp_f32_e32 v13, v12
	s_waitcnt_depctr 0xfff
	v_fma_f32 v14, -v12, v13, 1.0
	v_fmac_f32_e32 v13, v14, v13
	s_delay_alu instid0(VALU_DEP_1) | instskip(NEXT) | instid1(VALU_DEP_1)
	v_mul_f32_e32 v14, v15, v13
	v_fma_f32 v16, -v12, v14, v15
	s_delay_alu instid0(VALU_DEP_1) | instskip(NEXT) | instid1(VALU_DEP_1)
	v_fmac_f32_e32 v14, v16, v13
	v_fma_f32 v12, -v12, v14, v15
	s_delay_alu instid0(VALU_DEP_1) | instskip(NEXT) | instid1(VALU_DEP_1)
	v_div_fmas_f32 v12, v12, v13, v14
	v_div_fixup_f32 v4, v12, v6, v4
	v_mov_b32_e32 v12, 0x7f
	s_delay_alu instid0(VALU_DEP_2) | instskip(SKIP_1) | instid1(VALU_DEP_2)
	v_minmax_f32 v13, v4, s7, 0xc3e00000
	v_mov_b32_e32 v4, 0x7f
	v_and_b32_e32 v14, 0x7fffffff, v13
	s_delay_alu instid0(VALU_DEP_1)
	v_cmpx_gt_u32_e32 0x43f00000, v14
	s_cbranch_execz .LBB69_100
; %bb.95:                               ;   in Loop: Header=BB69_57 Depth=1
	s_mov_b32 s15, exec_lo
                                        ; implicit-def: $vgpr12
	v_cmpx_lt_u32_e32 0x3c7fffff, v14
	s_xor_b32 s15, exec_lo, s15
; %bb.96:                               ;   in Loop: Header=BB69_57 Depth=1
	v_bfe_u32 v12, v13, 20, 1
	s_delay_alu instid0(VALU_DEP_1) | instskip(NEXT) | instid1(VALU_DEP_1)
	v_add3_u32 v12, v13, v12, 0x407ffff
	v_lshrrev_b32_e32 v12, 20, v12
; %bb.97:                               ;   in Loop: Header=BB69_57 Depth=1
	s_and_not1_saveexec_b32 s15, s15
; %bb.98:                               ;   in Loop: Header=BB69_57 Depth=1
	v_add_f32_e64 v12, 0x46800000, |v13|
; %bb.99:                               ;   in Loop: Header=BB69_57 Depth=1
	s_or_b32 exec_lo, exec_lo, s15
.LBB69_100:                             ;   in Loop: Header=BB69_57 Depth=1
	s_delay_alu instid0(SALU_CYCLE_1) | instskip(SKIP_2) | instid1(VALU_DEP_1)
	s_or_b32 exec_lo, exec_lo, s13
	v_dual_mul_f32 v10, v28, v10 :: v_dual_and_b32 v5, 0xffff0000, v5
	s_mov_b32 s13, exec_lo
	v_bfe_u32 v14, v10, 16, 1
	v_cmp_o_f32_e32 vcc_lo, v10, v10
	s_delay_alu instid0(VALU_DEP_2) | instskip(NEXT) | instid1(VALU_DEP_1)
	v_add3_u32 v14, v10, v14, 0x7fff
	v_and_b32_e32 v14, 0xffff0000, v14
	s_delay_alu instid0(VALU_DEP_1) | instskip(NEXT) | instid1(VALU_DEP_1)
	v_cndmask_b32_e32 v10, 0x7fc00000, v14, vcc_lo
	v_mul_f32_e32 v5, v10, v5
	s_delay_alu instid0(VALU_DEP_1) | instskip(SKIP_1) | instid1(VALU_DEP_2)
	v_bfe_u32 v10, v5, 16, 1
	v_cmp_o_f32_e32 vcc_lo, v5, v5
	v_add3_u32 v10, v5, v10, 0x7fff
	s_delay_alu instid0(VALU_DEP_1) | instskip(NEXT) | instid1(VALU_DEP_1)
	v_and_b32_e32 v10, 0xffff0000, v10
	v_cndmask_b32_e32 v5, 0x7fc00000, v10, vcc_lo
	s_delay_alu instid0(VALU_DEP_1) | instskip(NEXT) | instid1(VALU_DEP_1)
	v_div_scale_f32 v10, null, v6, v6, v5
	v_rcp_f32_e32 v14, v10
	s_waitcnt_depctr 0xfff
	v_fma_f32 v15, -v10, v14, 1.0
	s_delay_alu instid0(VALU_DEP_1) | instskip(SKIP_1) | instid1(VALU_DEP_1)
	v_fmac_f32_e32 v14, v15, v14
	v_div_scale_f32 v15, vcc_lo, v5, v6, v5
	v_mul_f32_e32 v16, v15, v14
	s_delay_alu instid0(VALU_DEP_1) | instskip(NEXT) | instid1(VALU_DEP_1)
	v_fma_f32 v17, -v10, v16, v15
	v_fmac_f32_e32 v16, v17, v14
	s_delay_alu instid0(VALU_DEP_1) | instskip(NEXT) | instid1(VALU_DEP_1)
	v_fma_f32 v10, -v10, v16, v15
	v_div_fmas_f32 v10, v10, v14, v16
	s_delay_alu instid0(VALU_DEP_1) | instskip(NEXT) | instid1(VALU_DEP_1)
	v_div_fixup_f32 v5, v10, v6, v5
	v_minmax_f32 v5, v5, s7, 0xc3e00000
	s_delay_alu instid0(VALU_DEP_1) | instskip(NEXT) | instid1(VALU_DEP_1)
	v_and_b32_e32 v6, 0x7fffffff, v5
	v_cmpx_gt_u32_e32 0x43f00000, v6
	s_cbranch_execz .LBB69_106
; %bb.101:                              ;   in Loop: Header=BB69_57 Depth=1
	s_mov_b32 s15, exec_lo
                                        ; implicit-def: $vgpr4
	v_cmpx_lt_u32_e32 0x3c7fffff, v6
	s_xor_b32 s15, exec_lo, s15
; %bb.102:                              ;   in Loop: Header=BB69_57 Depth=1
	v_bfe_u32 v4, v5, 20, 1
	s_delay_alu instid0(VALU_DEP_1) | instskip(NEXT) | instid1(VALU_DEP_1)
	v_add3_u32 v4, v5, v4, 0x407ffff
	v_lshrrev_b32_e32 v4, 20, v4
; %bb.103:                              ;   in Loop: Header=BB69_57 Depth=1
	s_and_not1_saveexec_b32 s15, s15
; %bb.104:                              ;   in Loop: Header=BB69_57 Depth=1
	v_add_f32_e64 v4, 0x46800000, |v5|
; %bb.105:                              ;   in Loop: Header=BB69_57 Depth=1
	s_or_b32 exec_lo, exec_lo, s15
.LBB69_106:                             ;   in Loop: Header=BB69_57 Depth=1
	s_delay_alu instid0(SALU_CYCLE_1)
	s_or_b32 exec_lo, exec_lo, s13
	v_lshrrev_b32_e32 v6, 24, v13
	v_lshrrev_b32_e32 v10, 24, v11
	;; [unrolled: 1-line block ×3, first 2 shown]
	v_lshlrev_b32_e32 v11, 24, v4
	v_and_b32_e32 v9, 0xff, v9
	v_and_b32_e32 v6, 0x80, v6
	v_and_b32_e32 v10, 0x80, v10
	s_mov_b32 s15, -1
	s_mov_b32 s13, exec_lo
	v_and_or_b32 v8, 0x80, v8, v9
	v_and_or_b32 v6, 0xff, v12, v6
	v_and_b32_e32 v12, 0x80000000, v5
	v_and_or_b32 v7, 0xff, v7, v10
	v_lshlrev_b64 v[4:5], 2, v[2:3]
	v_add_nc_u32_e32 v3, s5, v0
	v_lshlrev_b32_e32 v6, 16, v6
	s_delay_alu instid0(VALU_DEP_4) | instskip(NEXT) | instid1(VALU_DEP_4)
	v_lshlrev_b32_e32 v7, 8, v7
	v_add_co_u32 v4, vcc_lo, s2, v4
	s_delay_alu instid0(VALU_DEP_3) | instskip(SKIP_1) | instid1(VALU_DEP_2)
	v_or3_b32 v6, v12, v11, v6
	v_add_co_ci_u32_e32 v5, vcc_lo, s3, v5, vcc_lo
	v_or3_b32 v6, v6, v7, v8
	global_store_b32 v[4:5], v6, off
	v_cmpx_gt_u32_e64 s12, v3
	s_cbranch_execz .LBB69_55
; %bb.107:                              ;   in Loop: Header=BB69_57 Depth=1
	v_mov_b32_e32 v4, v1
	s_mov_b32 s15, exec_lo
	s_delay_alu instid0(VALU_DEP_1) | instskip(NEXT) | instid1(VALU_DEP_1)
	v_lshlrev_b64 v[5:6], 3, v[3:4]
	v_add_co_u32 v7, vcc_lo, s14, v5
	s_delay_alu instid0(VALU_DEP_2)
	v_add_co_ci_u32_e32 v8, vcc_lo, s30, v6, vcc_lo
	v_add_co_u32 v15, vcc_lo, s31, v5
	v_add_co_ci_u32_e32 v16, vcc_lo, s33, v6, vcc_lo
	v_add_co_u32 v5, vcc_lo, s10, v5
	v_add_co_ci_u32_e32 v6, vcc_lo, s11, v6, vcc_lo
	global_load_b64 v[8:9], v[7:8], off
	global_load_b64 v[10:11], v[15:16], off
	v_lshrrev_b32_e32 v7, 3, v3
	global_load_b64 v[5:6], v[5:6], off
	v_and_b32_e32 v7, 0x7fffffc, v7
	global_load_b32 v7, v7, s[0:1]
	s_waitcnt vmcnt(3)
	v_lshlrev_b32_e32 v12, 16, v8
	s_waitcnt vmcnt(1)
	v_lshlrev_b32_e32 v17, 16, v5
	v_lshlrev_b32_e32 v13, 16, v10
	s_delay_alu instid0(VALU_DEP_1) | instskip(NEXT) | instid1(VALU_DEP_1)
	v_add_f32_e32 v14, v12, v13
	v_mul_f32_e32 v12, v28, v14
	s_delay_alu instid0(VALU_DEP_1) | instskip(NEXT) | instid1(VALU_DEP_1)
	v_bfe_u32 v13, v12, 16, 1
	v_add3_u32 v13, v12, v13, 0x7fff
	s_delay_alu instid0(VALU_DEP_1) | instskip(SKIP_1) | instid1(VALU_DEP_2)
	v_and_b32_e32 v13, 0xffff0000, v13
	v_cmp_o_f32_e32 vcc_lo, v12, v12
	v_cndmask_b32_e32 v12, 0x7fc00000, v13, vcc_lo
	s_delay_alu instid0(VALU_DEP_1) | instskip(NEXT) | instid1(VALU_DEP_1)
	v_mul_f32_e32 v12, v12, v17
	v_bfe_u32 v13, v12, 16, 1
	v_cmp_o_f32_e32 vcc_lo, v12, v12
	s_delay_alu instid0(VALU_DEP_2) | instskip(NEXT) | instid1(VALU_DEP_1)
	v_add3_u32 v13, v12, v13, 0x7fff
	v_and_b32_e32 v13, 0xffff0000, v13
	s_delay_alu instid0(VALU_DEP_1)
	v_cndmask_b32_e32 v17, 0x7fc00000, v13, vcc_lo
	v_and_b32_e32 v13, 0xffff0000, v8
	v_alignbit_b32 v8, v9, v8, 16
	v_and_b32_e32 v9, 0xffff0000, v9
	s_waitcnt vmcnt(0)
	v_div_scale_f32 v18, null, v7, v7, v17
	v_div_scale_f32 v20, vcc_lo, v17, v7, v17
	s_delay_alu instid0(VALU_DEP_2) | instskip(SKIP_2) | instid1(VALU_DEP_1)
	v_rcp_f32_e32 v19, v18
	s_waitcnt_depctr 0xfff
	v_fma_f32 v12, -v18, v19, 1.0
	v_fmac_f32_e32 v19, v12, v19
	v_alignbit_b32 v12, v11, v10, 16
	v_and_b32_e32 v10, 0xffff0000, v10
	v_and_b32_e32 v11, 0xffff0000, v11
	s_delay_alu instid0(VALU_DEP_4) | instskip(NEXT) | instid1(VALU_DEP_4)
	v_dual_mul_f32 v21, v20, v19 :: v_dual_and_b32 v8, 0xffff0000, v8
	v_and_b32_e32 v22, 0xffff0000, v12
	s_delay_alu instid0(VALU_DEP_4) | instskip(NEXT) | instid1(VALU_DEP_4)
	v_add_f32_e32 v12, v13, v10
	v_add_f32_e32 v11, v9, v11
	s_delay_alu instid0(VALU_DEP_4) | instskip(NEXT) | instid1(VALU_DEP_3)
	v_fma_f32 v10, -v18, v21, v20
	v_bfe_u32 v9, v12, 16, 1
	s_delay_alu instid0(VALU_DEP_2) | instskip(NEXT) | instid1(VALU_DEP_4)
	v_fmac_f32_e32 v21, v10, v19
	v_bfe_u32 v10, v11, 16, 1
	s_delay_alu instid0(VALU_DEP_3) | instskip(NEXT) | instid1(VALU_DEP_3)
	v_add3_u32 v9, v12, v9, 0x7fff
	v_fma_f32 v18, -v18, v21, v20
	s_delay_alu instid0(VALU_DEP_3) | instskip(NEXT) | instid1(VALU_DEP_3)
	v_add3_u32 v10, v11, v10, 0x7fff
	v_and_b32_e32 v9, 0xffff0000, v9
	s_delay_alu instid0(VALU_DEP_3)
	v_div_fmas_f32 v18, v18, v19, v21
	v_cmp_o_f32_e32 vcc_lo, v12, v12
	v_add_f32_e32 v13, v8, v22
	v_bfe_u32 v8, v14, 16, 1
	v_and_b32_e32 v10, 0xffff0000, v10
	v_div_fixup_f32 v17, v18, v7, v17
	v_cndmask_b32_e32 v18, 0x7fc00000, v9, vcc_lo
	v_bfe_u32 v22, v13, 16, 1
	v_add3_u32 v8, v14, v8, 0x7fff
	v_cmp_o_f32_e32 vcc_lo, v14, v14
	v_minmax_f32 v9, v17, s7, 0xc3e00000
	s_delay_alu instid0(VALU_DEP_4) | instskip(NEXT) | instid1(VALU_DEP_4)
	v_add3_u32 v20, v13, v22, 0x7fff
	v_lshrrev_b32_e32 v8, 16, v8
	s_delay_alu instid0(VALU_DEP_3) | instskip(NEXT) | instid1(VALU_DEP_3)
	v_and_b32_e32 v14, 0x7fffffff, v9
	v_lshrrev_b32_e32 v19, 16, v20
	s_delay_alu instid0(VALU_DEP_3)
	v_cndmask_b32_e32 v8, 0x7fc0, v8, vcc_lo
	v_cmp_o_f32_e32 vcc_lo, v11, v11
	v_cndmask_b32_e32 v10, 0x7fc00000, v10, vcc_lo
	v_cmp_o_f32_e32 vcc_lo, v13, v13
	v_cndmask_b32_e32 v17, 0x7fc0, v19, vcc_lo
	v_or_b32_e32 v19, v8, v18
	v_mov_b32_e32 v8, 0x7f
	s_delay_alu instid0(VALU_DEP_3) | instskip(NEXT) | instid1(VALU_DEP_3)
	v_or3_b32 v18, 0, v17, v10
	v_or3_b32 v17, v19, 0, 0
	v_mov_b32_e32 v10, 0x7f
	global_store_b64 v[15:16], v[17:18], off
	v_cmpx_gt_u32_e32 0x43f00000, v14
	s_cbranch_execz .LBB69_113
; %bb.108:                              ;   in Loop: Header=BB69_57 Depth=1
	s_mov_b32 s16, exec_lo
                                        ; implicit-def: $vgpr10
	v_cmpx_lt_u32_e32 0x3c7fffff, v14
	s_xor_b32 s16, exec_lo, s16
; %bb.109:                              ;   in Loop: Header=BB69_57 Depth=1
	v_bfe_u32 v10, v9, 20, 1
	s_delay_alu instid0(VALU_DEP_1) | instskip(NEXT) | instid1(VALU_DEP_1)
	v_add3_u32 v10, v9, v10, 0x407ffff
	v_lshrrev_b32_e32 v10, 20, v10
; %bb.110:                              ;   in Loop: Header=BB69_57 Depth=1
	s_and_not1_saveexec_b32 s16, s16
; %bb.111:                              ;   in Loop: Header=BB69_57 Depth=1
	v_add_f32_e64 v10, 0x46800000, |v9|
; %bb.112:                              ;   in Loop: Header=BB69_57 Depth=1
	s_or_b32 exec_lo, exec_lo, s16
.LBB69_113:                             ;   in Loop: Header=BB69_57 Depth=1
	s_delay_alu instid0(SALU_CYCLE_1) | instskip(SKIP_2) | instid1(VALU_DEP_1)
	s_or_b32 exec_lo, exec_lo, s15
	v_dual_mul_f32 v12, v28, v12 :: v_dual_and_b32 v15, 0xffff0000, v5
	s_mov_b32 s15, exec_lo
	v_bfe_u32 v14, v12, 16, 1
	v_cmp_o_f32_e32 vcc_lo, v12, v12
	s_delay_alu instid0(VALU_DEP_2) | instskip(NEXT) | instid1(VALU_DEP_1)
	v_add3_u32 v14, v12, v14, 0x7fff
	v_and_b32_e32 v14, 0xffff0000, v14
	s_delay_alu instid0(VALU_DEP_1) | instskip(NEXT) | instid1(VALU_DEP_1)
	v_cndmask_b32_e32 v12, 0x7fc00000, v14, vcc_lo
	v_mul_f32_e32 v12, v12, v15
	s_delay_alu instid0(VALU_DEP_1) | instskip(SKIP_1) | instid1(VALU_DEP_2)
	v_bfe_u32 v14, v12, 16, 1
	v_cmp_o_f32_e32 vcc_lo, v12, v12
	v_add3_u32 v14, v12, v14, 0x7fff
	s_delay_alu instid0(VALU_DEP_1) | instskip(NEXT) | instid1(VALU_DEP_1)
	v_and_b32_e32 v14, 0xffff0000, v14
	v_cndmask_b32_e32 v12, 0x7fc00000, v14, vcc_lo
	s_delay_alu instid0(VALU_DEP_1) | instskip(NEXT) | instid1(VALU_DEP_1)
	v_div_scale_f32 v14, null, v7, v7, v12
	v_rcp_f32_e32 v15, v14
	s_waitcnt_depctr 0xfff
	v_fma_f32 v16, -v14, v15, 1.0
	s_delay_alu instid0(VALU_DEP_1) | instskip(SKIP_1) | instid1(VALU_DEP_1)
	v_fmac_f32_e32 v15, v16, v15
	v_div_scale_f32 v16, vcc_lo, v12, v7, v12
	v_mul_f32_e32 v17, v16, v15
	s_delay_alu instid0(VALU_DEP_1) | instskip(NEXT) | instid1(VALU_DEP_1)
	v_fma_f32 v18, -v14, v17, v16
	v_fmac_f32_e32 v17, v18, v15
	s_delay_alu instid0(VALU_DEP_1) | instskip(NEXT) | instid1(VALU_DEP_1)
	v_fma_f32 v14, -v14, v17, v16
	v_div_fmas_f32 v14, v14, v15, v17
	s_delay_alu instid0(VALU_DEP_1) | instskip(NEXT) | instid1(VALU_DEP_1)
	v_div_fixup_f32 v12, v14, v7, v12
	v_minmax_f32 v12, v12, s7, 0xc3e00000
	s_delay_alu instid0(VALU_DEP_1) | instskip(NEXT) | instid1(VALU_DEP_1)
	v_and_b32_e32 v14, 0x7fffffff, v12
	v_cmpx_gt_u32_e32 0x43f00000, v14
	s_cbranch_execz .LBB69_119
; %bb.114:                              ;   in Loop: Header=BB69_57 Depth=1
	s_mov_b32 s16, exec_lo
                                        ; implicit-def: $vgpr8
	v_cmpx_lt_u32_e32 0x3c7fffff, v14
	s_xor_b32 s16, exec_lo, s16
; %bb.115:                              ;   in Loop: Header=BB69_57 Depth=1
	v_bfe_u32 v8, v12, 20, 1
	s_delay_alu instid0(VALU_DEP_1) | instskip(NEXT) | instid1(VALU_DEP_1)
	v_add3_u32 v8, v12, v8, 0x407ffff
	v_lshrrev_b32_e32 v8, 20, v8
; %bb.116:                              ;   in Loop: Header=BB69_57 Depth=1
	s_and_not1_saveexec_b32 s16, s16
; %bb.117:                              ;   in Loop: Header=BB69_57 Depth=1
	v_add_f32_e64 v8, 0x46800000, |v12|
; %bb.118:                              ;   in Loop: Header=BB69_57 Depth=1
	s_or_b32 exec_lo, exec_lo, s16
.LBB69_119:                             ;   in Loop: Header=BB69_57 Depth=1
	s_delay_alu instid0(SALU_CYCLE_1) | instskip(SKIP_3) | instid1(VALU_DEP_2)
	s_or_b32 exec_lo, exec_lo, s15
	v_mul_f32_e32 v13, v28, v13
	v_alignbit_b32 v5, v6, v5, 16
	s_mov_b32 s15, exec_lo
	v_bfe_u32 v14, v13, 16, 1
	s_delay_alu instid0(VALU_DEP_2) | instskip(NEXT) | instid1(VALU_DEP_2)
	v_and_b32_e32 v5, 0xffff0000, v5
	v_add3_u32 v14, v13, v14, 0x7fff
	s_delay_alu instid0(VALU_DEP_1) | instskip(SKIP_1) | instid1(VALU_DEP_2)
	v_and_b32_e32 v14, 0xffff0000, v14
	v_cmp_o_f32_e32 vcc_lo, v13, v13
	v_cndmask_b32_e32 v13, 0x7fc00000, v14, vcc_lo
	s_delay_alu instid0(VALU_DEP_1) | instskip(NEXT) | instid1(VALU_DEP_1)
	v_mul_f32_e32 v5, v13, v5
	v_bfe_u32 v13, v5, 16, 1
	v_cmp_o_f32_e32 vcc_lo, v5, v5
	s_delay_alu instid0(VALU_DEP_2) | instskip(NEXT) | instid1(VALU_DEP_1)
	v_add3_u32 v13, v5, v13, 0x7fff
	v_and_b32_e32 v13, 0xffff0000, v13
	s_delay_alu instid0(VALU_DEP_1) | instskip(NEXT) | instid1(VALU_DEP_1)
	v_cndmask_b32_e32 v5, 0x7fc00000, v13, vcc_lo
	v_div_scale_f32 v13, null, v7, v7, v5
	v_div_scale_f32 v16, vcc_lo, v5, v7, v5
	s_delay_alu instid0(VALU_DEP_2) | instskip(SKIP_2) | instid1(VALU_DEP_1)
	v_rcp_f32_e32 v14, v13
	s_waitcnt_depctr 0xfff
	v_fma_f32 v15, -v13, v14, 1.0
	v_fmac_f32_e32 v14, v15, v14
	s_delay_alu instid0(VALU_DEP_1) | instskip(NEXT) | instid1(VALU_DEP_1)
	v_mul_f32_e32 v15, v16, v14
	v_fma_f32 v17, -v13, v15, v16
	s_delay_alu instid0(VALU_DEP_1) | instskip(NEXT) | instid1(VALU_DEP_1)
	v_fmac_f32_e32 v15, v17, v14
	v_fma_f32 v13, -v13, v15, v16
	s_delay_alu instid0(VALU_DEP_1) | instskip(NEXT) | instid1(VALU_DEP_1)
	v_div_fmas_f32 v13, v13, v14, v15
	v_div_fixup_f32 v5, v13, v7, v5
	v_mov_b32_e32 v13, 0x7f
	s_delay_alu instid0(VALU_DEP_2) | instskip(SKIP_1) | instid1(VALU_DEP_2)
	v_minmax_f32 v14, v5, s7, 0xc3e00000
	v_mov_b32_e32 v5, 0x7f
	v_and_b32_e32 v15, 0x7fffffff, v14
	s_delay_alu instid0(VALU_DEP_1)
	v_cmpx_gt_u32_e32 0x43f00000, v15
	s_cbranch_execz .LBB69_125
; %bb.120:                              ;   in Loop: Header=BB69_57 Depth=1
	s_mov_b32 s16, exec_lo
                                        ; implicit-def: $vgpr13
	v_cmpx_lt_u32_e32 0x3c7fffff, v15
	s_xor_b32 s16, exec_lo, s16
; %bb.121:                              ;   in Loop: Header=BB69_57 Depth=1
	v_bfe_u32 v13, v14, 20, 1
	s_delay_alu instid0(VALU_DEP_1) | instskip(NEXT) | instid1(VALU_DEP_1)
	v_add3_u32 v13, v14, v13, 0x407ffff
	v_lshrrev_b32_e32 v13, 20, v13
; %bb.122:                              ;   in Loop: Header=BB69_57 Depth=1
	s_and_not1_saveexec_b32 s16, s16
; %bb.123:                              ;   in Loop: Header=BB69_57 Depth=1
	v_add_f32_e64 v13, 0x46800000, |v14|
; %bb.124:                              ;   in Loop: Header=BB69_57 Depth=1
	s_or_b32 exec_lo, exec_lo, s16
.LBB69_125:                             ;   in Loop: Header=BB69_57 Depth=1
	s_delay_alu instid0(SALU_CYCLE_1) | instskip(SKIP_2) | instid1(VALU_DEP_1)
	s_or_b32 exec_lo, exec_lo, s15
	v_dual_mul_f32 v11, v28, v11 :: v_dual_and_b32 v6, 0xffff0000, v6
	s_mov_b32 s15, exec_lo
	v_bfe_u32 v15, v11, 16, 1
	v_cmp_o_f32_e32 vcc_lo, v11, v11
	s_delay_alu instid0(VALU_DEP_2) | instskip(NEXT) | instid1(VALU_DEP_1)
	v_add3_u32 v15, v11, v15, 0x7fff
	v_and_b32_e32 v15, 0xffff0000, v15
	s_delay_alu instid0(VALU_DEP_1) | instskip(NEXT) | instid1(VALU_DEP_1)
	v_cndmask_b32_e32 v11, 0x7fc00000, v15, vcc_lo
	v_mul_f32_e32 v6, v11, v6
	s_delay_alu instid0(VALU_DEP_1) | instskip(SKIP_1) | instid1(VALU_DEP_2)
	v_bfe_u32 v11, v6, 16, 1
	v_cmp_o_f32_e32 vcc_lo, v6, v6
	v_add3_u32 v11, v6, v11, 0x7fff
	s_delay_alu instid0(VALU_DEP_1) | instskip(NEXT) | instid1(VALU_DEP_1)
	v_and_b32_e32 v11, 0xffff0000, v11
	v_cndmask_b32_e32 v6, 0x7fc00000, v11, vcc_lo
	s_delay_alu instid0(VALU_DEP_1) | instskip(NEXT) | instid1(VALU_DEP_1)
	v_div_scale_f32 v11, null, v7, v7, v6
	v_rcp_f32_e32 v15, v11
	s_waitcnt_depctr 0xfff
	v_fma_f32 v16, -v11, v15, 1.0
	s_delay_alu instid0(VALU_DEP_1) | instskip(SKIP_1) | instid1(VALU_DEP_1)
	v_fmac_f32_e32 v15, v16, v15
	v_div_scale_f32 v16, vcc_lo, v6, v7, v6
	v_mul_f32_e32 v17, v16, v15
	s_delay_alu instid0(VALU_DEP_1) | instskip(NEXT) | instid1(VALU_DEP_1)
	v_fma_f32 v18, -v11, v17, v16
	v_fmac_f32_e32 v17, v18, v15
	s_delay_alu instid0(VALU_DEP_1) | instskip(NEXT) | instid1(VALU_DEP_1)
	v_fma_f32 v11, -v11, v17, v16
	v_div_fmas_f32 v11, v11, v15, v17
	s_delay_alu instid0(VALU_DEP_1) | instskip(NEXT) | instid1(VALU_DEP_1)
	v_div_fixup_f32 v6, v11, v7, v6
	v_minmax_f32 v6, v6, s7, 0xc3e00000
	s_delay_alu instid0(VALU_DEP_1) | instskip(NEXT) | instid1(VALU_DEP_1)
	v_and_b32_e32 v7, 0x7fffffff, v6
	v_cmpx_gt_u32_e32 0x43f00000, v7
	s_cbranch_execz .LBB69_131
; %bb.126:                              ;   in Loop: Header=BB69_57 Depth=1
	s_mov_b32 s16, exec_lo
                                        ; implicit-def: $vgpr5
	v_cmpx_lt_u32_e32 0x3c7fffff, v7
	s_xor_b32 s16, exec_lo, s16
; %bb.127:                              ;   in Loop: Header=BB69_57 Depth=1
	v_bfe_u32 v5, v6, 20, 1
	s_delay_alu instid0(VALU_DEP_1) | instskip(NEXT) | instid1(VALU_DEP_1)
	v_add3_u32 v5, v6, v5, 0x407ffff
	v_lshrrev_b32_e32 v5, 20, v5
; %bb.128:                              ;   in Loop: Header=BB69_57 Depth=1
	s_and_not1_saveexec_b32 s16, s16
; %bb.129:                              ;   in Loop: Header=BB69_57 Depth=1
	v_add_f32_e64 v5, 0x46800000, |v6|
; %bb.130:                              ;   in Loop: Header=BB69_57 Depth=1
	s_or_b32 exec_lo, exec_lo, s16
.LBB69_131:                             ;   in Loop: Header=BB69_57 Depth=1
	s_delay_alu instid0(SALU_CYCLE_1)
	s_or_b32 exec_lo, exec_lo, s15
	v_lshrrev_b32_e32 v7, 24, v14
	v_lshrrev_b32_e32 v11, 24, v12
	;; [unrolled: 1-line block ×3, first 2 shown]
	v_lshlrev_b32_e32 v5, 24, v5
	v_and_b32_e32 v6, 0x80000000, v6
	v_and_b32_e32 v7, 0x80, v7
	;; [unrolled: 1-line block ×4, first 2 shown]
	v_lshlrev_b64 v[3:4], 2, v[3:4]
	v_add_nc_u32_e32 v0, s4, v0
	v_and_or_b32 v7, 0xff, v13, v7
	v_and_or_b32 v8, 0xff, v8, v11
	;; [unrolled: 1-line block ×3, first 2 shown]
	s_mov_b32 s16, -1
	v_add_co_u32 v3, vcc_lo, s2, v3
	v_lshlrev_b32_e32 v7, 16, v7
	v_lshlrev_b32_e32 v8, 8, v8
	v_add_co_ci_u32_e32 v4, vcc_lo, s3, v4, vcc_lo
	s_mov_b32 s15, exec_lo
	s_delay_alu instid0(VALU_DEP_3) | instskip(NEXT) | instid1(VALU_DEP_1)
	v_or3_b32 v5, v6, v5, v7
	v_or3_b32 v5, v5, v8, v9
	global_store_b32 v[3:4], v5, off
	v_cmpx_gt_u32_e64 s12, v0
	s_cbranch_execz .LBB69_54
; %bb.132:                              ;   in Loop: Header=BB69_57 Depth=1
	v_lshlrev_b64 v[3:4], 3, v[0:1]
	s_mov_b32 s16, exec_lo
	s_delay_alu instid0(VALU_DEP_1) | instskip(NEXT) | instid1(VALU_DEP_2)
	v_add_co_u32 v5, vcc_lo, s14, v3
	v_add_co_ci_u32_e32 v6, vcc_lo, s30, v4, vcc_lo
	v_add_co_u32 v13, vcc_lo, s31, v3
	v_add_co_ci_u32_e32 v14, vcc_lo, s33, v4, vcc_lo
	;; [unrolled: 2-line block ×3, first 2 shown]
	global_load_b64 v[6:7], v[5:6], off
	global_load_b64 v[8:9], v[13:14], off
	v_lshrrev_b32_e32 v5, 3, v0
	global_load_b64 v[3:4], v[3:4], off
	s_waitcnt vmcnt(2)
	v_lshlrev_b32_e32 v10, 16, v6
	s_waitcnt vmcnt(0)
	v_lshlrev_b32_e32 v15, 16, v3
	v_lshlrev_b32_e32 v11, 16, v8
	s_delay_alu instid0(VALU_DEP_1) | instskip(SKIP_2) | instid1(VALU_DEP_1)
	v_dual_add_f32 v12, v10, v11 :: v_dual_and_b32 v5, 0x7fffffc, v5
	global_load_b32 v5, v5, s[0:1]
	v_mul_f32_e32 v10, v28, v12
	v_bfe_u32 v11, v10, 16, 1
	s_delay_alu instid0(VALU_DEP_1) | instskip(NEXT) | instid1(VALU_DEP_1)
	v_add3_u32 v11, v10, v11, 0x7fff
	v_and_b32_e32 v11, 0xffff0000, v11
	v_cmp_o_f32_e32 vcc_lo, v10, v10
	s_delay_alu instid0(VALU_DEP_2) | instskip(NEXT) | instid1(VALU_DEP_1)
	v_cndmask_b32_e32 v10, 0x7fc00000, v11, vcc_lo
	v_mul_f32_e32 v10, v10, v15
	s_delay_alu instid0(VALU_DEP_1) | instskip(SKIP_1) | instid1(VALU_DEP_2)
	v_bfe_u32 v11, v10, 16, 1
	v_cmp_o_f32_e32 vcc_lo, v10, v10
	v_add3_u32 v11, v10, v11, 0x7fff
	s_delay_alu instid0(VALU_DEP_1) | instskip(NEXT) | instid1(VALU_DEP_1)
	v_and_b32_e32 v11, 0xffff0000, v11
	v_cndmask_b32_e32 v15, 0x7fc00000, v11, vcc_lo
	v_and_b32_e32 v11, 0xffff0000, v6
	v_alignbit_b32 v6, v7, v6, 16
	v_and_b32_e32 v7, 0xffff0000, v7
	s_waitcnt vmcnt(0)
	v_div_scale_f32 v16, null, v5, v5, v15
	v_div_scale_f32 v18, vcc_lo, v15, v5, v15
	s_delay_alu instid0(VALU_DEP_2) | instskip(SKIP_2) | instid1(VALU_DEP_1)
	v_rcp_f32_e32 v17, v16
	s_waitcnt_depctr 0xfff
	v_fma_f32 v10, -v16, v17, 1.0
	v_fmac_f32_e32 v17, v10, v17
	v_alignbit_b32 v10, v9, v8, 16
	v_and_b32_e32 v8, 0xffff0000, v8
	v_and_b32_e32 v9, 0xffff0000, v9
	s_delay_alu instid0(VALU_DEP_4) | instskip(NEXT) | instid1(VALU_DEP_4)
	v_dual_mul_f32 v19, v18, v17 :: v_dual_and_b32 v6, 0xffff0000, v6
	v_and_b32_e32 v20, 0xffff0000, v10
	s_delay_alu instid0(VALU_DEP_4) | instskip(NEXT) | instid1(VALU_DEP_4)
	v_add_f32_e32 v10, v11, v8
	v_add_f32_e32 v9, v7, v9
	s_delay_alu instid0(VALU_DEP_4) | instskip(NEXT) | instid1(VALU_DEP_3)
	v_fma_f32 v8, -v16, v19, v18
	v_bfe_u32 v7, v10, 16, 1
	s_delay_alu instid0(VALU_DEP_2) | instskip(NEXT) | instid1(VALU_DEP_4)
	v_fmac_f32_e32 v19, v8, v17
	v_bfe_u32 v8, v9, 16, 1
	s_delay_alu instid0(VALU_DEP_3) | instskip(NEXT) | instid1(VALU_DEP_3)
	v_add3_u32 v7, v10, v7, 0x7fff
	v_fma_f32 v16, -v16, v19, v18
	s_delay_alu instid0(VALU_DEP_3) | instskip(NEXT) | instid1(VALU_DEP_3)
	v_add3_u32 v8, v9, v8, 0x7fff
	v_and_b32_e32 v7, 0xffff0000, v7
	s_delay_alu instid0(VALU_DEP_3)
	v_div_fmas_f32 v16, v16, v17, v19
	v_cmp_o_f32_e32 vcc_lo, v10, v10
	v_add_f32_e32 v11, v6, v20
	v_bfe_u32 v6, v12, 16, 1
	v_and_b32_e32 v8, 0xffff0000, v8
	v_div_fixup_f32 v15, v16, v5, v15
	v_cndmask_b32_e32 v16, 0x7fc00000, v7, vcc_lo
	v_bfe_u32 v20, v11, 16, 1
	v_add3_u32 v6, v12, v6, 0x7fff
	v_cmp_o_f32_e32 vcc_lo, v12, v12
	v_minmax_f32 v7, v15, s7, 0xc3e00000
	s_delay_alu instid0(VALU_DEP_4) | instskip(NEXT) | instid1(VALU_DEP_4)
	v_add3_u32 v18, v11, v20, 0x7fff
	v_lshrrev_b32_e32 v6, 16, v6
	s_delay_alu instid0(VALU_DEP_3) | instskip(NEXT) | instid1(VALU_DEP_3)
	v_and_b32_e32 v12, 0x7fffffff, v7
	v_lshrrev_b32_e32 v17, 16, v18
	s_delay_alu instid0(VALU_DEP_3)
	v_cndmask_b32_e32 v6, 0x7fc0, v6, vcc_lo
	v_cmp_o_f32_e32 vcc_lo, v9, v9
	v_cndmask_b32_e32 v8, 0x7fc00000, v8, vcc_lo
	v_cmp_o_f32_e32 vcc_lo, v11, v11
	v_cndmask_b32_e32 v15, 0x7fc0, v17, vcc_lo
	v_or_b32_e32 v17, v6, v16
	v_mov_b32_e32 v6, 0x7f
	s_delay_alu instid0(VALU_DEP_3) | instskip(NEXT) | instid1(VALU_DEP_3)
	v_or3_b32 v16, 0, v15, v8
	v_or3_b32 v15, v17, 0, 0
	v_mov_b32_e32 v8, 0x7f
	global_store_b64 v[13:14], v[15:16], off
	v_cmpx_gt_u32_e32 0x43f00000, v12
	s_cbranch_execz .LBB69_138
; %bb.133:                              ;   in Loop: Header=BB69_57 Depth=1
	s_mov_b32 s17, exec_lo
                                        ; implicit-def: $vgpr8
	v_cmpx_lt_u32_e32 0x3c7fffff, v12
	s_xor_b32 s17, exec_lo, s17
; %bb.134:                              ;   in Loop: Header=BB69_57 Depth=1
	v_bfe_u32 v8, v7, 20, 1
	s_delay_alu instid0(VALU_DEP_1) | instskip(NEXT) | instid1(VALU_DEP_1)
	v_add3_u32 v8, v7, v8, 0x407ffff
	v_lshrrev_b32_e32 v8, 20, v8
; %bb.135:                              ;   in Loop: Header=BB69_57 Depth=1
	s_and_not1_saveexec_b32 s17, s17
; %bb.136:                              ;   in Loop: Header=BB69_57 Depth=1
	v_add_f32_e64 v8, 0x46800000, |v7|
; %bb.137:                              ;   in Loop: Header=BB69_57 Depth=1
	s_or_b32 exec_lo, exec_lo, s17
.LBB69_138:                             ;   in Loop: Header=BB69_57 Depth=1
	s_delay_alu instid0(SALU_CYCLE_1) | instskip(SKIP_2) | instid1(VALU_DEP_1)
	s_or_b32 exec_lo, exec_lo, s16
	v_dual_mul_f32 v10, v28, v10 :: v_dual_and_b32 v13, 0xffff0000, v3
	s_mov_b32 s16, exec_lo
	v_bfe_u32 v12, v10, 16, 1
	v_cmp_o_f32_e32 vcc_lo, v10, v10
	s_delay_alu instid0(VALU_DEP_2) | instskip(NEXT) | instid1(VALU_DEP_1)
	v_add3_u32 v12, v10, v12, 0x7fff
	v_and_b32_e32 v12, 0xffff0000, v12
	s_delay_alu instid0(VALU_DEP_1) | instskip(NEXT) | instid1(VALU_DEP_1)
	v_cndmask_b32_e32 v10, 0x7fc00000, v12, vcc_lo
	v_mul_f32_e32 v10, v10, v13
	s_delay_alu instid0(VALU_DEP_1) | instskip(SKIP_1) | instid1(VALU_DEP_2)
	v_bfe_u32 v12, v10, 16, 1
	v_cmp_o_f32_e32 vcc_lo, v10, v10
	v_add3_u32 v12, v10, v12, 0x7fff
	s_delay_alu instid0(VALU_DEP_1) | instskip(NEXT) | instid1(VALU_DEP_1)
	v_and_b32_e32 v12, 0xffff0000, v12
	v_cndmask_b32_e32 v10, 0x7fc00000, v12, vcc_lo
	s_delay_alu instid0(VALU_DEP_1) | instskip(NEXT) | instid1(VALU_DEP_1)
	v_div_scale_f32 v12, null, v5, v5, v10
	v_rcp_f32_e32 v13, v12
	s_waitcnt_depctr 0xfff
	v_fma_f32 v14, -v12, v13, 1.0
	s_delay_alu instid0(VALU_DEP_1) | instskip(SKIP_1) | instid1(VALU_DEP_1)
	v_fmac_f32_e32 v13, v14, v13
	v_div_scale_f32 v14, vcc_lo, v10, v5, v10
	v_mul_f32_e32 v15, v14, v13
	s_delay_alu instid0(VALU_DEP_1) | instskip(NEXT) | instid1(VALU_DEP_1)
	v_fma_f32 v16, -v12, v15, v14
	v_fmac_f32_e32 v15, v16, v13
	s_delay_alu instid0(VALU_DEP_1) | instskip(NEXT) | instid1(VALU_DEP_1)
	v_fma_f32 v12, -v12, v15, v14
	v_div_fmas_f32 v12, v12, v13, v15
	s_delay_alu instid0(VALU_DEP_1) | instskip(NEXT) | instid1(VALU_DEP_1)
	v_div_fixup_f32 v10, v12, v5, v10
	v_minmax_f32 v10, v10, s7, 0xc3e00000
	s_delay_alu instid0(VALU_DEP_1) | instskip(NEXT) | instid1(VALU_DEP_1)
	v_and_b32_e32 v12, 0x7fffffff, v10
	v_cmpx_gt_u32_e32 0x43f00000, v12
	s_cbranch_execz .LBB69_144
; %bb.139:                              ;   in Loop: Header=BB69_57 Depth=1
	s_mov_b32 s17, exec_lo
                                        ; implicit-def: $vgpr6
	v_cmpx_lt_u32_e32 0x3c7fffff, v12
	s_xor_b32 s17, exec_lo, s17
; %bb.140:                              ;   in Loop: Header=BB69_57 Depth=1
	v_bfe_u32 v6, v10, 20, 1
	s_delay_alu instid0(VALU_DEP_1) | instskip(NEXT) | instid1(VALU_DEP_1)
	v_add3_u32 v6, v10, v6, 0x407ffff
	v_lshrrev_b32_e32 v6, 20, v6
; %bb.141:                              ;   in Loop: Header=BB69_57 Depth=1
	s_and_not1_saveexec_b32 s17, s17
; %bb.142:                              ;   in Loop: Header=BB69_57 Depth=1
	v_add_f32_e64 v6, 0x46800000, |v10|
; %bb.143:                              ;   in Loop: Header=BB69_57 Depth=1
	s_or_b32 exec_lo, exec_lo, s17
.LBB69_144:                             ;   in Loop: Header=BB69_57 Depth=1
	s_delay_alu instid0(SALU_CYCLE_1) | instskip(SKIP_3) | instid1(VALU_DEP_2)
	s_or_b32 exec_lo, exec_lo, s16
	v_mul_f32_e32 v11, v28, v11
	v_alignbit_b32 v3, v4, v3, 16
	s_mov_b32 s16, exec_lo
	v_bfe_u32 v12, v11, 16, 1
	s_delay_alu instid0(VALU_DEP_2) | instskip(NEXT) | instid1(VALU_DEP_2)
	v_and_b32_e32 v3, 0xffff0000, v3
	v_add3_u32 v12, v11, v12, 0x7fff
	s_delay_alu instid0(VALU_DEP_1) | instskip(SKIP_1) | instid1(VALU_DEP_2)
	v_and_b32_e32 v12, 0xffff0000, v12
	v_cmp_o_f32_e32 vcc_lo, v11, v11
	v_cndmask_b32_e32 v11, 0x7fc00000, v12, vcc_lo
	s_delay_alu instid0(VALU_DEP_1) | instskip(NEXT) | instid1(VALU_DEP_1)
	v_mul_f32_e32 v3, v11, v3
	v_bfe_u32 v11, v3, 16, 1
	v_cmp_o_f32_e32 vcc_lo, v3, v3
	s_delay_alu instid0(VALU_DEP_2) | instskip(NEXT) | instid1(VALU_DEP_1)
	v_add3_u32 v11, v3, v11, 0x7fff
	v_and_b32_e32 v11, 0xffff0000, v11
	s_delay_alu instid0(VALU_DEP_1) | instskip(NEXT) | instid1(VALU_DEP_1)
	v_cndmask_b32_e32 v3, 0x7fc00000, v11, vcc_lo
	v_div_scale_f32 v11, null, v5, v5, v3
	v_div_scale_f32 v14, vcc_lo, v3, v5, v3
	s_delay_alu instid0(VALU_DEP_2) | instskip(SKIP_2) | instid1(VALU_DEP_1)
	v_rcp_f32_e32 v12, v11
	s_waitcnt_depctr 0xfff
	v_fma_f32 v13, -v11, v12, 1.0
	v_fmac_f32_e32 v12, v13, v12
	s_delay_alu instid0(VALU_DEP_1) | instskip(NEXT) | instid1(VALU_DEP_1)
	v_mul_f32_e32 v13, v14, v12
	v_fma_f32 v15, -v11, v13, v14
	s_delay_alu instid0(VALU_DEP_1) | instskip(NEXT) | instid1(VALU_DEP_1)
	v_fmac_f32_e32 v13, v15, v12
	v_fma_f32 v11, -v11, v13, v14
	s_delay_alu instid0(VALU_DEP_1) | instskip(NEXT) | instid1(VALU_DEP_1)
	v_div_fmas_f32 v11, v11, v12, v13
	v_div_fixup_f32 v3, v11, v5, v3
	v_mov_b32_e32 v11, 0x7f
	s_delay_alu instid0(VALU_DEP_2) | instskip(SKIP_1) | instid1(VALU_DEP_2)
	v_minmax_f32 v12, v3, s7, 0xc3e00000
	v_mov_b32_e32 v3, 0x7f
	v_and_b32_e32 v13, 0x7fffffff, v12
	s_delay_alu instid0(VALU_DEP_1)
	v_cmpx_gt_u32_e32 0x43f00000, v13
	s_cbranch_execz .LBB69_150
; %bb.145:                              ;   in Loop: Header=BB69_57 Depth=1
	s_mov_b32 s17, exec_lo
                                        ; implicit-def: $vgpr11
	v_cmpx_lt_u32_e32 0x3c7fffff, v13
	s_xor_b32 s17, exec_lo, s17
; %bb.146:                              ;   in Loop: Header=BB69_57 Depth=1
	v_bfe_u32 v11, v12, 20, 1
	s_delay_alu instid0(VALU_DEP_1) | instskip(NEXT) | instid1(VALU_DEP_1)
	v_add3_u32 v11, v12, v11, 0x407ffff
	v_lshrrev_b32_e32 v11, 20, v11
; %bb.147:                              ;   in Loop: Header=BB69_57 Depth=1
	s_and_not1_saveexec_b32 s17, s17
; %bb.148:                              ;   in Loop: Header=BB69_57 Depth=1
	v_add_f32_e64 v11, 0x46800000, |v12|
; %bb.149:                              ;   in Loop: Header=BB69_57 Depth=1
	s_or_b32 exec_lo, exec_lo, s17
.LBB69_150:                             ;   in Loop: Header=BB69_57 Depth=1
	s_delay_alu instid0(SALU_CYCLE_1) | instskip(SKIP_2) | instid1(VALU_DEP_1)
	s_or_b32 exec_lo, exec_lo, s16
	v_dual_mul_f32 v9, v28, v9 :: v_dual_and_b32 v4, 0xffff0000, v4
	s_mov_b32 s16, exec_lo
	v_bfe_u32 v13, v9, 16, 1
	v_cmp_o_f32_e32 vcc_lo, v9, v9
	s_delay_alu instid0(VALU_DEP_2) | instskip(NEXT) | instid1(VALU_DEP_1)
	v_add3_u32 v13, v9, v13, 0x7fff
	v_and_b32_e32 v13, 0xffff0000, v13
	s_delay_alu instid0(VALU_DEP_1) | instskip(NEXT) | instid1(VALU_DEP_1)
	v_cndmask_b32_e32 v9, 0x7fc00000, v13, vcc_lo
	v_mul_f32_e32 v4, v9, v4
	s_delay_alu instid0(VALU_DEP_1) | instskip(SKIP_1) | instid1(VALU_DEP_2)
	v_bfe_u32 v9, v4, 16, 1
	v_cmp_o_f32_e32 vcc_lo, v4, v4
	v_add3_u32 v9, v4, v9, 0x7fff
	s_delay_alu instid0(VALU_DEP_1) | instskip(NEXT) | instid1(VALU_DEP_1)
	v_and_b32_e32 v9, 0xffff0000, v9
	v_cndmask_b32_e32 v4, 0x7fc00000, v9, vcc_lo
	s_delay_alu instid0(VALU_DEP_1) | instskip(NEXT) | instid1(VALU_DEP_1)
	v_div_scale_f32 v9, null, v5, v5, v4
	v_rcp_f32_e32 v13, v9
	s_waitcnt_depctr 0xfff
	v_fma_f32 v14, -v9, v13, 1.0
	s_delay_alu instid0(VALU_DEP_1) | instskip(SKIP_1) | instid1(VALU_DEP_1)
	v_fmac_f32_e32 v13, v14, v13
	v_div_scale_f32 v14, vcc_lo, v4, v5, v4
	v_mul_f32_e32 v15, v14, v13
	s_delay_alu instid0(VALU_DEP_1) | instskip(NEXT) | instid1(VALU_DEP_1)
	v_fma_f32 v16, -v9, v15, v14
	v_fmac_f32_e32 v15, v16, v13
	s_delay_alu instid0(VALU_DEP_1) | instskip(NEXT) | instid1(VALU_DEP_1)
	v_fma_f32 v9, -v9, v15, v14
	v_div_fmas_f32 v9, v9, v13, v15
	s_delay_alu instid0(VALU_DEP_1) | instskip(NEXT) | instid1(VALU_DEP_1)
	v_div_fixup_f32 v4, v9, v5, v4
	v_minmax_f32 v4, v4, s7, 0xc3e00000
	s_delay_alu instid0(VALU_DEP_1) | instskip(NEXT) | instid1(VALU_DEP_1)
	v_and_b32_e32 v5, 0x7fffffff, v4
	v_cmpx_gt_u32_e32 0x43f00000, v5
	s_cbranch_execz .LBB69_53
; %bb.151:                              ;   in Loop: Header=BB69_57 Depth=1
	s_mov_b32 s17, exec_lo
                                        ; implicit-def: $vgpr3
	v_cmpx_lt_u32_e32 0x3c7fffff, v5
	s_xor_b32 s17, exec_lo, s17
; %bb.152:                              ;   in Loop: Header=BB69_57 Depth=1
	v_bfe_u32 v3, v4, 20, 1
	s_delay_alu instid0(VALU_DEP_1) | instskip(NEXT) | instid1(VALU_DEP_1)
	v_add3_u32 v3, v4, v3, 0x407ffff
	v_lshrrev_b32_e32 v3, 20, v3
; %bb.153:                              ;   in Loop: Header=BB69_57 Depth=1
	s_and_not1_saveexec_b32 s17, s17
	s_cbranch_execz .LBB69_52
; %bb.154:                              ;   in Loop: Header=BB69_57 Depth=1
	v_add_f32_e64 v3, 0x46800000, |v4|
	s_branch .LBB69_52
.LBB69_155:
	s_nop 0
	s_sendmsg sendmsg(MSG_DEALLOC_VGPRS)
	s_endpgm
	.section	.rodata,"a",@progbits
	.p2align	6, 0x0
	.amdhsa_kernel _ZN4vllm31rms_norm_per_block_quant_kernelIN3c108BFloat16ENS1_13Float8_e4m3fnELb1ELb0ELi128EEEvPT0_PfPKT_S9_PKffiiPS7_l
		.amdhsa_group_segment_fixed_size 4228
		.amdhsa_private_segment_fixed_size 0
		.amdhsa_kernarg_size 328
		.amdhsa_user_sgpr_count 15
		.amdhsa_user_sgpr_dispatch_ptr 0
		.amdhsa_user_sgpr_queue_ptr 0
		.amdhsa_user_sgpr_kernarg_segment_ptr 1
		.amdhsa_user_sgpr_dispatch_id 0
		.amdhsa_user_sgpr_private_segment_size 0
		.amdhsa_wavefront_size32 1
		.amdhsa_uses_dynamic_stack 0
		.amdhsa_enable_private_segment 0
		.amdhsa_system_sgpr_workgroup_id_x 1
		.amdhsa_system_sgpr_workgroup_id_y 0
		.amdhsa_system_sgpr_workgroup_id_z 0
		.amdhsa_system_sgpr_workgroup_info 0
		.amdhsa_system_vgpr_workitem_id 0
		.amdhsa_next_free_vgpr 54
		.amdhsa_next_free_sgpr 41
		.amdhsa_reserve_vcc 1
		.amdhsa_float_round_mode_32 0
		.amdhsa_float_round_mode_16_64 0
		.amdhsa_float_denorm_mode_32 3
		.amdhsa_float_denorm_mode_16_64 3
		.amdhsa_dx10_clamp 1
		.amdhsa_ieee_mode 1
		.amdhsa_fp16_overflow 0
		.amdhsa_workgroup_processor_mode 1
		.amdhsa_memory_ordered 1
		.amdhsa_forward_progress 0
		.amdhsa_shared_vgpr_count 0
		.amdhsa_exception_fp_ieee_invalid_op 0
		.amdhsa_exception_fp_denorm_src 0
		.amdhsa_exception_fp_ieee_div_zero 0
		.amdhsa_exception_fp_ieee_overflow 0
		.amdhsa_exception_fp_ieee_underflow 0
		.amdhsa_exception_fp_ieee_inexact 0
		.amdhsa_exception_int_div_zero 0
	.end_amdhsa_kernel
	.section	.text._ZN4vllm31rms_norm_per_block_quant_kernelIN3c108BFloat16ENS1_13Float8_e4m3fnELb1ELb0ELi128EEEvPT0_PfPKT_S9_PKffiiPS7_l,"axG",@progbits,_ZN4vllm31rms_norm_per_block_quant_kernelIN3c108BFloat16ENS1_13Float8_e4m3fnELb1ELb0ELi128EEEvPT0_PfPKT_S9_PKffiiPS7_l,comdat
.Lfunc_end69:
	.size	_ZN4vllm31rms_norm_per_block_quant_kernelIN3c108BFloat16ENS1_13Float8_e4m3fnELb1ELb0ELi128EEEvPT0_PfPKT_S9_PKffiiPS7_l, .Lfunc_end69-_ZN4vllm31rms_norm_per_block_quant_kernelIN3c108BFloat16ENS1_13Float8_e4m3fnELb1ELb0ELi128EEEvPT0_PfPKT_S9_PKffiiPS7_l
                                        ; -- End function
	.section	.AMDGPU.csdata,"",@progbits
; Kernel info:
; codeLenInByte = 14648
; NumSgprs: 43
; NumVgprs: 54
; ScratchSize: 0
; MemoryBound: 0
; FloatMode: 240
; IeeeMode: 1
; LDSByteSize: 4228 bytes/workgroup (compile time only)
; SGPRBlocks: 5
; VGPRBlocks: 6
; NumSGPRsForWavesPerEU: 43
; NumVGPRsForWavesPerEU: 54
; Occupancy: 16
; WaveLimiterHint : 0
; COMPUTE_PGM_RSRC2:SCRATCH_EN: 0
; COMPUTE_PGM_RSRC2:USER_SGPR: 15
; COMPUTE_PGM_RSRC2:TRAP_HANDLER: 0
; COMPUTE_PGM_RSRC2:TGID_X_EN: 1
; COMPUTE_PGM_RSRC2:TGID_Y_EN: 0
; COMPUTE_PGM_RSRC2:TGID_Z_EN: 0
; COMPUTE_PGM_RSRC2:TIDIG_COMP_CNT: 0
	.section	.text._ZN4vllm31rms_norm_per_block_quant_kernelIN3c108BFloat16ENS1_15Float8_e4m3fnuzELb1ELb0ELi128EEEvPT0_PfPKT_S9_PKffiiPS7_l,"axG",@progbits,_ZN4vllm31rms_norm_per_block_quant_kernelIN3c108BFloat16ENS1_15Float8_e4m3fnuzELb1ELb0ELi128EEEvPT0_PfPKT_S9_PKffiiPS7_l,comdat
	.protected	_ZN4vllm31rms_norm_per_block_quant_kernelIN3c108BFloat16ENS1_15Float8_e4m3fnuzELb1ELb0ELi128EEEvPT0_PfPKT_S9_PKffiiPS7_l ; -- Begin function _ZN4vllm31rms_norm_per_block_quant_kernelIN3c108BFloat16ENS1_15Float8_e4m3fnuzELb1ELb0ELi128EEEvPT0_PfPKT_S9_PKffiiPS7_l
	.globl	_ZN4vllm31rms_norm_per_block_quant_kernelIN3c108BFloat16ENS1_15Float8_e4m3fnuzELb1ELb0ELi128EEEvPT0_PfPKT_S9_PKffiiPS7_l
	.p2align	8
	.type	_ZN4vllm31rms_norm_per_block_quant_kernelIN3c108BFloat16ENS1_15Float8_e4m3fnuzELb1ELb0ELi128EEEvPT0_PfPKT_S9_PKffiiPS7_l,@function
_ZN4vllm31rms_norm_per_block_quant_kernelIN3c108BFloat16ENS1_15Float8_e4m3fnuzELb1ELb0ELi128EEEvPT0_PfPKT_S9_PKffiiPS7_l: ; @_ZN4vllm31rms_norm_per_block_quant_kernelIN3c108BFloat16ENS1_15Float8_e4m3fnuzELb1ELb0ELi128EEEvPT0_PfPKT_S9_PKffiiPS7_l
; %bb.0:
	s_clause 0x2
	s_load_b128 s[16:19], s[0:1], 0x28
	s_load_b256 s[4:11], s[0:1], 0x0
	s_load_b64 s[26:27], s[0:1], 0x38
	v_mov_b32_e32 v6, 0
	s_waitcnt lgkmcnt(0)
	s_ashr_i32 s3, s18, 31
	s_mul_hi_u32 s12, s18, s15
	s_mul_i32 s3, s3, s15
	s_ashr_i32 s21, s17, 31
	s_mul_i32 s2, s18, s15
	s_add_i32 s3, s12, s3
	s_mul_hi_u32 s13, s17, s15
	s_mul_i32 s12, s21, s15
	s_lshl_b64 s[24:25], s[2:3], 1
	s_mul_i32 s18, s17, s15
	s_add_i32 s19, s13, s12
	s_add_u32 s14, s8, s24
	s_addc_u32 s30, s9, s25
	s_lshl_b64 s[28:29], s[18:19], 1
	s_mov_b32 s3, 0
	s_add_u32 s31, s26, s28
	s_addc_u32 s33, s27, s29
	s_ashr_i32 s12, s17, 2
	s_add_u32 s22, s0, 0x48
	v_cmp_gt_u32_e64 s2, s12, v0
	s_mov_b32 s20, s17
	s_addc_u32 s23, s1, 0
	s_delay_alu instid0(VALU_DEP_1)
	s_and_saveexec_b32 s13, s2
	s_cbranch_execz .LBB70_10
; %bb.1:
	s_load_b32 s17, s[22:23], 0x0
	v_dual_mov_b32 v2, 0 :: v_dual_mov_b32 v1, v0
	s_waitcnt lgkmcnt(0)
	s_cmp_lt_u32 s15, s17
	s_cselect_b32 s17, 12, 18
	s_delay_alu instid0(SALU_CYCLE_1)
	s_add_u32 s34, s22, s17
	s_addc_u32 s35, s23, 0
                                        ; implicit-def: $sgpr17
	global_load_u16 v7, v2, s[34:35]
	s_waitcnt vmcnt(0)
	v_lshlrev_b32_e32 v9, 1, v7
	v_mul_lo_u32 v8, v7, 3
	v_add_nc_u32_e32 v10, v7, v7
	v_mov_b32_e32 v6, v2
	s_branch .LBB70_5
.LBB70_2:                               ;   in Loop: Header=BB70_5 Depth=1
	s_or_b32 exec_lo, exec_lo, s36
	s_delay_alu instid0(SALU_CYCLE_1)
	s_or_not1_b32 s36, s37, exec_lo
.LBB70_3:                               ;   in Loop: Header=BB70_5 Depth=1
	s_or_b32 exec_lo, exec_lo, s35
	s_delay_alu instid0(SALU_CYCLE_1) | instskip(SKIP_1) | instid1(SALU_CYCLE_1)
	s_and_not1_b32 s17, s17, exec_lo
	s_and_b32 s35, s36, exec_lo
	s_or_b32 s17, s17, s35
.LBB70_4:                               ;   in Loop: Header=BB70_5 Depth=1
	s_or_b32 exec_lo, exec_lo, s34
	s_delay_alu instid0(SALU_CYCLE_1) | instskip(NEXT) | instid1(SALU_CYCLE_1)
	s_and_b32 s34, exec_lo, s17
	s_or_b32 s3, s34, s3
	s_delay_alu instid0(SALU_CYCLE_1)
	s_and_not1_b32 exec_lo, exec_lo, s3
	s_cbranch_execz .LBB70_9
.LBB70_5:                               ; =>This Inner Loop Header: Depth=1
	v_lshlrev_b64 v[3:4], 3, v[1:2]
	s_or_b32 s17, s17, exec_lo
	s_mov_b32 s34, exec_lo
	s_delay_alu instid0(VALU_DEP_1) | instskip(NEXT) | instid1(VALU_DEP_2)
	v_add_co_u32 v11, vcc_lo, s14, v3
	v_add_co_ci_u32_e32 v12, vcc_lo, s30, v4, vcc_lo
	v_add_co_u32 v3, vcc_lo, s31, v3
	v_add_co_ci_u32_e32 v4, vcc_lo, s33, v4, vcc_lo
	global_load_b64 v[11:12], v[11:12], off
	global_load_b64 v[3:4], v[3:4], off
	s_waitcnt vmcnt(1)
	v_lshlrev_b32_e32 v5, 16, v11
	s_waitcnt vmcnt(0)
	v_lshlrev_b32_e32 v13, 16, v3
	v_and_b32_e32 v14, 0xffff0000, v11
	v_alignbit_b32 v11, v12, v11, 16
	s_delay_alu instid0(VALU_DEP_3) | instskip(NEXT) | instid1(VALU_DEP_1)
	v_add_f32_e32 v5, v5, v13
	v_dual_fmac_f32 v6, v5, v5 :: v_dual_and_b32 v5, 0xffff0000, v12
	v_and_b32_e32 v15, 0xffff0000, v3
	v_alignbit_b32 v3, v4, v3, 16
	s_delay_alu instid0(VALU_DEP_1) | instskip(SKIP_1) | instid1(VALU_DEP_1)
	v_and_b32_e32 v3, 0xffff0000, v3
	v_and_b32_e32 v4, 0xffff0000, v4
	v_dual_add_f32 v4, v5, v4 :: v_dual_and_b32 v11, 0xffff0000, v11
	v_add_f32_e32 v13, v14, v15
	s_delay_alu instid0(VALU_DEP_1) | instskip(NEXT) | instid1(VALU_DEP_1)
	v_dual_add_f32 v3, v11, v3 :: v_dual_fmac_f32 v6, v13, v13
	v_fmac_f32_e32 v6, v3, v3
	s_delay_alu instid0(VALU_DEP_1) | instskip(NEXT) | instid1(VALU_DEP_1)
	v_dual_fmac_f32 v6, v4, v4 :: v_dual_add_nc_u32 v3, v1, v7
	v_cmpx_gt_u32_e64 s12, v3
	s_cbranch_execz .LBB70_4
; %bb.6:                                ;   in Loop: Header=BB70_5 Depth=1
	v_mov_b32_e32 v4, v2
	s_mov_b32 s36, -1
	s_mov_b32 s35, exec_lo
	s_delay_alu instid0(VALU_DEP_1) | instskip(NEXT) | instid1(VALU_DEP_1)
	v_lshlrev_b64 v[4:5], 3, v[3:4]
	v_add_co_u32 v11, vcc_lo, s14, v4
	s_delay_alu instid0(VALU_DEP_2)
	v_add_co_ci_u32_e32 v12, vcc_lo, s30, v5, vcc_lo
	v_add_co_u32 v4, vcc_lo, s31, v4
	v_add_co_ci_u32_e32 v5, vcc_lo, s33, v5, vcc_lo
	global_load_b64 v[11:12], v[11:12], off
	global_load_b64 v[4:5], v[4:5], off
	s_waitcnt vmcnt(1)
	v_lshlrev_b32_e32 v13, 16, v11
	v_and_b32_e32 v15, 0xffff0000, v11
	v_alignbit_b32 v11, v12, v11, 16
	v_and_b32_e32 v12, 0xffff0000, v12
	s_waitcnt vmcnt(0)
	v_lshlrev_b32_e32 v14, 16, v4
	v_and_b32_e32 v16, 0xffff0000, v4
	v_alignbit_b32 v4, v5, v4, 16
	s_delay_alu instid0(VALU_DEP_1) | instskip(SKIP_1) | instid1(VALU_DEP_1)
	v_and_b32_e32 v4, 0xffff0000, v4
	v_and_b32_e32 v5, 0xffff0000, v5
	v_add_f32_e32 v5, v12, v5
	v_add_f32_e32 v13, v13, v14
	s_delay_alu instid0(VALU_DEP_1) | instskip(SKIP_1) | instid1(VALU_DEP_2)
	v_dual_fmac_f32 v6, v13, v13 :: v_dual_and_b32 v11, 0xffff0000, v11
	v_add_f32_e32 v14, v15, v16
	v_add_f32_e32 v4, v11, v4
	s_delay_alu instid0(VALU_DEP_2) | instskip(NEXT) | instid1(VALU_DEP_1)
	v_fmac_f32_e32 v6, v14, v14
	v_fmac_f32_e32 v6, v4, v4
	v_add_nc_u32_e32 v4, v9, v1
	s_delay_alu instid0(VALU_DEP_2) | instskip(NEXT) | instid1(VALU_DEP_2)
	v_fmac_f32_e32 v6, v5, v5
	v_cmpx_gt_u32_e64 s12, v4
	s_cbranch_execz .LBB70_3
; %bb.7:                                ;   in Loop: Header=BB70_5 Depth=1
	v_mov_b32_e32 v5, v2
	v_add_nc_u32_e32 v1, v8, v1
	s_mov_b32 s37, -1
	s_mov_b32 s36, exec_lo
	s_delay_alu instid0(VALU_DEP_2) | instskip(NEXT) | instid1(VALU_DEP_1)
	v_lshlrev_b64 v[4:5], 3, v[4:5]
	v_add_co_u32 v11, vcc_lo, s14, v4
	s_delay_alu instid0(VALU_DEP_2)
	v_add_co_ci_u32_e32 v12, vcc_lo, s30, v5, vcc_lo
	v_add_co_u32 v4, vcc_lo, s31, v4
	v_add_co_ci_u32_e32 v5, vcc_lo, s33, v5, vcc_lo
	global_load_b64 v[11:12], v[11:12], off
	global_load_b64 v[4:5], v[4:5], off
	s_waitcnt vmcnt(1)
	v_and_b32_e32 v15, 0xffff0000, v11
	s_waitcnt vmcnt(0)
	v_lshlrev_b32_e32 v14, 16, v4
	v_and_b32_e32 v16, 0xffff0000, v4
	v_lshlrev_b32_e32 v13, 16, v11
	v_alignbit_b32 v11, v12, v11, 16
	v_alignbit_b32 v4, v5, v4, 16
	s_delay_alu instid0(VALU_DEP_3) | instskip(NEXT) | instid1(VALU_DEP_1)
	v_dual_add_f32 v13, v13, v14 :: v_dual_and_b32 v12, 0xffff0000, v12
	v_fmac_f32_e32 v6, v13, v13
	s_delay_alu instid0(VALU_DEP_4) | instskip(NEXT) | instid1(VALU_DEP_1)
	v_dual_add_f32 v14, v15, v16 :: v_dual_and_b32 v11, 0xffff0000, v11
	v_dual_fmac_f32 v6, v14, v14 :: v_dual_and_b32 v5, 0xffff0000, v5
	s_delay_alu instid0(VALU_DEP_1) | instskip(NEXT) | instid1(VALU_DEP_1)
	v_dual_add_f32 v5, v12, v5 :: v_dual_and_b32 v4, 0xffff0000, v4
	v_add_f32_e32 v4, v11, v4
	s_delay_alu instid0(VALU_DEP_1) | instskip(NEXT) | instid1(VALU_DEP_1)
	v_fmac_f32_e32 v6, v4, v4
	v_fmac_f32_e32 v6, v5, v5
	v_cmpx_gt_u32_e64 s12, v1
	s_xor_b32 s36, exec_lo, s36
	s_cbranch_execz .LBB70_2
; %bb.8:                                ;   in Loop: Header=BB70_5 Depth=1
	v_lshlrev_b64 v[4:5], 3, v[1:2]
	s_delay_alu instid0(VALU_DEP_1) | instskip(NEXT) | instid1(VALU_DEP_2)
	v_add_co_u32 v11, vcc_lo, s14, v4
	v_add_co_ci_u32_e32 v12, vcc_lo, s30, v5, vcc_lo
	v_add_co_u32 v4, vcc_lo, s31, v4
	v_add_co_ci_u32_e32 v5, vcc_lo, s33, v5, vcc_lo
	global_load_b64 v[11:12], v[11:12], off
	global_load_b64 v[4:5], v[4:5], off
	s_waitcnt vmcnt(0)
	v_lshlrev_b32_e32 v13, 16, v4
	v_and_b32_e32 v14, 0xffff0000, v11
	v_alignbit_b32 v15, v5, v4, 16
	v_and_b32_e32 v4, 0xffff0000, v4
	v_lshlrev_b32_e32 v1, 16, v11
	v_alignbit_b32 v11, v12, v11, 16
	v_and_b32_e32 v12, 0xffff0000, v12
	s_delay_alu instid0(VALU_DEP_3) | instskip(NEXT) | instid1(VALU_DEP_1)
	v_dual_add_f32 v4, v14, v4 :: v_dual_add_f32 v1, v1, v13
	v_dual_fmac_f32 v6, v1, v1 :: v_dual_and_b32 v13, 0xffff0000, v15
	s_delay_alu instid0(VALU_DEP_4) | instskip(SKIP_1) | instid1(VALU_DEP_2)
	v_and_b32_e32 v11, 0xffff0000, v11
	v_add3_u32 v1, v10, v7, v3
	v_dual_fmac_f32 v6, v4, v4 :: v_dual_add_f32 v11, v11, v13
	v_and_b32_e32 v5, 0xffff0000, v5
	s_delay_alu instid0(VALU_DEP_3) | instskip(NEXT) | instid1(VALU_DEP_2)
	v_cmp_le_u32_e32 vcc_lo, s12, v1
	v_dual_fmac_f32 v6, v11, v11 :: v_dual_add_f32 v3, v12, v5
	s_or_not1_b32 s37, vcc_lo, exec_lo
	s_delay_alu instid0(VALU_DEP_1)
	v_fmac_f32_e32 v6, v3, v3
	s_branch .LBB70_2
.LBB70_9:
	s_or_b32 exec_lo, exec_lo, s3
.LBB70_10:
	s_delay_alu instid0(SALU_CYCLE_1) | instskip(SKIP_3) | instid1(VALU_DEP_2)
	s_or_b32 exec_lo, exec_lo, s13
	v_mbcnt_lo_u32_b32 v1, -1, 0
	s_load_b32 s3, s[22:23], 0xc
	v_and_b32_e32 v7, 0x3e0, v0
	v_cmp_ne_u32_e32 vcc_lo, 31, v1
	v_add_nc_u32_e32 v3, 1, v1
	v_add_co_ci_u32_e32 v2, vcc_lo, 0, v1, vcc_lo
	v_cmp_gt_u32_e32 vcc_lo, 30, v1
	s_delay_alu instid0(VALU_DEP_2)
	v_lshlrev_b32_e32 v2, 2, v2
	v_cndmask_b32_e64 v5, 0, 1, vcc_lo
	ds_bpermute_b32 v4, v2, v6
	s_waitcnt lgkmcnt(0)
	s_and_b32 s34, s3, 0xffff
	v_lshlrev_b32_e32 v5, 1, v5
	v_sub_nc_u32_e64 v12, s34, v7 clamp
	s_mov_b32 s3, exec_lo
	s_delay_alu instid0(VALU_DEP_1) | instskip(SKIP_2) | instid1(VALU_DEP_2)
	v_cmp_lt_u32_e32 vcc_lo, v3, v12
	v_add_f32_e32 v7, v6, v4
	v_add_lshl_u32 v4, v5, v1, 2
	v_cndmask_b32_e32 v7, v6, v7, vcc_lo
	v_cmp_gt_u32_e32 vcc_lo, 28, v1
	v_cndmask_b32_e64 v5, 0, 1, vcc_lo
	s_delay_alu instid0(VALU_DEP_1) | instskip(SKIP_2) | instid1(VALU_DEP_1)
	v_lshlrev_b32_e32 v8, 2, v5
	ds_bpermute_b32 v6, v4, v7
	v_add_nc_u32_e32 v5, 2, v1
	v_cmp_lt_u32_e32 vcc_lo, v5, v12
	s_waitcnt lgkmcnt(0)
	v_add_f32_e32 v9, v7, v6
	v_add_lshl_u32 v6, v8, v1, 2
	s_delay_alu instid0(VALU_DEP_2) | instskip(SKIP_3) | instid1(VALU_DEP_1)
	v_cndmask_b32_e32 v9, v7, v9, vcc_lo
	v_cmp_gt_u32_e32 vcc_lo, 24, v1
	ds_bpermute_b32 v8, v6, v9
	v_cndmask_b32_e64 v7, 0, 1, vcc_lo
	v_lshlrev_b32_e32 v10, 3, v7
	v_add_nc_u32_e32 v7, 4, v1
	s_delay_alu instid0(VALU_DEP_1) | instskip(SKIP_3) | instid1(VALU_DEP_2)
	v_cmp_lt_u32_e32 vcc_lo, v7, v12
	s_waitcnt lgkmcnt(0)
	v_add_f32_e32 v11, v9, v8
	v_add_lshl_u32 v8, v10, v1, 2
	v_cndmask_b32_e32 v11, v9, v11, vcc_lo
	v_cmp_gt_u32_e32 vcc_lo, 16, v1
	ds_bpermute_b32 v10, v8, v11
	v_cndmask_b32_e64 v9, 0, 1, vcc_lo
	s_delay_alu instid0(VALU_DEP_1) | instskip(SKIP_1) | instid1(VALU_DEP_1)
	v_lshlrev_b32_e32 v13, 4, v9
	v_add_nc_u32_e32 v9, 8, v1
	v_cmp_lt_u32_e32 vcc_lo, v9, v12
	s_waitcnt lgkmcnt(0)
	v_add_f32_e32 v14, v11, v10
	v_add_lshl_u32 v10, v13, v1, 2
	s_delay_alu instid0(VALU_DEP_2)
	v_cndmask_b32_e32 v13, v11, v14, vcc_lo
	v_add_nc_u32_e32 v11, 16, v1
	ds_bpermute_b32 v14, v10, v13
	v_cmp_lt_u32_e32 vcc_lo, v11, v12
	s_waitcnt lgkmcnt(0)
	v_add_f32_e32 v14, v13, v14
	s_delay_alu instid0(VALU_DEP_1)
	v_cndmask_b32_e32 v12, v13, v14, vcc_lo
	v_cmpx_eq_u32_e32 0, v1
	s_cbranch_execz .LBB70_12
; %bb.11:
	v_lshrrev_b32_e32 v13, 3, v0
	s_delay_alu instid0(VALU_DEP_1)
	v_and_b32_e32 v13, 0x7c, v13
	ds_store_b32 v13, v12 offset:4096
.LBB70_12:
	s_or_b32 exec_lo, exec_lo, s3
	s_delay_alu instid0(SALU_CYCLE_1)
	s_mov_b32 s3, exec_lo
	s_waitcnt lgkmcnt(0)
	s_barrier
	buffer_gl0_inv
	v_cmpx_gt_u32_e32 32, v0
	s_cbranch_execz .LBB70_14
; %bb.13:
	v_lshlrev_b32_e32 v1, 2, v1
	s_add_i32 s13, s34, 31
	s_delay_alu instid0(SALU_CYCLE_1) | instskip(NEXT) | instid1(SALU_CYCLE_1)
	s_lshr_b32 s13, s13, 5
	v_cmp_gt_u32_e32 vcc_lo, s13, v3
	ds_load_b32 v1, v1 offset:4096
	s_waitcnt lgkmcnt(0)
	ds_bpermute_b32 v2, v2, v1
	s_waitcnt lgkmcnt(0)
	v_add_f32_e32 v2, v1, v2
	s_delay_alu instid0(VALU_DEP_1) | instskip(SKIP_4) | instid1(VALU_DEP_1)
	v_cndmask_b32_e32 v1, v1, v2, vcc_lo
	v_cmp_gt_u32_e32 vcc_lo, s13, v5
	ds_bpermute_b32 v2, v4, v1
	s_waitcnt lgkmcnt(0)
	v_add_f32_e32 v2, v1, v2
	v_cndmask_b32_e32 v1, v1, v2, vcc_lo
	v_cmp_gt_u32_e32 vcc_lo, s13, v7
	ds_bpermute_b32 v2, v6, v1
	s_waitcnt lgkmcnt(0)
	v_add_f32_e32 v2, v1, v2
	s_delay_alu instid0(VALU_DEP_1) | instskip(SKIP_4) | instid1(VALU_DEP_1)
	v_cndmask_b32_e32 v1, v1, v2, vcc_lo
	v_cmp_gt_u32_e32 vcc_lo, s13, v9
	ds_bpermute_b32 v2, v8, v1
	s_waitcnt lgkmcnt(0)
	v_add_f32_e32 v2, v1, v2
	v_cndmask_b32_e32 v1, v1, v2, vcc_lo
	v_cmp_gt_u32_e32 vcc_lo, s13, v11
	ds_bpermute_b32 v2, v10, v1
	s_waitcnt lgkmcnt(0)
	v_add_f32_e32 v2, v1, v2
	s_delay_alu instid0(VALU_DEP_1)
	v_cndmask_b32_e32 v12, v1, v2, vcc_lo
.LBB70_14:
	s_or_b32 exec_lo, exec_lo, s3
	s_delay_alu instid0(SALU_CYCLE_1)
	s_mov_b32 s3, exec_lo
	v_cmpx_eq_u32_e32 0, v0
	s_cbranch_execz .LBB70_16
; %bb.15:
	v_cvt_f32_i32_e32 v1, s20
	s_delay_alu instid0(VALU_DEP_1) | instskip(SKIP_1) | instid1(VALU_DEP_2)
	v_div_scale_f32 v2, null, v1, v1, v12
	v_div_scale_f32 v5, vcc_lo, v12, v1, v12
	v_rcp_f32_e32 v3, v2
	s_waitcnt_depctr 0xfff
	v_fma_f32 v4, -v2, v3, 1.0
	s_delay_alu instid0(VALU_DEP_1) | instskip(NEXT) | instid1(VALU_DEP_1)
	v_fmac_f32_e32 v3, v4, v3
	v_mul_f32_e32 v4, v5, v3
	s_delay_alu instid0(VALU_DEP_1) | instskip(NEXT) | instid1(VALU_DEP_1)
	v_fma_f32 v6, -v2, v4, v5
	v_fmac_f32_e32 v4, v6, v3
	s_delay_alu instid0(VALU_DEP_1) | instskip(NEXT) | instid1(VALU_DEP_1)
	v_fma_f32 v2, -v2, v4, v5
	v_div_fmas_f32 v2, v2, v3, v4
	s_delay_alu instid0(VALU_DEP_1) | instskip(NEXT) | instid1(VALU_DEP_1)
	v_div_fixup_f32 v1, v2, v1, v12
	v_add_f32_e32 v1, s16, v1
	s_delay_alu instid0(VALU_DEP_1) | instskip(SKIP_1) | instid1(VALU_DEP_2)
	v_mul_f32_e32 v2, 0x4b800000, v1
	v_cmp_gt_f32_e32 vcc_lo, 0x800000, v1
	v_cndmask_b32_e32 v1, v1, v2, vcc_lo
	s_delay_alu instid0(VALU_DEP_1) | instskip(SKIP_2) | instid1(VALU_DEP_1)
	v_rsq_f32_e32 v1, v1
	s_waitcnt_depctr 0xfff
	v_mul_f32_e32 v2, 0x45800000, v1
	v_dual_cndmask_b32 v1, v1, v2 :: v_dual_mov_b32 v2, 0
	ds_store_b32 v2, v1 offset:4224
.LBB70_16:
	s_or_b32 exec_lo, exec_lo, s3
	s_ashr_i32 s3, s20, 31
	s_waitcnt lgkmcnt(0)
	s_lshr_b32 s3, s3, 25
	s_barrier
	s_add_i32 s3, s20, s3
	buffer_gl0_inv
	s_ashr_i32 s16, s3, 7
	s_ashr_i32 s3, s3, 31
	s_abs_i32 s13, s16
	s_delay_alu instid0(SALU_CYCLE_1) | instskip(SKIP_1) | instid1(VALU_DEP_1)
	v_cvt_f32_u32_e32 v1, s13
	s_sub_i32 s22, 0, s13
	v_rcp_iflag_f32_e32 v1, v1
	s_waitcnt_depctr 0xfff
	v_mul_f32_e32 v1, 0x4f7ffffe, v1
	s_delay_alu instid0(VALU_DEP_1) | instskip(NEXT) | instid1(VALU_DEP_1)
	v_cvt_u32_f32_e32 v1, v1
	v_readfirstlane_b32 s17, v1
	s_delay_alu instid0(VALU_DEP_1) | instskip(NEXT) | instid1(SALU_CYCLE_1)
	s_mul_i32 s22, s22, s17
	s_mul_hi_u32 s22, s17, s22
	s_delay_alu instid0(SALU_CYCLE_1) | instskip(NEXT) | instid1(SALU_CYCLE_1)
	s_add_i32 s17, s17, s22
	s_mul_hi_u32 s17, s34, s17
	s_delay_alu instid0(SALU_CYCLE_1) | instskip(SKIP_2) | instid1(SALU_CYCLE_1)
	s_mul_i32 s22, s17, s13
	s_add_i32 s23, s17, 1
	s_sub_i32 s22, s34, s22
	s_sub_i32 s35, s22, s13
	s_cmp_ge_u32 s22, s13
	s_cselect_b32 s17, s23, s17
	s_cselect_b32 s22, s35, s22
	s_add_i32 s23, s17, 1
	s_cmp_ge_u32 s22, s13
	s_cselect_b32 s13, s23, s17
	s_delay_alu instid0(SALU_CYCLE_1) | instskip(NEXT) | instid1(SALU_CYCLE_1)
	s_xor_b32 s13, s13, s3
	s_sub_i32 s22, s13, s3
	s_delay_alu instid0(SALU_CYCLE_1) | instskip(SKIP_3) | instid1(VALU_DEP_1)
	s_abs_i32 s3, s22
	s_ashr_i32 s23, s22, 31
	v_cvt_f32_u32_e32 v1, s3
	s_sub_i32 s13, 0, s3
	v_rcp_iflag_f32_e32 v1, v1
	s_waitcnt_depctr 0xfff
	v_mul_f32_e32 v1, 0x4f7ffffe, v1
	s_delay_alu instid0(VALU_DEP_1) | instskip(NEXT) | instid1(VALU_DEP_1)
	v_cvt_u32_f32_e32 v1, v1
	v_mul_lo_u32 v2, s13, v1
	s_ashr_i32 s13, s12, 31
	s_delay_alu instid0(VALU_DEP_1) | instskip(NEXT) | instid1(VALU_DEP_1)
	v_mul_hi_u32 v2, v1, v2
	v_add_nc_u32_e32 v1, v1, v2
	s_delay_alu instid0(VALU_DEP_1) | instskip(NEXT) | instid1(VALU_DEP_1)
	v_mul_hi_u32 v1, v0, v1
	v_mul_lo_u32 v2, v1, s3
	v_add_nc_u32_e32 v3, 1, v1
	s_delay_alu instid0(VALU_DEP_2) | instskip(NEXT) | instid1(VALU_DEP_1)
	v_sub_nc_u32_e32 v2, v0, v2
	v_subrev_nc_u32_e32 v4, s3, v2
	v_cmp_le_u32_e32 vcc_lo, s3, v2
	s_delay_alu instid0(VALU_DEP_2) | instskip(NEXT) | instid1(VALU_DEP_1)
	v_dual_cndmask_b32 v1, v1, v3 :: v_dual_cndmask_b32 v2, v2, v4
	v_dual_mov_b32 v4, 0 :: v_dual_add_nc_u32 v3, 1, v1
	s_delay_alu instid0(VALU_DEP_2) | instskip(SKIP_2) | instid1(VALU_DEP_1)
	v_cmp_le_u32_e32 vcc_lo, s3, v2
	ds_load_b32 v28, v4 offset:4224
	v_cndmask_b32_e32 v1, v1, v3, vcc_lo
	v_xor_b32_e32 v1, s23, v1
	s_delay_alu instid0(VALU_DEP_1) | instskip(NEXT) | instid1(VALU_DEP_1)
	v_subrev_nc_u32_e32 v1, s23, v1
	v_ashrrev_i32_e32 v2, 31, v1
	v_mul_lo_u32 v3, v1, s22
	s_delay_alu instid0(VALU_DEP_2) | instskip(NEXT) | instid1(VALU_DEP_2)
	v_lshlrev_b64 v[7:8], 5, v[1:2]
	v_sub_nc_u32_e32 v3, v0, v3
	s_delay_alu instid0(VALU_DEP_2) | instskip(NEXT) | instid1(VALU_DEP_3)
	v_add_co_u32 v5, vcc_lo, v7, 32
	v_add_co_ci_u32_e32 v6, vcc_lo, 0, v8, vcc_lo
	s_delay_alu instid0(VALU_DEP_1) | instskip(SKIP_4) | instid1(VALU_DEP_3)
	v_cmp_gt_i64_e32 vcc_lo, s[12:13], v[5:6]
	v_cndmask_b32_e32 v6, s13, v6, vcc_lo
	v_cndmask_b32_e32 v5, s12, v5, vcc_lo
	v_add_co_u32 v7, vcc_lo, v7, v3
	v_add_co_ci_u32_e32 v8, vcc_lo, 0, v8, vcc_lo
	v_ashrrev_i32_e32 v10, 31, v5
	v_mov_b32_e32 v9, v5
	s_mov_b32 s13, exec_lo
	s_delay_alu instid0(VALU_DEP_1)
	v_cmpx_lt_i64_e64 v[7:8], v[9:10]
	s_cbranch_execz .LBB70_26
; %bb.17:
	v_lshlrev_b64 v[13:14], 8, v[1:2]
	v_lshlrev_b64 v[11:12], 3, v[3:4]
	s_mul_i32 s3, s22, 24
	s_mul_hi_i32 s17, s22, 24
	s_add_u32 s35, s8, s3
	s_delay_alu instid0(VALU_DEP_2) | instskip(SKIP_2) | instid1(VALU_DEP_2)
	v_add_co_u32 v4, vcc_lo, s24, v13
	v_add_co_ci_u32_e32 v15, vcc_lo, s25, v14, vcc_lo
	s_addc_u32 s24, s9, s17
	v_add_co_u32 v17, vcc_lo, s35, v4
	s_lshl_b64 s[36:37], s[22:23], 4
	s_delay_alu instid0(VALU_DEP_2)
	v_add_co_ci_u32_e32 v18, vcc_lo, s24, v15, vcc_lo
	s_lshl_b64 s[24:25], s[22:23], 5
	s_add_u32 s35, s8, s36
	s_addc_u32 s40, s9, s37
	s_lshl_b64 s[38:39], s[22:23], 3
	v_add_co_u32 v19, vcc_lo, s35, v4
	s_add_u32 s35, s8, s38
	v_add_co_ci_u32_e32 v20, vcc_lo, s40, v15, vcc_lo
	s_addc_u32 s40, s9, s39
	v_add_co_u32 v21, vcc_lo, s35, v4
	v_add_co_ci_u32_e32 v22, vcc_lo, s40, v15, vcc_lo
	v_add_co_u32 v23, vcc_lo, s8, v4
	s_add_u32 s8, s10, s3
	v_add_co_ci_u32_e32 v24, vcc_lo, s9, v15, vcc_lo
	s_addc_u32 s9, s11, s17
	v_add_co_u32 v25, vcc_lo, s8, v13
	s_add_u32 s8, s10, s36
	v_add_co_ci_u32_e32 v26, vcc_lo, s9, v14, vcc_lo
	s_addc_u32 s9, s11, s37
	;; [unrolled: 4-line block ×3, first 2 shown]
	v_add_co_u32 v30, vcc_lo, s8, v13
	v_add_co_ci_u32_e32 v31, vcc_lo, s9, v14, vcc_lo
	v_add_co_u32 v32, vcc_lo, s10, v13
	v_add_co_ci_u32_e32 v33, vcc_lo, s11, v14, vcc_lo
	;; [unrolled: 2-line block ×3, first 2 shown]
	s_add_u32 s3, s26, s3
	s_addc_u32 s8, s27, s17
	s_delay_alu instid0(VALU_DEP_2)
	v_add_co_u32 v34, vcc_lo, s3, v4
	s_add_u32 s3, s26, s36
	v_add_co_ci_u32_e32 v35, vcc_lo, s8, v13, vcc_lo
	s_addc_u32 s8, s27, s37
	v_add_co_u32 v36, vcc_lo, s3, v4
	s_add_u32 s3, s26, s38
	v_add_co_ci_u32_e32 v37, vcc_lo, s8, v13, vcc_lo
	s_addc_u32 s8, s27, s39
	v_add_co_u32 v38, vcc_lo, s3, v4
	v_add_co_ci_u32_e32 v39, vcc_lo, s8, v13, vcc_lo
	v_add_co_u32 v40, vcc_lo, s26, v4
	v_add_co_ci_u32_e32 v41, vcc_lo, s27, v13, vcc_lo
	v_mov_b32_e32 v14, v8
	v_dual_mov_b32 v4, 0 :: v_dual_mov_b32 v13, v7
	s_mul_hi_i32 s17, s22, 3
	s_mul_i32 s26, s22, 3
	s_lshl_b64 s[8:9], s[22:23], 1
	s_mov_b32 s27, 0
                                        ; implicit-def: $sgpr28
	s_branch .LBB70_21
.LBB70_18:                              ;   in Loop: Header=BB70_21 Depth=1
	s_or_b32 exec_lo, exec_lo, s36
	s_delay_alu instid0(SALU_CYCLE_1)
	s_or_not1_b32 s3, s3, exec_lo
.LBB70_19:                              ;   in Loop: Header=BB70_21 Depth=1
	s_or_b32 exec_lo, exec_lo, s35
	s_delay_alu instid0(SALU_CYCLE_1) | instskip(SKIP_1) | instid1(SALU_CYCLE_1)
	s_and_not1_b32 s28, s28, exec_lo
	s_and_b32 s3, s3, exec_lo
	s_or_b32 s28, s28, s3
.LBB70_20:                              ;   in Loop: Header=BB70_21 Depth=1
	s_or_b32 exec_lo, exec_lo, s29
	s_delay_alu instid0(SALU_CYCLE_1) | instskip(NEXT) | instid1(SALU_CYCLE_1)
	s_and_b32 s3, exec_lo, s28
	s_or_b32 s27, s3, s27
	s_delay_alu instid0(SALU_CYCLE_1)
	s_and_not1_b32 exec_lo, exec_lo, s27
	s_cbranch_execz .LBB70_25
.LBB70_21:                              ; =>This Inner Loop Header: Depth=1
	v_add_co_u32 v15, vcc_lo, v23, v11
	v_add_co_ci_u32_e32 v16, vcc_lo, v24, v12, vcc_lo
	v_add_co_u32 v42, vcc_lo, v32, v11
	v_add_co_ci_u32_e32 v43, vcc_lo, v33, v12, vcc_lo
	;; [unrolled: 2-line block ×3, first 2 shown]
	global_load_b64 v[15:16], v[15:16], off
	global_load_b64 v[42:43], v[42:43], off
	;; [unrolled: 1-line block ×3, first 2 shown]
	s_or_b32 s28, s28, exec_lo
	s_mov_b32 s29, exec_lo
	s_waitcnt vmcnt(2)
	v_lshlrev_b32_e32 v48, 16, v15
	s_waitcnt vmcnt(0)
	v_and_b32_e32 v50, 0xffff0000, v44
	v_lshlrev_b32_e32 v49, 16, v44
	v_alignbit_b32 v44, v45, v44, 16
	s_delay_alu instid0(VALU_DEP_1) | instskip(SKIP_2) | instid1(VALU_DEP_1)
	v_and_b32_e32 v44, 0xffff0000, v44
	v_and_b32_e32 v46, 0xffff0000, v15
	v_alignbit_b32 v15, v16, v15, 16
	v_and_b32_e32 v15, 0xffff0000, v15
	s_delay_alu instid0(VALU_DEP_1) | instskip(SKIP_2) | instid1(VALU_DEP_2)
	v_dual_add_f32 v15, v15, v44 :: v_dual_add_f32 v46, v46, v50
	v_dual_add_f32 v48, v48, v49 :: v_dual_and_b32 v47, 0xffff0000, v42
	s_waitcnt lgkmcnt(0)
	v_dual_mul_f32 v15, v28, v15 :: v_dual_and_b32 v16, 0xffff0000, v16
	s_delay_alu instid0(VALU_DEP_3) | instskip(NEXT) | instid1(VALU_DEP_3)
	v_dual_mul_f32 v46, v28, v46 :: v_dual_and_b32 v45, 0xffff0000, v45
	v_mul_f32_e32 v48, v28, v48
	s_delay_alu instid0(VALU_DEP_3) | instskip(NEXT) | instid1(VALU_DEP_3)
	v_bfe_u32 v51, v15, 16, 1
	v_dual_add_f32 v16, v16, v45 :: v_dual_lshlrev_b32 v45, 16, v42
	s_delay_alu instid0(VALU_DEP_3) | instskip(SKIP_1) | instid1(VALU_DEP_3)
	v_bfe_u32 v44, v48, 16, 1
	v_alignbit_b32 v42, v43, v42, 16
	v_dual_mul_f32 v16, v28, v16 :: v_dual_and_b32 v43, 0xffff0000, v43
	v_bfe_u32 v49, v46, 16, 1
	s_delay_alu instid0(VALU_DEP_4)
	v_add3_u32 v44, v48, v44, 0x7fff
	v_cmp_o_f32_e32 vcc_lo, v48, v48
	v_and_b32_e32 v42, 0xffff0000, v42
	v_bfe_u32 v50, v16, 16, 1
	v_add3_u32 v49, v46, v49, 0x7fff
	v_and_b32_e32 v44, 0xffff0000, v44
	v_add3_u32 v51, v15, v51, 0x7fff
	s_delay_alu instid0(VALU_DEP_4) | instskip(NEXT) | instid1(VALU_DEP_4)
	v_add3_u32 v50, v16, v50, 0x7fff
	v_and_b32_e32 v49, 0xffff0000, v49
	s_delay_alu instid0(VALU_DEP_4)
	v_cndmask_b32_e32 v44, 0x7fc00000, v44, vcc_lo
	v_cmp_o_f32_e32 vcc_lo, v46, v46
	v_and_b32_e32 v48, 0xffff0000, v51
	v_and_b32_e32 v50, 0xffff0000, v50
	v_cndmask_b32_e32 v46, 0x7fc00000, v49, vcc_lo
	v_cmp_o_f32_e32 vcc_lo, v16, v16
	s_delay_alu instid0(VALU_DEP_3) | instskip(SKIP_1) | instid1(VALU_DEP_4)
	v_cndmask_b32_e32 v16, 0x7fc00000, v50, vcc_lo
	v_cmp_o_f32_e32 vcc_lo, v15, v15
	v_dual_mul_f32 v44, v44, v45 :: v_dual_mul_f32 v45, v46, v47
	s_delay_alu instid0(VALU_DEP_3) | instskip(SKIP_1) | instid1(VALU_DEP_3)
	v_mul_f32_e32 v43, v16, v43
	v_cndmask_b32_e32 v15, 0x7fc00000, v48, vcc_lo
	v_bfe_u32 v46, v44, 16, 1
	s_delay_alu instid0(VALU_DEP_4) | instskip(SKIP_1) | instid1(VALU_DEP_4)
	v_bfe_u32 v16, v45, 16, 1
	v_cmp_o_f32_e32 vcc_lo, v44, v44
	v_mul_f32_e32 v42, v15, v42
	s_delay_alu instid0(VALU_DEP_4) | instskip(NEXT) | instid1(VALU_DEP_4)
	v_add3_u32 v15, v44, v46, 0x7fff
	v_add3_u32 v16, v45, v16, 0x7fff
	v_bfe_u32 v46, v43, 16, 1
	s_delay_alu instid0(VALU_DEP_4) | instskip(NEXT) | instid1(VALU_DEP_4)
	v_bfe_u32 v47, v42, 16, 1
	v_and_b32_e32 v15, 0xffff0000, v15
	s_delay_alu instid0(VALU_DEP_4) | instskip(NEXT) | instid1(VALU_DEP_4)
	v_and_b32_e32 v16, 0xffff0000, v16
	v_add3_u32 v46, v43, v46, 0x7fff
	s_delay_alu instid0(VALU_DEP_4) | instskip(NEXT) | instid1(VALU_DEP_4)
	v_add3_u32 v47, v42, v47, 0x7fff
	v_cndmask_b32_e64 v44, 0x7fc00000, |v15|, vcc_lo
	v_cmp_o_f32_e32 vcc_lo, v45, v45
	s_delay_alu instid0(VALU_DEP_4) | instskip(NEXT) | instid1(VALU_DEP_4)
	v_and_b32_e32 v46, 0xffff0000, v46
	v_and_b32_e32 v47, 0xffff0000, v47
	v_cndmask_b32_e64 v45, 0x7fc00000, |v16|, vcc_lo
	v_add_co_u32 v15, vcc_lo, v13, s22
	v_add_co_ci_u32_e32 v16, vcc_lo, s23, v14, vcc_lo
	v_cmp_o_f32_e32 vcc_lo, v42, v42
	s_delay_alu instid0(VALU_DEP_4) | instskip(SKIP_3) | instid1(VALU_DEP_1)
	v_max3_f32 v4, v4, v44, v45
	v_cndmask_b32_e64 v42, 0x7fc00000, |v47|, vcc_lo
	v_cmp_o_f32_e32 vcc_lo, v43, v43
	v_cndmask_b32_e64 v43, 0x7fc00000, |v46|, vcc_lo
	v_max3_f32 v4, v4, v42, v43
	v_cmpx_lt_i64_e64 v[15:16], v[9:10]
	s_cbranch_execz .LBB70_20
; %bb.22:                               ;   in Loop: Header=BB70_21 Depth=1
	v_add_co_u32 v42, vcc_lo, v21, v11
	v_add_co_ci_u32_e32 v43, vcc_lo, v22, v12, vcc_lo
	v_add_co_u32 v44, vcc_lo, v30, v11
	v_add_co_ci_u32_e32 v45, vcc_lo, v31, v12, vcc_lo
	;; [unrolled: 2-line block ×3, first 2 shown]
	global_load_b64 v[42:43], v[42:43], off
	global_load_b64 v[44:45], v[44:45], off
	;; [unrolled: 1-line block ×3, first 2 shown]
	s_mov_b32 s3, -1
	s_mov_b32 s35, exec_lo
	s_waitcnt vmcnt(2)
	v_lshlrev_b32_e32 v50, 16, v42
	s_waitcnt vmcnt(0)
	v_lshlrev_b32_e32 v51, 16, v46
	v_and_b32_e32 v52, 0xffff0000, v46
	v_alignbit_b32 v46, v47, v46, 16
	v_and_b32_e32 v47, 0xffff0000, v47
	v_and_b32_e32 v48, 0xffff0000, v42
	v_alignbit_b32 v42, v43, v42, 16
	v_and_b32_e32 v43, 0xffff0000, v43
	s_delay_alu instid0(VALU_DEP_1) | instskip(NEXT) | instid1(VALU_DEP_4)
	v_dual_add_f32 v43, v43, v47 :: v_dual_and_b32 v46, 0xffff0000, v46
	v_add_f32_e32 v48, v48, v52
	v_lshlrev_b32_e32 v47, 16, v44
	s_delay_alu instid0(VALU_DEP_3) | instskip(NEXT) | instid1(VALU_DEP_3)
	v_mul_f32_e32 v43, v28, v43
	v_mul_f32_e32 v48, v28, v48
	v_dual_add_f32 v50, v50, v51 :: v_dual_and_b32 v49, 0xffff0000, v44
	v_alignbit_b32 v44, v45, v44, 16
	v_and_b32_e32 v45, 0xffff0000, v45
	v_and_b32_e32 v42, 0xffff0000, v42
	v_bfe_u32 v51, v48, 16, 1
	v_mul_f32_e32 v50, v28, v50
	v_bfe_u32 v52, v43, 16, 1
	v_and_b32_e32 v44, 0xffff0000, v44
	v_add_f32_e32 v42, v42, v46
	v_add3_u32 v51, v48, v51, 0x7fff
	v_bfe_u32 v46, v50, 16, 1
	v_cmp_o_f32_e32 vcc_lo, v50, v50
	v_add3_u32 v52, v43, v52, 0x7fff
	s_delay_alu instid0(VALU_DEP_4) | instskip(NEXT) | instid1(VALU_DEP_4)
	v_dual_mul_f32 v42, v28, v42 :: v_dual_and_b32 v51, 0xffff0000, v51
	v_add3_u32 v46, v50, v46, 0x7fff
	s_delay_alu instid0(VALU_DEP_3) | instskip(NEXT) | instid1(VALU_DEP_3)
	v_and_b32_e32 v52, 0xffff0000, v52
	v_bfe_u32 v53, v42, 16, 1
	s_delay_alu instid0(VALU_DEP_3) | instskip(NEXT) | instid1(VALU_DEP_2)
	v_and_b32_e32 v46, 0xffff0000, v46
	v_add3_u32 v53, v42, v53, 0x7fff
	s_delay_alu instid0(VALU_DEP_2) | instskip(SKIP_1) | instid1(VALU_DEP_3)
	v_cndmask_b32_e32 v46, 0x7fc00000, v46, vcc_lo
	v_cmp_o_f32_e32 vcc_lo, v48, v48
	v_and_b32_e32 v50, 0xffff0000, v53
	s_delay_alu instid0(VALU_DEP_3) | instskip(SKIP_2) | instid1(VALU_DEP_2)
	v_mul_f32_e32 v46, v46, v47
	v_cndmask_b32_e32 v48, 0x7fc00000, v51, vcc_lo
	v_cmp_o_f32_e32 vcc_lo, v43, v43
	v_mul_f32_e32 v47, v48, v49
	v_cndmask_b32_e32 v43, 0x7fc00000, v52, vcc_lo
	v_cmp_o_f32_e32 vcc_lo, v42, v42
	v_bfe_u32 v48, v46, 16, 1
	s_delay_alu instid0(VALU_DEP_3) | instskip(SKIP_2) | instid1(VALU_DEP_2)
	v_dual_mul_f32 v45, v43, v45 :: v_dual_cndmask_b32 v42, 0x7fc00000, v50
	v_bfe_u32 v43, v47, 16, 1
	v_cmp_o_f32_e32 vcc_lo, v46, v46
	v_add3_u32 v43, v47, v43, 0x7fff
	s_delay_alu instid0(VALU_DEP_4) | instskip(SKIP_2) | instid1(VALU_DEP_4)
	v_mul_f32_e32 v44, v42, v44
	v_add3_u32 v42, v46, v48, 0x7fff
	v_bfe_u32 v48, v45, 16, 1
	v_and_b32_e32 v43, 0xffff0000, v43
	s_delay_alu instid0(VALU_DEP_4) | instskip(NEXT) | instid1(VALU_DEP_4)
	v_bfe_u32 v49, v44, 16, 1
	v_and_b32_e32 v42, 0xffff0000, v42
	s_delay_alu instid0(VALU_DEP_4) | instskip(NEXT) | instid1(VALU_DEP_3)
	v_add3_u32 v48, v45, v48, 0x7fff
	v_add3_u32 v49, v44, v49, 0x7fff
	s_delay_alu instid0(VALU_DEP_3) | instskip(SKIP_1) | instid1(VALU_DEP_4)
	v_cndmask_b32_e64 v46, 0x7fc00000, |v42|, vcc_lo
	v_cmp_o_f32_e32 vcc_lo, v47, v47
	v_and_b32_e32 v48, 0xffff0000, v48
	s_delay_alu instid0(VALU_DEP_4) | instskip(SKIP_4) | instid1(VALU_DEP_4)
	v_and_b32_e32 v49, 0xffff0000, v49
	v_cndmask_b32_e64 v47, 0x7fc00000, |v43|, vcc_lo
	v_add_co_u32 v42, vcc_lo, s8, v13
	v_add_co_ci_u32_e32 v43, vcc_lo, s9, v14, vcc_lo
	v_cmp_o_f32_e32 vcc_lo, v44, v44
	v_max3_f32 v4, v4, v46, v47
	v_cndmask_b32_e64 v44, 0x7fc00000, |v49|, vcc_lo
	v_cmp_o_f32_e32 vcc_lo, v45, v45
	v_cndmask_b32_e64 v45, 0x7fc00000, |v48|, vcc_lo
	s_delay_alu instid0(VALU_DEP_1)
	v_max3_f32 v4, v4, v44, v45
	v_cmpx_lt_i64_e64 v[42:43], v[9:10]
	s_cbranch_execz .LBB70_19
; %bb.23:                               ;   in Loop: Header=BB70_21 Depth=1
	v_add_co_u32 v42, vcc_lo, v19, v11
	v_add_co_ci_u32_e32 v43, vcc_lo, v20, v12, vcc_lo
	v_add_co_u32 v44, vcc_lo, v27, v11
	v_add_co_ci_u32_e32 v45, vcc_lo, v29, v12, vcc_lo
	;; [unrolled: 2-line block ×3, first 2 shown]
	global_load_b64 v[42:43], v[42:43], off
	global_load_b64 v[44:45], v[44:45], off
	;; [unrolled: 1-line block ×3, first 2 shown]
	s_waitcnt vmcnt(2)
	v_lshlrev_b32_e32 v50, 16, v42
	s_waitcnt vmcnt(0)
	v_lshlrev_b32_e32 v51, 16, v46
	v_and_b32_e32 v52, 0xffff0000, v46
	v_alignbit_b32 v46, v47, v46, 16
	v_and_b32_e32 v47, 0xffff0000, v47
	v_and_b32_e32 v48, 0xffff0000, v42
	v_alignbit_b32 v42, v43, v42, 16
	v_and_b32_e32 v43, 0xffff0000, v43
	s_delay_alu instid0(VALU_DEP_1) | instskip(NEXT) | instid1(VALU_DEP_4)
	v_dual_add_f32 v43, v43, v47 :: v_dual_and_b32 v46, 0xffff0000, v46
	v_add_f32_e32 v48, v48, v52
	v_lshlrev_b32_e32 v47, 16, v44
	s_delay_alu instid0(VALU_DEP_3) | instskip(NEXT) | instid1(VALU_DEP_3)
	v_mul_f32_e32 v43, v28, v43
	v_mul_f32_e32 v48, v28, v48
	v_dual_add_f32 v50, v50, v51 :: v_dual_and_b32 v49, 0xffff0000, v44
	v_alignbit_b32 v44, v45, v44, 16
	v_and_b32_e32 v45, 0xffff0000, v45
	v_and_b32_e32 v42, 0xffff0000, v42
	v_bfe_u32 v51, v48, 16, 1
	v_mul_f32_e32 v50, v28, v50
	v_bfe_u32 v52, v43, 16, 1
	v_and_b32_e32 v44, 0xffff0000, v44
	v_add_f32_e32 v42, v42, v46
	v_add3_u32 v51, v48, v51, 0x7fff
	v_bfe_u32 v46, v50, 16, 1
	v_cmp_o_f32_e32 vcc_lo, v50, v50
	v_add3_u32 v52, v43, v52, 0x7fff
	s_delay_alu instid0(VALU_DEP_4) | instskip(NEXT) | instid1(VALU_DEP_4)
	v_dual_mul_f32 v42, v28, v42 :: v_dual_and_b32 v51, 0xffff0000, v51
	v_add3_u32 v46, v50, v46, 0x7fff
	s_delay_alu instid0(VALU_DEP_3) | instskip(NEXT) | instid1(VALU_DEP_3)
	v_and_b32_e32 v52, 0xffff0000, v52
	v_bfe_u32 v53, v42, 16, 1
	s_delay_alu instid0(VALU_DEP_3) | instskip(NEXT) | instid1(VALU_DEP_2)
	v_and_b32_e32 v46, 0xffff0000, v46
	v_add3_u32 v53, v42, v53, 0x7fff
	s_delay_alu instid0(VALU_DEP_2) | instskip(SKIP_1) | instid1(VALU_DEP_3)
	v_cndmask_b32_e32 v46, 0x7fc00000, v46, vcc_lo
	v_cmp_o_f32_e32 vcc_lo, v48, v48
	v_and_b32_e32 v50, 0xffff0000, v53
	s_delay_alu instid0(VALU_DEP_3) | instskip(SKIP_2) | instid1(VALU_DEP_2)
	v_mul_f32_e32 v46, v46, v47
	v_cndmask_b32_e32 v48, 0x7fc00000, v51, vcc_lo
	v_cmp_o_f32_e32 vcc_lo, v43, v43
	v_mul_f32_e32 v47, v48, v49
	v_cndmask_b32_e32 v43, 0x7fc00000, v52, vcc_lo
	v_cmp_o_f32_e32 vcc_lo, v42, v42
	v_bfe_u32 v48, v46, 16, 1
	s_delay_alu instid0(VALU_DEP_3) | instskip(SKIP_2) | instid1(VALU_DEP_2)
	v_dual_mul_f32 v43, v43, v45 :: v_dual_cndmask_b32 v42, 0x7fc00000, v50
	v_bfe_u32 v45, v47, 16, 1
	v_cmp_o_f32_e32 vcc_lo, v46, v46
	v_add3_u32 v45, v47, v45, 0x7fff
	s_delay_alu instid0(VALU_DEP_4) | instskip(SKIP_2) | instid1(VALU_DEP_4)
	v_mul_f32_e32 v42, v42, v44
	v_add3_u32 v44, v46, v48, 0x7fff
	v_bfe_u32 v48, v43, 16, 1
	v_and_b32_e32 v45, 0xffff0000, v45
	s_delay_alu instid0(VALU_DEP_4) | instskip(NEXT) | instid1(VALU_DEP_4)
	v_bfe_u32 v49, v42, 16, 1
	v_and_b32_e32 v44, 0xffff0000, v44
	s_delay_alu instid0(VALU_DEP_4) | instskip(NEXT) | instid1(VALU_DEP_3)
	v_add3_u32 v48, v43, v48, 0x7fff
	v_add3_u32 v49, v42, v49, 0x7fff
	s_delay_alu instid0(VALU_DEP_3) | instskip(SKIP_1) | instid1(VALU_DEP_4)
	v_cndmask_b32_e64 v44, 0x7fc00000, |v44|, vcc_lo
	v_cmp_o_f32_e32 vcc_lo, v47, v47
	v_and_b32_e32 v47, 0xffff0000, v48
	s_delay_alu instid0(VALU_DEP_4) | instskip(SKIP_4) | instid1(VALU_DEP_4)
	v_and_b32_e32 v46, 0xffff0000, v49
	v_cndmask_b32_e64 v45, 0x7fc00000, |v45|, vcc_lo
	v_add_co_u32 v13, vcc_lo, s26, v13
	v_add_co_ci_u32_e32 v14, vcc_lo, s17, v14, vcc_lo
	v_cmp_o_f32_e32 vcc_lo, v42, v42
	v_max3_f32 v4, v4, v44, v45
	v_cndmask_b32_e64 v42, 0x7fc00000, |v46|, vcc_lo
	v_cmp_o_f32_e32 vcc_lo, v43, v43
	v_cndmask_b32_e64 v43, 0x7fc00000, |v47|, vcc_lo
	v_cmp_lt_i64_e32 vcc_lo, v[13:14], v[9:10]
                                        ; implicit-def: $vgpr13_vgpr14
	s_delay_alu instid0(VALU_DEP_2) | instskip(SKIP_1) | instid1(SALU_CYCLE_1)
	v_max3_f32 v4, v4, v42, v43
	s_and_saveexec_b32 s36, vcc_lo
	s_xor_b32 s36, exec_lo, s36
	s_cbranch_execz .LBB70_18
; %bb.24:                               ;   in Loop: Header=BB70_21 Depth=1
	v_add_co_u32 v13, vcc_lo, v17, v11
	v_add_co_ci_u32_e32 v14, vcc_lo, v18, v12, vcc_lo
	v_add_co_u32 v42, vcc_lo, v25, v11
	v_add_co_ci_u32_e32 v43, vcc_lo, v26, v12, vcc_lo
	;; [unrolled: 2-line block ×3, first 2 shown]
	global_load_b64 v[13:14], v[13:14], off
	global_load_b64 v[42:43], v[42:43], off
	;; [unrolled: 1-line block ×3, first 2 shown]
	v_add_co_u32 v17, vcc_lo, v17, s24
	v_add_co_ci_u32_e32 v18, vcc_lo, s25, v18, vcc_lo
	v_add_co_u32 v19, vcc_lo, v19, s24
	v_add_co_ci_u32_e32 v20, vcc_lo, s25, v20, vcc_lo
	;; [unrolled: 2-line block ×10, first 2 shown]
	s_add_u32 s3, s22, s22
	s_addc_u32 s37, s23, s23
	s_add_u32 s3, s3, s22
	s_addc_u32 s37, s37, s23
	s_waitcnt vmcnt(2)
	v_lshlrev_b32_e32 v48, 16, v13
	s_waitcnt vmcnt(0)
	v_and_b32_e32 v50, 0xffff0000, v44
	v_lshlrev_b32_e32 v49, 16, v44
	v_alignbit_b32 v44, v45, v44, 16
	s_delay_alu instid0(VALU_DEP_1) | instskip(SKIP_2) | instid1(VALU_DEP_1)
	v_and_b32_e32 v44, 0xffff0000, v44
	v_and_b32_e32 v46, 0xffff0000, v13
	v_alignbit_b32 v13, v14, v13, 16
	v_and_b32_e32 v13, 0xffff0000, v13
	s_delay_alu instid0(VALU_DEP_1) | instskip(SKIP_1) | instid1(VALU_DEP_2)
	v_dual_add_f32 v13, v13, v44 :: v_dual_add_f32 v46, v46, v50
	v_dual_add_f32 v48, v48, v49 :: v_dual_and_b32 v47, 0xffff0000, v42
	v_dual_mul_f32 v13, v28, v13 :: v_dual_and_b32 v14, 0xffff0000, v14
	s_delay_alu instid0(VALU_DEP_3) | instskip(NEXT) | instid1(VALU_DEP_3)
	v_dual_mul_f32 v46, v28, v46 :: v_dual_and_b32 v45, 0xffff0000, v45
	v_mul_f32_e32 v48, v28, v48
	s_delay_alu instid0(VALU_DEP_3) | instskip(NEXT) | instid1(VALU_DEP_3)
	v_bfe_u32 v51, v13, 16, 1
	v_dual_add_f32 v14, v14, v45 :: v_dual_lshlrev_b32 v45, 16, v42
	s_delay_alu instid0(VALU_DEP_3) | instskip(SKIP_2) | instid1(VALU_DEP_4)
	v_bfe_u32 v44, v48, 16, 1
	v_bfe_u32 v49, v46, 16, 1
	v_alignbit_b32 v42, v43, v42, 16
	v_dual_mul_f32 v14, v28, v14 :: v_dual_and_b32 v43, 0xffff0000, v43
	s_delay_alu instid0(VALU_DEP_4) | instskip(NEXT) | instid1(VALU_DEP_4)
	v_add3_u32 v44, v48, v44, 0x7fff
	v_add3_u32 v49, v46, v49, 0x7fff
	v_cmp_o_f32_e32 vcc_lo, v48, v48
	s_delay_alu instid0(VALU_DEP_4)
	v_bfe_u32 v50, v14, 16, 1
	v_and_b32_e32 v42, 0xffff0000, v42
	v_and_b32_e32 v44, 0xffff0000, v44
	;; [unrolled: 1-line block ×3, first 2 shown]
	v_add3_u32 v51, v13, v51, 0x7fff
	v_add3_u32 v50, v14, v50, 0x7fff
	s_delay_alu instid0(VALU_DEP_4) | instskip(SKIP_1) | instid1(VALU_DEP_4)
	v_cndmask_b32_e32 v44, 0x7fc00000, v44, vcc_lo
	v_cmp_o_f32_e32 vcc_lo, v46, v46
	v_and_b32_e32 v48, 0xffff0000, v51
	s_delay_alu instid0(VALU_DEP_4) | instskip(SKIP_2) | instid1(VALU_DEP_3)
	v_and_b32_e32 v50, 0xffff0000, v50
	v_cndmask_b32_e32 v46, 0x7fc00000, v49, vcc_lo
	v_cmp_o_f32_e32 vcc_lo, v14, v14
	v_cndmask_b32_e32 v14, 0x7fc00000, v50, vcc_lo
	v_cmp_o_f32_e32 vcc_lo, v13, v13
	s_delay_alu instid0(VALU_DEP_4) | instskip(NEXT) | instid1(VALU_DEP_3)
	v_dual_mul_f32 v44, v44, v45 :: v_dual_mul_f32 v45, v46, v47
	v_mul_f32_e32 v43, v14, v43
	v_cndmask_b32_e32 v13, 0x7fc00000, v48, vcc_lo
	s_delay_alu instid0(VALU_DEP_3) | instskip(NEXT) | instid1(VALU_DEP_4)
	v_bfe_u32 v14, v44, 16, 1
	v_bfe_u32 v46, v45, 16, 1
	v_cmp_o_f32_e32 vcc_lo, v44, v44
	s_delay_alu instid0(VALU_DEP_4) | instskip(NEXT) | instid1(VALU_DEP_4)
	v_mul_f32_e32 v42, v13, v42
	v_add3_u32 v14, v44, v14, 0x7fff
	v_bfe_u32 v13, v43, 16, 1
	v_add3_u32 v46, v45, v46, 0x7fff
	s_delay_alu instid0(VALU_DEP_4) | instskip(NEXT) | instid1(VALU_DEP_4)
	v_bfe_u32 v47, v42, 16, 1
	v_and_b32_e32 v14, 0xffff0000, v14
	s_delay_alu instid0(VALU_DEP_4) | instskip(NEXT) | instid1(VALU_DEP_4)
	v_add3_u32 v13, v43, v13, 0x7fff
	v_and_b32_e32 v46, 0xffff0000, v46
	s_delay_alu instid0(VALU_DEP_4) | instskip(NEXT) | instid1(VALU_DEP_4)
	v_add3_u32 v47, v42, v47, 0x7fff
	v_cndmask_b32_e64 v44, 0x7fc00000, |v14|, vcc_lo
	v_cmp_o_f32_e32 vcc_lo, v45, v45
	v_and_b32_e32 v48, 0xffff0000, v13
	v_cndmask_b32_e64 v45, 0x7fc00000, |v46|, vcc_lo
	v_add_co_u32 v13, vcc_lo, s3, v15
	v_add_co_ci_u32_e32 v14, vcc_lo, s37, v16, vcc_lo
	v_cmp_o_f32_e32 vcc_lo, v43, v43
	v_and_b32_e32 v15, 0xffff0000, v47
	v_max3_f32 v4, v4, v44, v45
	v_add_co_u32 v40, s3, v40, s24
	v_cndmask_b32_e64 v16, 0x7fc00000, |v48|, vcc_lo
	v_cmp_o_f32_e32 vcc_lo, v42, v42
	v_add_co_ci_u32_e64 v41, s3, s25, v41, s3
	v_cndmask_b32_e64 v15, 0x7fc00000, |v15|, vcc_lo
	v_add_co_u32 v38, vcc_lo, v38, s24
	v_add_co_ci_u32_e32 v39, vcc_lo, s25, v39, vcc_lo
	v_cmp_ge_i64_e32 vcc_lo, v[13:14], v[9:10]
	s_delay_alu instid0(VALU_DEP_4)
	v_max3_f32 v4, v4, v15, v16
	s_or_not1_b32 s3, vcc_lo, exec_lo
	s_branch .LBB70_18
.LBB70_25:
	s_or_b32 exec_lo, exec_lo, s27
.LBB70_26:
	s_delay_alu instid0(SALU_CYCLE_1)
	s_or_b32 exec_lo, exec_lo, s13
	s_lshr_b32 s13, s34, 5
	s_ashr_i32 s17, s16, 31
	v_cvt_f32_u32_e32 v9, s13
	s_sub_i32 s8, 0, s13
	s_add_i32 s9, s16, s13
	v_lshlrev_b32_e32 v29, 2, v0
	s_add_i32 s9, s9, -1
	v_rcp_iflag_f32_e32 v9, v9
	s_abs_i32 s24, s9
	s_ashr_i32 s9, s9, 31
	ds_store_b32 v29, v4
	s_waitcnt lgkmcnt(0)
	s_barrier
	buffer_gl0_inv
	v_mul_f32_e32 v9, 0x4f7ffffe, v9
	s_delay_alu instid0(VALU_DEP_1) | instskip(NEXT) | instid1(VALU_DEP_1)
	v_cvt_u32_f32_e32 v9, v9
	v_readfirstlane_b32 s3, v9
	s_delay_alu instid0(VALU_DEP_1) | instskip(NEXT) | instid1(SALU_CYCLE_1)
	s_mul_i32 s8, s8, s3
	s_mul_hi_u32 s8, s3, s8
	s_delay_alu instid0(SALU_CYCLE_1) | instskip(NEXT) | instid1(SALU_CYCLE_1)
	s_add_i32 s3, s3, s8
	s_mul_hi_u32 s3, s24, s3
	s_delay_alu instid0(SALU_CYCLE_1) | instskip(NEXT) | instid1(SALU_CYCLE_1)
	s_mul_i32 s8, s3, s13
	s_sub_i32 s8, s24, s8
	s_add_i32 s24, s3, 1
	s_sub_i32 s25, s8, s13
	s_cmp_ge_u32 s8, s13
	s_cselect_b32 s3, s24, s3
	s_cselect_b32 s8, s25, s8
	s_add_i32 s24, s3, 1
	s_cmp_ge_u32 s8, s13
	s_cselect_b32 s3, s24, s3
	s_delay_alu instid0(SALU_CYCLE_1) | instskip(NEXT) | instid1(SALU_CYCLE_1)
	s_xor_b32 s3, s3, s9
	s_sub_i32 s8, s3, s9
	s_delay_alu instid0(SALU_CYCLE_1) | instskip(NEXT) | instid1(SALU_CYCLE_1)
	s_ashr_i32 s9, s8, 31
	v_cmp_lt_i64_e64 s3, s[8:9], 1
	s_delay_alu instid0(VALU_DEP_1)
	s_and_b32 vcc_lo, exec_lo, s3
	s_cbranch_vccnz .LBB70_46
; %bb.27:
	v_lshrrev_b32_e32 v9, 5, v0
	v_and_b32_e32 v4, 31, v0
	s_mov_b64 s[24:25], 0
	s_mov_b64 s[26:27], src_shared_base
	s_delay_alu instid0(VALU_DEP_2) | instskip(NEXT) | instid1(VALU_DEP_2)
	v_mul_lo_u32 v19, s22, v9
	v_add_co_u32 v11, s3, v4, 16
	s_delay_alu instid0(VALU_DEP_1) | instskip(SKIP_1) | instid1(VALU_DEP_1)
	v_add_co_ci_u32_e64 v12, null, 0, 0, s3
	v_add_co_u32 v13, s3, v4, 8
	v_add_co_ci_u32_e64 v14, null, 0, 0, s3
	v_add_co_u32 v15, s3, v4, 4
	v_dual_mov_b32 v10, 0 :: v_dual_lshlrev_b32 v21, 2, v19
	v_lshlrev_b32_e32 v22, 2, v4
	v_add_co_ci_u32_e64 v16, null, 0, 0, s3
	v_add_co_u32 v17, s3, v4, 2
	s_delay_alu instid0(VALU_DEP_1) | instskip(SKIP_1) | instid1(VALU_DEP_1)
	v_add_co_ci_u32_e64 v18, null, 0, 0, s3
	v_add_co_u32 v19, s3, v4, 1
	v_add_co_ci_u32_e64 v20, null, 0, 0, s3
	v_add3_u32 v30, v21, v22, 0x80
	s_mul_i32 s3, s22, s13
	s_delay_alu instid0(SALU_CYCLE_1)
	s_lshl_b32 s28, s3, 2
	s_branch .LBB70_30
.LBB70_28:                              ;   in Loop: Header=BB70_30 Depth=1
	s_or_b32 exec_lo, exec_lo, s3
	v_mov_b32_e32 v22, s27
	flat_load_b32 v21, v[21:22] glc dlc
	s_waitcnt vmcnt(0)
.LBB70_29:                              ;   in Loop: Header=BB70_30 Depth=1
	s_or_b32 exec_lo, exec_lo, s26
	s_add_u32 s24, s24, 1
	v_add_nc_u32_e32 v30, s28, v30
	s_addc_u32 s25, s25, 0
	s_delay_alu instid0(SALU_CYCLE_1)
	s_cmp_eq_u64 s[24:25], s[8:9]
	s_cbranch_scc1 .LBB70_46
.LBB70_30:                              ; =>This Loop Header: Depth=1
                                        ;     Child Loop BB70_33 Depth 2
	s_waitcnt lgkmcnt(0)
	v_mad_u64_u32 v[21:22], null, s24, s13, v[9:10]
	s_mov_b32 s26, exec_lo
	s_delay_alu instid0(VALU_DEP_1) | instskip(NEXT) | instid1(VALU_DEP_1)
	v_mad_u64_u32 v[23:24], null, s25, s13, v[22:23]
	v_mov_b32_e32 v22, v23
	s_delay_alu instid0(VALU_DEP_1)
	v_cmpx_gt_i64_e64 s[16:17], v[21:22]
	s_cbranch_execz .LBB70_29
; %bb.31:                               ;   in Loop: Header=BB70_30 Depth=1
	v_mul_lo_u32 v24, v22, s22
	v_mul_lo_u32 v25, v21, s23
	v_mad_u64_u32 v[22:23], null, v21, s22, 0
	s_delay_alu instid0(VALU_DEP_1) | instskip(NEXT) | instid1(VALU_DEP_2)
	v_add3_u32 v23, v23, v25, v24
	v_add_co_u32 v24, vcc_lo, v22, s22
	v_add_co_u32 v31, s3, v22, v4
	s_delay_alu instid0(VALU_DEP_3) | instskip(SKIP_2) | instid1(VALU_DEP_2)
	v_add_co_ci_u32_e32 v25, vcc_lo, s23, v23, vcc_lo
	v_add_co_ci_u32_e64 v21, s3, 0, v23, s3
	s_mov_b32 s3, exec_lo
	v_cmp_gt_i64_e32 vcc_lo, s[20:21], v[24:25]
	v_cndmask_b32_e32 v25, s21, v25, vcc_lo
	v_cndmask_b32_e32 v24, s20, v24, vcc_lo
	v_add_co_u32 v26, vcc_lo, v31, 32
	v_add_co_ci_u32_e32 v27, vcc_lo, 0, v21, vcc_lo
	v_lshlrev_b32_e32 v21, 2, v31
	s_delay_alu instid0(VALU_DEP_2)
	v_cmpx_lt_i64_e64 v[26:27], v[24:25]
	s_cbranch_execz .LBB70_34
; %bb.32:                               ;   in Loop: Header=BB70_30 Depth=1
	ds_load_b32 v33, v21
	v_mov_b32_e32 v32, v30
	s_mov_b32 s29, 0
.LBB70_33:                              ;   Parent Loop BB70_30 Depth=1
                                        ; =>  This Inner Loop Header: Depth=2
	ds_load_b32 v34, v32
	v_add_co_u32 v26, vcc_lo, v26, 32
	v_add_co_ci_u32_e32 v27, vcc_lo, 0, v27, vcc_lo
	s_waitcnt lgkmcnt(1)
	v_dual_max_f32 v33, v33, v33 :: v_dual_add_nc_u32 v32, 0x80, v32
	s_delay_alu instid0(VALU_DEP_2) | instskip(SKIP_3) | instid1(VALU_DEP_1)
	v_cmp_ge_i64_e32 vcc_lo, v[26:27], v[24:25]
	s_or_b32 s29, vcc_lo, s29
	s_waitcnt lgkmcnt(0)
	v_max_f32_e32 v34, v34, v34
	v_max_f32_e32 v33, v33, v34
	ds_store_b32 v21, v33
	s_and_not1_b32 exec_lo, exec_lo, s29
	s_cbranch_execnz .LBB70_33
.LBB70_34:                              ;   in Loop: Header=BB70_30 Depth=1
	s_or_b32 exec_lo, exec_lo, s3
	v_sub_co_u32 v22, vcc_lo, v24, v22
	v_sub_co_ci_u32_e32 v23, vcc_lo, v25, v23, vcc_lo
	s_mov_b32 s3, exec_lo
	s_delay_alu instid0(VALU_DEP_1) | instskip(SKIP_1) | instid1(VALU_DEP_1)
	v_cmp_gt_i64_e32 vcc_lo, 32, v[22:23]
	v_dual_cndmask_b32 v24, 0, v23 :: v_dual_cndmask_b32 v23, 32, v22
	v_cmpx_lt_i64_e64 v[11:12], v[23:24]
	s_cbranch_execz .LBB70_36
; %bb.35:                               ;   in Loop: Header=BB70_30 Depth=1
	v_dual_mov_b32 v22, s27 :: v_dual_add_nc_u32 v25, 64, v21
	v_mov_b32_e32 v26, s27
	flat_load_b32 v27, v[21:22] glc dlc
	s_waitcnt vmcnt(0)
	flat_load_b32 v25, v[25:26] glc dlc
	s_waitcnt vmcnt(0) lgkmcnt(0)
	v_dual_max_f32 v26, v27, v27 :: v_dual_max_f32 v25, v25, v25
	s_delay_alu instid0(VALU_DEP_1)
	v_max_f32_e32 v25, v26, v25
	flat_store_b32 v[21:22], v25 dlc
	s_waitcnt_vscnt null, 0x0
.LBB70_36:                              ;   in Loop: Header=BB70_30 Depth=1
	s_or_b32 exec_lo, exec_lo, s3
	s_delay_alu instid0(SALU_CYCLE_1)
	s_mov_b32 s3, exec_lo
	v_cmpx_lt_i64_e64 v[13:14], v[23:24]
	s_cbranch_execz .LBB70_38
; %bb.37:                               ;   in Loop: Header=BB70_30 Depth=1
	v_dual_mov_b32 v22, s27 :: v_dual_add_nc_u32 v25, 32, v21
	v_mov_b32_e32 v26, s27
	flat_load_b32 v27, v[21:22] glc dlc
	s_waitcnt vmcnt(0)
	flat_load_b32 v25, v[25:26] glc dlc
	s_waitcnt vmcnt(0) lgkmcnt(0)
	v_dual_max_f32 v26, v27, v27 :: v_dual_max_f32 v25, v25, v25
	s_delay_alu instid0(VALU_DEP_1)
	v_max_f32_e32 v25, v26, v25
	flat_store_b32 v[21:22], v25 dlc
	s_waitcnt_vscnt null, 0x0
.LBB70_38:                              ;   in Loop: Header=BB70_30 Depth=1
	s_or_b32 exec_lo, exec_lo, s3
	s_delay_alu instid0(SALU_CYCLE_1)
	s_mov_b32 s3, exec_lo
	v_cmpx_ge_i64_e64 v[15:16], v[23:24]
	s_xor_b32 s3, exec_lo, s3
; %bb.39:                               ;   in Loop: Header=BB70_30 Depth=1
                                        ; implicit-def: $vgpr21
; %bb.40:                               ;   in Loop: Header=BB70_30 Depth=1
	s_delay_alu instid0(SALU_CYCLE_1)
	s_and_not1_saveexec_b32 s3, s3
	s_cbranch_execz .LBB70_42
; %bb.41:                               ;   in Loop: Header=BB70_30 Depth=1
	v_dual_mov_b32 v22, s27 :: v_dual_add_nc_u32 v25, 16, v21
	v_mov_b32_e32 v26, s27
	flat_load_b32 v27, v[21:22] glc dlc
	s_waitcnt vmcnt(0)
	flat_load_b32 v25, v[25:26] glc dlc
	s_waitcnt vmcnt(0) lgkmcnt(0)
	v_dual_max_f32 v26, v27, v27 :: v_dual_max_f32 v25, v25, v25
	s_delay_alu instid0(VALU_DEP_1)
	v_max_f32_e32 v25, v26, v25
	flat_store_b32 v[21:22], v25 dlc
	s_waitcnt_vscnt null, 0x0
.LBB70_42:                              ;   in Loop: Header=BB70_30 Depth=1
	s_or_b32 exec_lo, exec_lo, s3
	v_lshlrev_b32_e32 v21, 2, v31
	s_mov_b32 s3, exec_lo
	v_cmpx_lt_i64_e64 v[17:18], v[23:24]
	s_cbranch_execz .LBB70_44
; %bb.43:                               ;   in Loop: Header=BB70_30 Depth=1
	s_delay_alu instid0(VALU_DEP_2)
	v_dual_mov_b32 v22, s27 :: v_dual_add_nc_u32 v25, 8, v21
	v_mov_b32_e32 v26, s27
	flat_load_b32 v27, v[21:22] glc dlc
	s_waitcnt vmcnt(0)
	flat_load_b32 v25, v[25:26] glc dlc
	s_waitcnt vmcnt(0) lgkmcnt(0)
	v_dual_max_f32 v26, v27, v27 :: v_dual_max_f32 v25, v25, v25
	s_delay_alu instid0(VALU_DEP_1)
	v_max_f32_e32 v25, v26, v25
	flat_store_b32 v[21:22], v25 dlc
	s_waitcnt_vscnt null, 0x0
.LBB70_44:                              ;   in Loop: Header=BB70_30 Depth=1
	s_or_b32 exec_lo, exec_lo, s3
	s_delay_alu instid0(SALU_CYCLE_1)
	s_mov_b32 s3, exec_lo
	v_cmpx_lt_i64_e64 v[19:20], v[23:24]
	s_cbranch_execz .LBB70_28
; %bb.45:                               ;   in Loop: Header=BB70_30 Depth=1
	v_dual_mov_b32 v22, s27 :: v_dual_add_nc_u32 v23, 4, v21
	v_mov_b32_e32 v24, s27
	flat_load_b32 v25, v[21:22] glc dlc
	s_waitcnt vmcnt(0)
	flat_load_b32 v23, v[23:24] glc dlc
	s_waitcnt vmcnt(0) lgkmcnt(0)
	v_dual_max_f32 v24, v25, v25 :: v_dual_max_f32 v23, v23, v23
	s_delay_alu instid0(VALU_DEP_1)
	v_max_f32_e32 v23, v24, v23
	flat_store_b32 v[21:22], v23 dlc
	s_waitcnt_vscnt null, 0x0
	s_branch .LBB70_28
.LBB70_46:
	v_cmp_lt_i64_e32 vcc_lo, v[7:8], v[5:6]
	v_cmp_eq_u32_e64 s3, 0, v3
	s_mul_i32 s13, s17, s15
	s_mul_hi_u32 s17, s16, s15
	s_mul_i32 s8, s16, s15
	s_waitcnt lgkmcnt(0)
	s_and_b32 s9, s3, vcc_lo
	s_barrier
	buffer_gl0_inv
	s_and_saveexec_b32 s3, s9
	s_cbranch_execz .LBB70_50
; %bb.47:
	s_load_b64 s[0:1], s[0:1], 0x20
	ds_load_b32 v3, v29
	s_waitcnt lgkmcnt(0)
	s_cmp_eq_u64 s[0:1], 0
	s_cbranch_scc1 .LBB70_49
; %bb.48:
	s_load_b32 s0, s[0:1], 0x0
	v_max_f32_e32 v3, v3, v3
	s_waitcnt lgkmcnt(0)
	v_max_f32_e64 v4, s0, s0
	s_delay_alu instid0(VALU_DEP_1)
	v_min_f32_e32 v3, v3, v4
.LBB70_49:
	s_delay_alu instid0(VALU_DEP_1) | instskip(SKIP_2) | instid1(VALU_DEP_2)
	v_div_scale_f32 v4, null, 0x43600000, 0x43600000, v3
	v_div_scale_f32 v7, vcc_lo, v3, 0x43600000, v3
	s_add_i32 s9, s17, s13
	v_rcp_f32_e32 v5, v4
	v_lshlrev_b64 v[1:2], 2, v[1:2]
	s_lshl_b64 s[0:1], s[8:9], 2
	s_delay_alu instid0(SALU_CYCLE_1) | instskip(SKIP_3) | instid1(VALU_DEP_1)
	s_add_u32 s0, s6, s0
	s_addc_u32 s1, s7, s1
	s_waitcnt_depctr 0xfff
	v_fma_f32 v6, -v4, v5, 1.0
	v_fmac_f32_e32 v5, v6, v5
	s_delay_alu instid0(VALU_DEP_1) | instskip(NEXT) | instid1(VALU_DEP_1)
	v_mul_f32_e32 v6, v7, v5
	v_fma_f32 v8, -v4, v6, v7
	s_delay_alu instid0(VALU_DEP_1) | instskip(NEXT) | instid1(VALU_DEP_1)
	v_fmac_f32_e32 v6, v8, v5
	v_fma_f32 v4, -v4, v6, v7
	s_delay_alu instid0(VALU_DEP_1) | instskip(SKIP_2) | instid1(VALU_DEP_3)
	v_div_fmas_f32 v4, v4, v5, v6
	v_add_co_u32 v1, vcc_lo, s0, v1
	v_add_co_ci_u32_e32 v2, vcc_lo, s1, v2, vcc_lo
	v_div_fixup_f32 v3, v4, 0x43600000, v3
	s_delay_alu instid0(VALU_DEP_1)
	v_max_f32_e32 v3, 0x37124925, v3
	global_store_b32 v[1:2], v3, off
.LBB70_50:
	s_or_b32 exec_lo, exec_lo, s3
	s_waitcnt_vscnt null, 0x0
	s_barrier
	buffer_gl0_inv
	s_and_saveexec_b32 s0, s2
	s_cbranch_execz .LBB70_187
; %bb.51:
	s_add_u32 s2, s4, s18
	s_addc_u32 s3, s5, s19
	s_add_i32 s9, s17, s13
	v_mov_b32_e32 v1, 0
	s_lshl_b64 s[0:1], s[8:9], 2
	s_mul_i32 s4, s34, 3
	s_add_u32 s0, s6, s0
	s_addc_u32 s1, s7, s1
	s_lshl_b32 s5, s34, 1
	s_mov_b32 s6, 0
	s_mov_b32 s7, 0x43600000
	s_branch .LBB70_57
.LBB70_52:                              ;   in Loop: Header=BB70_57 Depth=1
	s_or_b32 exec_lo, exec_lo, s17
.LBB70_53:                              ;   in Loop: Header=BB70_57 Depth=1
	s_delay_alu instid0(SALU_CYCLE_1)
	s_or_b32 exec_lo, exec_lo, s15
	v_lshlrev_b64 v[4:5], 2, v[0:1]
	v_lshlrev_b32_e32 v8, 16, v9
	v_lshlrev_b32_e32 v7, 8, v7
	s_add_i32 s15, s34, s34
	v_and_b32_e32 v6, 0xff, v6
	v_add3_u32 v0, s15, s34, v2
	v_perm_b32 v8, v3, v8, 0x4020c0c
	v_and_b32_e32 v7, 0xff00, v7
	v_add_co_u32 v2, vcc_lo, s2, v4
	v_add_co_ci_u32_e32 v3, vcc_lo, s3, v5, vcc_lo
	v_cmp_le_u32_e32 vcc_lo, s12, v0
	s_delay_alu instid0(VALU_DEP_4)
	v_or3_b32 v4, v8, v7, v6
	s_or_not1_b32 s15, vcc_lo, exec_lo
	global_store_b32 v[2:3], v4, off
.LBB70_54:                              ;   in Loop: Header=BB70_57 Depth=1
	s_or_b32 exec_lo, exec_lo, s13
	s_delay_alu instid0(SALU_CYCLE_1)
	s_or_not1_b32 s13, s15, exec_lo
.LBB70_55:                              ;   in Loop: Header=BB70_57 Depth=1
	s_or_b32 exec_lo, exec_lo, s9
	s_delay_alu instid0(SALU_CYCLE_1)
	s_or_not1_b32 s9, s13, exec_lo
.LBB70_56:                              ;   in Loop: Header=BB70_57 Depth=1
	s_or_b32 exec_lo, exec_lo, s8
	s_delay_alu instid0(SALU_CYCLE_1) | instskip(NEXT) | instid1(SALU_CYCLE_1)
	s_and_b32 s8, exec_lo, s9
	s_or_b32 s6, s8, s6
	s_delay_alu instid0(SALU_CYCLE_1)
	s_and_not1_b32 exec_lo, exec_lo, s6
	s_cbranch_execz .LBB70_187
.LBB70_57:                              ; =>This Inner Loop Header: Depth=1
	v_lshlrev_b64 v[2:3], 3, v[0:1]
	s_mov_b32 s8, exec_lo
	s_delay_alu instid0(VALU_DEP_1) | instskip(NEXT) | instid1(VALU_DEP_2)
	v_add_co_u32 v4, vcc_lo, s14, v2
	v_add_co_ci_u32_e32 v5, vcc_lo, s30, v3, vcc_lo
	v_add_co_u32 v12, vcc_lo, s31, v2
	v_add_co_ci_u32_e32 v13, vcc_lo, s33, v3, vcc_lo
	;; [unrolled: 2-line block ×3, first 2 shown]
	global_load_b64 v[5:6], v[4:5], off
	global_load_b64 v[7:8], v[12:13], off
	v_lshrrev_b32_e32 v4, 3, v0
	global_load_b64 v[2:3], v[2:3], off
	s_waitcnt vmcnt(2)
	v_lshlrev_b32_e32 v9, 16, v5
	s_waitcnt vmcnt(0)
	v_lshlrev_b32_e32 v14, 16, v2
	v_lshlrev_b32_e32 v10, 16, v7
	s_delay_alu instid0(VALU_DEP_1) | instskip(NEXT) | instid1(VALU_DEP_1)
	v_add_f32_e32 v10, v9, v10
	v_dual_mul_f32 v9, v28, v10 :: v_dual_and_b32 v4, 0x7fffffc, v4
	global_load_b32 v4, v4, s[0:1]
	v_bfe_u32 v11, v9, 16, 1
	v_cmp_o_f32_e32 vcc_lo, v9, v9
	s_delay_alu instid0(VALU_DEP_2) | instskip(NEXT) | instid1(VALU_DEP_1)
	v_add3_u32 v11, v9, v11, 0x7fff
	v_and_b32_e32 v11, 0xffff0000, v11
	s_delay_alu instid0(VALU_DEP_1) | instskip(NEXT) | instid1(VALU_DEP_1)
	v_cndmask_b32_e32 v9, 0x7fc00000, v11, vcc_lo
	v_mul_f32_e32 v9, v9, v14
	s_delay_alu instid0(VALU_DEP_1) | instskip(SKIP_1) | instid1(VALU_DEP_2)
	v_bfe_u32 v11, v9, 16, 1
	v_cmp_o_f32_e32 vcc_lo, v9, v9
	v_add3_u32 v11, v9, v11, 0x7fff
	s_delay_alu instid0(VALU_DEP_1) | instskip(NEXT) | instid1(VALU_DEP_1)
	v_and_b32_e32 v11, 0xffff0000, v11
	v_cndmask_b32_e32 v11, 0x7fc00000, v11, vcc_lo
	s_waitcnt vmcnt(0)
	s_delay_alu instid0(VALU_DEP_1) | instskip(SKIP_1) | instid1(VALU_DEP_2)
	v_div_scale_f32 v14, null, v4, v4, v11
	v_div_scale_f32 v17, vcc_lo, v11, v4, v11
	v_rcp_f32_e32 v15, v14
	s_waitcnt_depctr 0xfff
	v_fma_f32 v9, -v14, v15, 1.0
	v_and_b32_e32 v16, 0xffff0000, v5
	v_alignbit_b32 v5, v6, v5, 16
	s_delay_alu instid0(VALU_DEP_3) | instskip(SKIP_4) | instid1(VALU_DEP_4)
	v_fmac_f32_e32 v15, v9, v15
	v_alignbit_b32 v9, v8, v7, 16
	v_and_b32_e32 v7, 0xffff0000, v7
	v_and_b32_e32 v6, 0xffff0000, v6
	;; [unrolled: 1-line block ×3, first 2 shown]
	v_dual_mul_f32 v18, v17, v15 :: v_dual_and_b32 v19, 0xffff0000, v9
	s_delay_alu instid0(VALU_DEP_4) | instskip(NEXT) | instid1(VALU_DEP_2)
	v_add_f32_e32 v9, v16, v7
	v_fma_f32 v16, -v14, v18, v17
	s_delay_alu instid0(VALU_DEP_1) | instskip(NEXT) | instid1(VALU_DEP_1)
	v_dual_fmac_f32 v18, v16, v15 :: v_dual_and_b32 v5, 0xffff0000, v5
	v_dual_add_f32 v7, v6, v8 :: v_dual_add_f32 v8, v5, v19
	s_delay_alu instid0(VALU_DEP_4) | instskip(SKIP_1) | instid1(VALU_DEP_4)
	v_bfe_u32 v6, v9, 16, 1
	v_bfe_u32 v5, v10, 16, 1
	v_fma_f32 v14, -v14, v18, v17
	s_delay_alu instid0(VALU_DEP_4)
	v_bfe_u32 v16, v7, 16, 1
	v_bfe_u32 v19, v8, 16, 1
	v_add3_u32 v6, v9, v6, 0x7fff
	v_add3_u32 v5, v10, v5, 0x7fff
	v_div_fmas_f32 v14, v14, v15, v18
	v_cmp_o_f32_e32 vcc_lo, v9, v9
	v_add3_u32 v16, v7, v16, 0x7fff
	v_and_b32_e32 v6, 0xffff0000, v6
	v_lshrrev_b32_e32 v5, 16, v5
	v_add3_u32 v17, v8, v19, 0x7fff
	v_div_fixup_f32 v11, v14, v4, v11
	v_and_b32_e32 v15, 0xffff0000, v16
	v_cndmask_b32_e32 v6, 0x7fc00000, v6, vcc_lo
	v_cmp_o_f32_e32 vcc_lo, v10, v10
	v_lshrrev_b32_e32 v16, 16, v17
	v_minmax_f32 v10, v11, s7, 0xc3600000
	v_cndmask_b32_e32 v5, 0x7fc0, v5, vcc_lo
	v_cmp_o_f32_e32 vcc_lo, v7, v7
	s_delay_alu instid0(VALU_DEP_3) | instskip(NEXT) | instid1(VALU_DEP_3)
	v_and_b32_e32 v11, 0x7fffffff, v10
	v_or_b32_e32 v6, v5, v6
	v_cndmask_b32_e32 v14, 0x7fc00000, v15, vcc_lo
	v_cmp_o_f32_e32 vcc_lo, v8, v8
	v_mov_b32_e32 v5, 0x80
	v_cndmask_b32_e32 v15, 0x7fc0, v16, vcc_lo
	s_delay_alu instid0(VALU_DEP_1)
	v_or3_b32 v15, 0, v15, v14
	v_or3_b32 v14, v6, 0, 0
	v_mov_b32_e32 v6, 0x80
	global_store_b64 v[12:13], v[14:15], off
	v_cmpx_gt_u32_e32 0x43800000, v11
	s_cbranch_execz .LBB70_63
; %bb.58:                               ;   in Loop: Header=BB70_57 Depth=1
	v_cmp_lt_u32_e32 vcc_lo, 0x3bffffff, v11
	s_mov_b32 s9, 0
                                        ; implicit-def: $vgpr11
	s_and_saveexec_b32 s13, vcc_lo
	s_delay_alu instid0(SALU_CYCLE_1)
	s_xor_b32 s13, exec_lo, s13
	s_cbranch_execnz .LBB70_154
; %bb.59:                               ;   in Loop: Header=BB70_57 Depth=1
	s_or_saveexec_b32 s13, s13
                                        ; implicit-def: $sgpr15
	s_delay_alu instid0(SALU_CYCLE_1)
	s_xor_b32 exec_lo, exec_lo, s13
	s_cbranch_execnz .LBB70_155
.LBB70_60:                              ;   in Loop: Header=BB70_57 Depth=1
	s_or_b32 exec_lo, exec_lo, s13
	v_mov_b32_e32 v6, s15
	s_and_saveexec_b32 s13, s9
.LBB70_61:                              ;   in Loop: Header=BB70_57 Depth=1
	v_lshrrev_b32_e32 v6, 24, v10
	s_delay_alu instid0(VALU_DEP_1)
	v_and_or_b32 v6, 0x80, v6, v11
.LBB70_62:                              ;   in Loop: Header=BB70_57 Depth=1
	s_or_b32 exec_lo, exec_lo, s13
.LBB70_63:                              ;   in Loop: Header=BB70_57 Depth=1
	s_delay_alu instid0(SALU_CYCLE_1) | instskip(SKIP_3) | instid1(VALU_DEP_2)
	s_or_b32 exec_lo, exec_lo, s8
	v_mul_f32_e32 v9, v28, v9
	v_and_b32_e32 v11, 0xffff0000, v2
	s_mov_b32 s8, exec_lo
	v_bfe_u32 v10, v9, 16, 1
	s_delay_alu instid0(VALU_DEP_1) | instskip(NEXT) | instid1(VALU_DEP_1)
	v_add3_u32 v10, v9, v10, 0x7fff
	v_and_b32_e32 v10, 0xffff0000, v10
	v_cmp_o_f32_e32 vcc_lo, v9, v9
	s_delay_alu instid0(VALU_DEP_2) | instskip(NEXT) | instid1(VALU_DEP_1)
	v_cndmask_b32_e32 v9, 0x7fc00000, v10, vcc_lo
	v_mul_f32_e32 v9, v9, v11
	s_delay_alu instid0(VALU_DEP_1) | instskip(NEXT) | instid1(VALU_DEP_1)
	v_bfe_u32 v10, v9, 16, 1
	v_add3_u32 v10, v9, v10, 0x7fff
	s_delay_alu instid0(VALU_DEP_1) | instskip(SKIP_1) | instid1(VALU_DEP_2)
	v_and_b32_e32 v10, 0xffff0000, v10
	v_cmp_o_f32_e32 vcc_lo, v9, v9
	v_cndmask_b32_e32 v9, 0x7fc00000, v10, vcc_lo
	s_delay_alu instid0(VALU_DEP_1) | instskip(NEXT) | instid1(VALU_DEP_1)
	v_div_scale_f32 v10, null, v4, v4, v9
	v_rcp_f32_e32 v11, v10
	s_waitcnt_depctr 0xfff
	v_fma_f32 v12, -v10, v11, 1.0
	s_delay_alu instid0(VALU_DEP_1) | instskip(SKIP_1) | instid1(VALU_DEP_1)
	v_fmac_f32_e32 v11, v12, v11
	v_div_scale_f32 v12, vcc_lo, v9, v4, v9
	v_mul_f32_e32 v13, v12, v11
	s_delay_alu instid0(VALU_DEP_1) | instskip(NEXT) | instid1(VALU_DEP_1)
	v_fma_f32 v14, -v10, v13, v12
	v_fmac_f32_e32 v13, v14, v11
	s_delay_alu instid0(VALU_DEP_1) | instskip(NEXT) | instid1(VALU_DEP_1)
	v_fma_f32 v10, -v10, v13, v12
	v_div_fmas_f32 v10, v10, v11, v13
	s_delay_alu instid0(VALU_DEP_1) | instskip(NEXT) | instid1(VALU_DEP_1)
	v_div_fixup_f32 v9, v10, v4, v9
	v_minmax_f32 v9, v9, s7, 0xc3600000
	s_delay_alu instid0(VALU_DEP_1) | instskip(NEXT) | instid1(VALU_DEP_1)
	v_and_b32_e32 v10, 0x7fffffff, v9
	v_cmpx_gt_u32_e32 0x43800000, v10
	s_cbranch_execz .LBB70_69
; %bb.64:                               ;   in Loop: Header=BB70_57 Depth=1
	v_cmp_lt_u32_e32 vcc_lo, 0x3bffffff, v10
	s_mov_b32 s9, 0
                                        ; implicit-def: $vgpr10
	s_and_saveexec_b32 s13, vcc_lo
	s_delay_alu instid0(SALU_CYCLE_1)
	s_xor_b32 s13, exec_lo, s13
	s_cbranch_execnz .LBB70_156
; %bb.65:                               ;   in Loop: Header=BB70_57 Depth=1
	s_or_saveexec_b32 s13, s13
                                        ; implicit-def: $sgpr15
	s_delay_alu instid0(SALU_CYCLE_1)
	s_xor_b32 exec_lo, exec_lo, s13
	s_cbranch_execnz .LBB70_157
.LBB70_66:                              ;   in Loop: Header=BB70_57 Depth=1
	s_or_b32 exec_lo, exec_lo, s13
	v_mov_b32_e32 v5, s15
	s_and_saveexec_b32 s13, s9
.LBB70_67:                              ;   in Loop: Header=BB70_57 Depth=1
	v_lshrrev_b32_e32 v5, 24, v9
	s_delay_alu instid0(VALU_DEP_1)
	v_and_or_b32 v5, 0x80, v5, v10
.LBB70_68:                              ;   in Loop: Header=BB70_57 Depth=1
	s_or_b32 exec_lo, exec_lo, s13
.LBB70_69:                              ;   in Loop: Header=BB70_57 Depth=1
	s_delay_alu instid0(SALU_CYCLE_1) | instskip(SKIP_3) | instid1(VALU_DEP_2)
	s_or_b32 exec_lo, exec_lo, s8
	v_mul_f32_e32 v8, v28, v8
	v_alignbit_b32 v2, v3, v2, 16
	s_mov_b32 s8, exec_lo
	v_bfe_u32 v9, v8, 16, 1
	s_delay_alu instid0(VALU_DEP_2) | instskip(NEXT) | instid1(VALU_DEP_2)
	v_and_b32_e32 v2, 0xffff0000, v2
	v_add3_u32 v9, v8, v9, 0x7fff
	s_delay_alu instid0(VALU_DEP_1) | instskip(SKIP_1) | instid1(VALU_DEP_2)
	v_and_b32_e32 v9, 0xffff0000, v9
	v_cmp_o_f32_e32 vcc_lo, v8, v8
	v_cndmask_b32_e32 v8, 0x7fc00000, v9, vcc_lo
	s_delay_alu instid0(VALU_DEP_1) | instskip(NEXT) | instid1(VALU_DEP_1)
	v_mul_f32_e32 v2, v8, v2
	v_bfe_u32 v8, v2, 16, 1
	v_cmp_o_f32_e32 vcc_lo, v2, v2
	s_delay_alu instid0(VALU_DEP_2) | instskip(NEXT) | instid1(VALU_DEP_1)
	v_add3_u32 v8, v2, v8, 0x7fff
	v_and_b32_e32 v8, 0xffff0000, v8
	s_delay_alu instid0(VALU_DEP_1) | instskip(NEXT) | instid1(VALU_DEP_1)
	v_cndmask_b32_e32 v2, 0x7fc00000, v8, vcc_lo
	v_div_scale_f32 v8, null, v4, v4, v2
	v_div_scale_f32 v11, vcc_lo, v2, v4, v2
	s_delay_alu instid0(VALU_DEP_2) | instskip(SKIP_2) | instid1(VALU_DEP_1)
	v_rcp_f32_e32 v9, v8
	s_waitcnt_depctr 0xfff
	v_fma_f32 v10, -v8, v9, 1.0
	v_fmac_f32_e32 v9, v10, v9
	s_delay_alu instid0(VALU_DEP_1) | instskip(NEXT) | instid1(VALU_DEP_1)
	v_mul_f32_e32 v10, v11, v9
	v_fma_f32 v12, -v8, v10, v11
	s_delay_alu instid0(VALU_DEP_1) | instskip(NEXT) | instid1(VALU_DEP_1)
	v_fmac_f32_e32 v10, v12, v9
	v_fma_f32 v8, -v8, v10, v11
	s_delay_alu instid0(VALU_DEP_1) | instskip(NEXT) | instid1(VALU_DEP_1)
	v_div_fmas_f32 v8, v8, v9, v10
	v_div_fixup_f32 v2, v8, v4, v2
	v_mov_b32_e32 v8, 0x80
	s_delay_alu instid0(VALU_DEP_2) | instskip(SKIP_1) | instid1(VALU_DEP_2)
	v_minmax_f32 v9, v2, s7, 0xc3600000
	v_mov_b32_e32 v2, 0x80
	v_and_b32_e32 v10, 0x7fffffff, v9
	s_delay_alu instid0(VALU_DEP_1)
	v_cmpx_gt_u32_e32 0x43800000, v10
	s_cbranch_execz .LBB70_75
; %bb.70:                               ;   in Loop: Header=BB70_57 Depth=1
	v_cmp_lt_u32_e32 vcc_lo, 0x3bffffff, v10
	s_mov_b32 s9, 0
                                        ; implicit-def: $vgpr10
	s_and_saveexec_b32 s13, vcc_lo
	s_delay_alu instid0(SALU_CYCLE_1)
	s_xor_b32 s13, exec_lo, s13
	s_cbranch_execnz .LBB70_158
; %bb.71:                               ;   in Loop: Header=BB70_57 Depth=1
	s_or_saveexec_b32 s13, s13
                                        ; implicit-def: $sgpr15
	s_delay_alu instid0(SALU_CYCLE_1)
	s_xor_b32 exec_lo, exec_lo, s13
	s_cbranch_execnz .LBB70_159
.LBB70_72:                              ;   in Loop: Header=BB70_57 Depth=1
	s_or_b32 exec_lo, exec_lo, s13
	v_mov_b32_e32 v8, s15
	s_and_saveexec_b32 s13, s9
.LBB70_73:                              ;   in Loop: Header=BB70_57 Depth=1
	v_lshrrev_b32_e32 v8, 24, v9
	s_delay_alu instid0(VALU_DEP_1)
	v_and_or_b32 v8, 0x80, v8, v10
.LBB70_74:                              ;   in Loop: Header=BB70_57 Depth=1
	s_or_b32 exec_lo, exec_lo, s13
.LBB70_75:                              ;   in Loop: Header=BB70_57 Depth=1
	s_delay_alu instid0(SALU_CYCLE_1) | instskip(SKIP_3) | instid1(VALU_DEP_2)
	s_or_b32 exec_lo, exec_lo, s8
	v_mul_f32_e32 v7, v28, v7
	v_and_b32_e32 v3, 0xffff0000, v3
	s_mov_b32 s8, exec_lo
	v_bfe_u32 v9, v7, 16, 1
	v_cmp_o_f32_e32 vcc_lo, v7, v7
	s_delay_alu instid0(VALU_DEP_2) | instskip(NEXT) | instid1(VALU_DEP_1)
	v_add3_u32 v9, v7, v9, 0x7fff
	v_and_b32_e32 v9, 0xffff0000, v9
	s_delay_alu instid0(VALU_DEP_1) | instskip(NEXT) | instid1(VALU_DEP_1)
	v_cndmask_b32_e32 v7, 0x7fc00000, v9, vcc_lo
	v_mul_f32_e32 v3, v7, v3
	s_delay_alu instid0(VALU_DEP_1) | instskip(SKIP_1) | instid1(VALU_DEP_2)
	v_bfe_u32 v7, v3, 16, 1
	v_cmp_o_f32_e32 vcc_lo, v3, v3
	v_add3_u32 v7, v3, v7, 0x7fff
	s_delay_alu instid0(VALU_DEP_1) | instskip(NEXT) | instid1(VALU_DEP_1)
	v_and_b32_e32 v7, 0xffff0000, v7
	v_cndmask_b32_e32 v3, 0x7fc00000, v7, vcc_lo
	s_delay_alu instid0(VALU_DEP_1) | instskip(NEXT) | instid1(VALU_DEP_1)
	v_div_scale_f32 v7, null, v4, v4, v3
	v_rcp_f32_e32 v9, v7
	s_waitcnt_depctr 0xfff
	v_fma_f32 v10, -v7, v9, 1.0
	s_delay_alu instid0(VALU_DEP_1) | instskip(SKIP_1) | instid1(VALU_DEP_1)
	v_fmac_f32_e32 v9, v10, v9
	v_div_scale_f32 v10, vcc_lo, v3, v4, v3
	v_mul_f32_e32 v11, v10, v9
	s_delay_alu instid0(VALU_DEP_1) | instskip(NEXT) | instid1(VALU_DEP_1)
	v_fma_f32 v12, -v7, v11, v10
	v_fmac_f32_e32 v11, v12, v9
	s_delay_alu instid0(VALU_DEP_1) | instskip(NEXT) | instid1(VALU_DEP_1)
	v_fma_f32 v7, -v7, v11, v10
	v_div_fmas_f32 v7, v7, v9, v11
	s_delay_alu instid0(VALU_DEP_1) | instskip(NEXT) | instid1(VALU_DEP_1)
	v_div_fixup_f32 v3, v7, v4, v3
	v_minmax_f32 v3, v3, s7, 0xc3600000
	s_delay_alu instid0(VALU_DEP_1) | instskip(NEXT) | instid1(VALU_DEP_1)
	v_and_b32_e32 v4, 0x7fffffff, v3
	v_cmpx_gt_u32_e32 0x43800000, v4
	s_cbranch_execz .LBB70_81
; %bb.76:                               ;   in Loop: Header=BB70_57 Depth=1
	v_cmp_lt_u32_e32 vcc_lo, 0x3bffffff, v4
	s_mov_b32 s9, 0
                                        ; implicit-def: $vgpr4
	s_and_saveexec_b32 s13, vcc_lo
	s_delay_alu instid0(SALU_CYCLE_1)
	s_xor_b32 s13, exec_lo, s13
	s_cbranch_execnz .LBB70_160
; %bb.77:                               ;   in Loop: Header=BB70_57 Depth=1
	s_or_saveexec_b32 s13, s13
                                        ; implicit-def: $sgpr15
	s_delay_alu instid0(SALU_CYCLE_1)
	s_xor_b32 exec_lo, exec_lo, s13
	s_cbranch_execnz .LBB70_161
.LBB70_78:                              ;   in Loop: Header=BB70_57 Depth=1
	s_or_b32 exec_lo, exec_lo, s13
	v_mov_b32_e32 v2, s15
	s_and_saveexec_b32 s13, s9
.LBB70_79:                              ;   in Loop: Header=BB70_57 Depth=1
	v_lshrrev_b32_e32 v2, 24, v3
	s_delay_alu instid0(VALU_DEP_1)
	v_and_or_b32 v2, 0x80, v2, v4
.LBB70_80:                              ;   in Loop: Header=BB70_57 Depth=1
	s_or_b32 exec_lo, exec_lo, s13
.LBB70_81:                              ;   in Loop: Header=BB70_57 Depth=1
	s_delay_alu instid0(SALU_CYCLE_1)
	s_or_b32 exec_lo, exec_lo, s8
	v_lshlrev_b32_e32 v7, 16, v8
	v_lshlrev_b32_e32 v5, 8, v5
	v_lshlrev_b64 v[3:4], 2, v[0:1]
	v_and_b32_e32 v6, 0xff, v6
	s_mov_b32 s9, -1
	v_perm_b32 v7, v2, v7, 0x4020c0c
	v_and_b32_e32 v5, 0xff00, v5
	v_add_nc_u32_e32 v2, s34, v0
	v_add_co_u32 v3, vcc_lo, s2, v3
	v_add_co_ci_u32_e32 v4, vcc_lo, s3, v4, vcc_lo
	s_delay_alu instid0(VALU_DEP_4)
	v_or3_b32 v5, v7, v5, v6
	s_mov_b32 s8, exec_lo
	global_store_b32 v[3:4], v5, off
	v_cmpx_gt_u32_e64 s12, v2
	s_cbranch_execz .LBB70_56
; %bb.82:                               ;   in Loop: Header=BB70_57 Depth=1
	v_mov_b32_e32 v3, v1
	s_mov_b32 s9, exec_lo
	s_delay_alu instid0(VALU_DEP_1) | instskip(NEXT) | instid1(VALU_DEP_1)
	v_lshlrev_b64 v[4:5], 3, v[2:3]
	v_add_co_u32 v6, vcc_lo, s14, v4
	s_delay_alu instid0(VALU_DEP_2)
	v_add_co_ci_u32_e32 v7, vcc_lo, s30, v5, vcc_lo
	v_add_co_u32 v14, vcc_lo, s31, v4
	v_add_co_ci_u32_e32 v15, vcc_lo, s33, v5, vcc_lo
	v_add_co_u32 v4, vcc_lo, s10, v4
	v_add_co_ci_u32_e32 v5, vcc_lo, s11, v5, vcc_lo
	global_load_b64 v[7:8], v[6:7], off
	global_load_b64 v[9:10], v[14:15], off
	v_lshrrev_b32_e32 v6, 3, v2
	global_load_b64 v[4:5], v[4:5], off
	v_and_b32_e32 v6, 0x7fffffc, v6
	global_load_b32 v6, v6, s[0:1]
	s_waitcnt vmcnt(3)
	v_lshlrev_b32_e32 v11, 16, v7
	v_and_b32_e32 v18, 0xffff0000, v7
	v_alignbit_b32 v7, v8, v7, 16
	v_and_b32_e32 v8, 0xffff0000, v8
	s_waitcnt vmcnt(1)
	v_lshlrev_b32_e32 v16, 16, v4
	v_lshlrev_b32_e32 v12, 16, v9
	s_delay_alu instid0(VALU_DEP_1) | instskip(NEXT) | instid1(VALU_DEP_1)
	v_add_f32_e32 v12, v11, v12
	v_mul_f32_e32 v11, v28, v12
	s_delay_alu instid0(VALU_DEP_1) | instskip(SKIP_1) | instid1(VALU_DEP_2)
	v_bfe_u32 v13, v11, 16, 1
	v_cmp_o_f32_e32 vcc_lo, v11, v11
	v_add3_u32 v13, v11, v13, 0x7fff
	s_delay_alu instid0(VALU_DEP_1) | instskip(NEXT) | instid1(VALU_DEP_1)
	v_and_b32_e32 v13, 0xffff0000, v13
	v_cndmask_b32_e32 v11, 0x7fc00000, v13, vcc_lo
	s_delay_alu instid0(VALU_DEP_1) | instskip(NEXT) | instid1(VALU_DEP_1)
	v_mul_f32_e32 v11, v11, v16
	v_bfe_u32 v13, v11, 16, 1
	v_cmp_o_f32_e32 vcc_lo, v11, v11
	s_delay_alu instid0(VALU_DEP_2) | instskip(NEXT) | instid1(VALU_DEP_1)
	v_add3_u32 v13, v11, v13, 0x7fff
	v_and_b32_e32 v13, 0xffff0000, v13
	s_delay_alu instid0(VALU_DEP_1) | instskip(SKIP_1) | instid1(VALU_DEP_1)
	v_cndmask_b32_e32 v13, 0x7fc00000, v13, vcc_lo
	s_waitcnt vmcnt(0)
	v_div_scale_f32 v16, null, v6, v6, v13
	v_div_scale_f32 v19, vcc_lo, v13, v6, v13
	s_delay_alu instid0(VALU_DEP_2) | instskip(SKIP_2) | instid1(VALU_DEP_1)
	v_rcp_f32_e32 v17, v16
	s_waitcnt_depctr 0xfff
	v_fma_f32 v11, -v16, v17, 1.0
	v_fmac_f32_e32 v17, v11, v17
	v_alignbit_b32 v11, v10, v9, 16
	v_and_b32_e32 v9, 0xffff0000, v9
	v_and_b32_e32 v10, 0xffff0000, v10
	s_delay_alu instid0(VALU_DEP_3) | instskip(NEXT) | instid1(VALU_DEP_3)
	v_dual_mul_f32 v20, v19, v17 :: v_dual_and_b32 v21, 0xffff0000, v11
	v_add_f32_e32 v11, v18, v9
	s_delay_alu instid0(VALU_DEP_2) | instskip(NEXT) | instid1(VALU_DEP_1)
	v_fma_f32 v18, -v16, v20, v19
	v_dual_fmac_f32 v20, v18, v17 :: v_dual_and_b32 v7, 0xffff0000, v7
	s_delay_alu instid0(VALU_DEP_1) | instskip(NEXT) | instid1(VALU_DEP_4)
	v_dual_add_f32 v9, v8, v10 :: v_dual_add_f32 v10, v7, v21
	v_bfe_u32 v8, v11, 16, 1
	v_bfe_u32 v7, v12, 16, 1
	s_delay_alu instid0(VALU_DEP_4) | instskip(NEXT) | instid1(VALU_DEP_4)
	v_fma_f32 v16, -v16, v20, v19
	v_bfe_u32 v18, v9, 16, 1
	v_bfe_u32 v21, v10, 16, 1
	v_add3_u32 v8, v11, v8, 0x7fff
	v_add3_u32 v7, v12, v7, 0x7fff
	v_div_fmas_f32 v16, v16, v17, v20
	v_cmp_o_f32_e32 vcc_lo, v11, v11
	v_add3_u32 v18, v9, v18, 0x7fff
	v_and_b32_e32 v8, 0xffff0000, v8
	v_lshrrev_b32_e32 v7, 16, v7
	v_add3_u32 v19, v10, v21, 0x7fff
	v_div_fixup_f32 v13, v16, v6, v13
	v_and_b32_e32 v17, 0xffff0000, v18
	v_cndmask_b32_e32 v8, 0x7fc00000, v8, vcc_lo
	v_cmp_o_f32_e32 vcc_lo, v12, v12
	v_lshrrev_b32_e32 v18, 16, v19
	v_minmax_f32 v12, v13, s7, 0xc3600000
	v_cndmask_b32_e32 v7, 0x7fc0, v7, vcc_lo
	v_cmp_o_f32_e32 vcc_lo, v9, v9
	s_delay_alu instid0(VALU_DEP_3) | instskip(NEXT) | instid1(VALU_DEP_3)
	v_and_b32_e32 v13, 0x7fffffff, v12
	v_or_b32_e32 v8, v7, v8
	v_cndmask_b32_e32 v16, 0x7fc00000, v17, vcc_lo
	v_cmp_o_f32_e32 vcc_lo, v10, v10
	v_mov_b32_e32 v7, 0x80
	v_cndmask_b32_e32 v17, 0x7fc0, v18, vcc_lo
	s_delay_alu instid0(VALU_DEP_1)
	v_or3_b32 v17, 0, v17, v16
	v_or3_b32 v16, v8, 0, 0
	v_mov_b32_e32 v8, 0x80
	global_store_b64 v[14:15], v[16:17], off
	v_cmpx_gt_u32_e32 0x43800000, v13
	s_cbranch_execz .LBB70_88
; %bb.83:                               ;   in Loop: Header=BB70_57 Depth=1
	v_cmp_lt_u32_e32 vcc_lo, 0x3bffffff, v13
	s_mov_b32 s13, 0
                                        ; implicit-def: $vgpr13
	s_and_saveexec_b32 s15, vcc_lo
	s_delay_alu instid0(SALU_CYCLE_1)
	s_xor_b32 s15, exec_lo, s15
	s_cbranch_execnz .LBB70_162
; %bb.84:                               ;   in Loop: Header=BB70_57 Depth=1
	s_or_saveexec_b32 s15, s15
                                        ; implicit-def: $sgpr16
	s_delay_alu instid0(SALU_CYCLE_1)
	s_xor_b32 exec_lo, exec_lo, s15
	s_cbranch_execnz .LBB70_163
.LBB70_85:                              ;   in Loop: Header=BB70_57 Depth=1
	s_or_b32 exec_lo, exec_lo, s15
	v_mov_b32_e32 v8, s16
	s_and_saveexec_b32 s15, s13
.LBB70_86:                              ;   in Loop: Header=BB70_57 Depth=1
	v_lshrrev_b32_e32 v8, 24, v12
	s_delay_alu instid0(VALU_DEP_1)
	v_and_or_b32 v8, 0x80, v8, v13
.LBB70_87:                              ;   in Loop: Header=BB70_57 Depth=1
	s_or_b32 exec_lo, exec_lo, s15
.LBB70_88:                              ;   in Loop: Header=BB70_57 Depth=1
	s_delay_alu instid0(SALU_CYCLE_1) | instskip(SKIP_3) | instid1(VALU_DEP_2)
	s_or_b32 exec_lo, exec_lo, s9
	v_mul_f32_e32 v11, v28, v11
	v_and_b32_e32 v13, 0xffff0000, v4
	s_mov_b32 s9, exec_lo
	v_bfe_u32 v12, v11, 16, 1
	s_delay_alu instid0(VALU_DEP_1) | instskip(NEXT) | instid1(VALU_DEP_1)
	v_add3_u32 v12, v11, v12, 0x7fff
	v_and_b32_e32 v12, 0xffff0000, v12
	v_cmp_o_f32_e32 vcc_lo, v11, v11
	s_delay_alu instid0(VALU_DEP_2) | instskip(NEXT) | instid1(VALU_DEP_1)
	v_cndmask_b32_e32 v11, 0x7fc00000, v12, vcc_lo
	v_mul_f32_e32 v11, v11, v13
	s_delay_alu instid0(VALU_DEP_1) | instskip(NEXT) | instid1(VALU_DEP_1)
	v_bfe_u32 v12, v11, 16, 1
	v_add3_u32 v12, v11, v12, 0x7fff
	s_delay_alu instid0(VALU_DEP_1) | instskip(SKIP_1) | instid1(VALU_DEP_2)
	v_and_b32_e32 v12, 0xffff0000, v12
	v_cmp_o_f32_e32 vcc_lo, v11, v11
	v_cndmask_b32_e32 v11, 0x7fc00000, v12, vcc_lo
	s_delay_alu instid0(VALU_DEP_1) | instskip(NEXT) | instid1(VALU_DEP_1)
	v_div_scale_f32 v12, null, v6, v6, v11
	v_rcp_f32_e32 v13, v12
	s_waitcnt_depctr 0xfff
	v_fma_f32 v14, -v12, v13, 1.0
	s_delay_alu instid0(VALU_DEP_1) | instskip(SKIP_1) | instid1(VALU_DEP_1)
	v_fmac_f32_e32 v13, v14, v13
	v_div_scale_f32 v14, vcc_lo, v11, v6, v11
	v_mul_f32_e32 v15, v14, v13
	s_delay_alu instid0(VALU_DEP_1) | instskip(NEXT) | instid1(VALU_DEP_1)
	v_fma_f32 v16, -v12, v15, v14
	v_fmac_f32_e32 v15, v16, v13
	s_delay_alu instid0(VALU_DEP_1) | instskip(NEXT) | instid1(VALU_DEP_1)
	v_fma_f32 v12, -v12, v15, v14
	v_div_fmas_f32 v12, v12, v13, v15
	s_delay_alu instid0(VALU_DEP_1) | instskip(NEXT) | instid1(VALU_DEP_1)
	v_div_fixup_f32 v11, v12, v6, v11
	v_minmax_f32 v11, v11, s7, 0xc3600000
	s_delay_alu instid0(VALU_DEP_1) | instskip(NEXT) | instid1(VALU_DEP_1)
	v_and_b32_e32 v12, 0x7fffffff, v11
	v_cmpx_gt_u32_e32 0x43800000, v12
	s_cbranch_execz .LBB70_94
; %bb.89:                               ;   in Loop: Header=BB70_57 Depth=1
	v_cmp_lt_u32_e32 vcc_lo, 0x3bffffff, v12
	s_mov_b32 s13, 0
                                        ; implicit-def: $vgpr12
	s_and_saveexec_b32 s15, vcc_lo
	s_delay_alu instid0(SALU_CYCLE_1)
	s_xor_b32 s15, exec_lo, s15
	s_cbranch_execnz .LBB70_164
; %bb.90:                               ;   in Loop: Header=BB70_57 Depth=1
	s_or_saveexec_b32 s15, s15
                                        ; implicit-def: $sgpr16
	s_delay_alu instid0(SALU_CYCLE_1)
	s_xor_b32 exec_lo, exec_lo, s15
	s_cbranch_execnz .LBB70_165
.LBB70_91:                              ;   in Loop: Header=BB70_57 Depth=1
	s_or_b32 exec_lo, exec_lo, s15
	v_mov_b32_e32 v7, s16
	s_and_saveexec_b32 s15, s13
.LBB70_92:                              ;   in Loop: Header=BB70_57 Depth=1
	v_lshrrev_b32_e32 v7, 24, v11
	s_delay_alu instid0(VALU_DEP_1)
	v_and_or_b32 v7, 0x80, v7, v12
.LBB70_93:                              ;   in Loop: Header=BB70_57 Depth=1
	s_or_b32 exec_lo, exec_lo, s15
.LBB70_94:                              ;   in Loop: Header=BB70_57 Depth=1
	s_delay_alu instid0(SALU_CYCLE_1) | instskip(SKIP_3) | instid1(VALU_DEP_2)
	s_or_b32 exec_lo, exec_lo, s9
	v_mul_f32_e32 v10, v28, v10
	v_alignbit_b32 v4, v5, v4, 16
	s_mov_b32 s9, exec_lo
	v_bfe_u32 v11, v10, 16, 1
	s_delay_alu instid0(VALU_DEP_2) | instskip(NEXT) | instid1(VALU_DEP_2)
	v_and_b32_e32 v4, 0xffff0000, v4
	v_add3_u32 v11, v10, v11, 0x7fff
	s_delay_alu instid0(VALU_DEP_1) | instskip(SKIP_1) | instid1(VALU_DEP_2)
	v_and_b32_e32 v11, 0xffff0000, v11
	v_cmp_o_f32_e32 vcc_lo, v10, v10
	v_cndmask_b32_e32 v10, 0x7fc00000, v11, vcc_lo
	s_delay_alu instid0(VALU_DEP_1) | instskip(NEXT) | instid1(VALU_DEP_1)
	v_mul_f32_e32 v4, v10, v4
	v_bfe_u32 v10, v4, 16, 1
	v_cmp_o_f32_e32 vcc_lo, v4, v4
	s_delay_alu instid0(VALU_DEP_2) | instskip(NEXT) | instid1(VALU_DEP_1)
	v_add3_u32 v10, v4, v10, 0x7fff
	v_and_b32_e32 v10, 0xffff0000, v10
	s_delay_alu instid0(VALU_DEP_1) | instskip(NEXT) | instid1(VALU_DEP_1)
	v_cndmask_b32_e32 v4, 0x7fc00000, v10, vcc_lo
	v_div_scale_f32 v10, null, v6, v6, v4
	v_div_scale_f32 v13, vcc_lo, v4, v6, v4
	s_delay_alu instid0(VALU_DEP_2) | instskip(SKIP_2) | instid1(VALU_DEP_1)
	v_rcp_f32_e32 v11, v10
	s_waitcnt_depctr 0xfff
	v_fma_f32 v12, -v10, v11, 1.0
	v_fmac_f32_e32 v11, v12, v11
	s_delay_alu instid0(VALU_DEP_1) | instskip(NEXT) | instid1(VALU_DEP_1)
	v_mul_f32_e32 v12, v13, v11
	v_fma_f32 v14, -v10, v12, v13
	s_delay_alu instid0(VALU_DEP_1) | instskip(NEXT) | instid1(VALU_DEP_1)
	v_fmac_f32_e32 v12, v14, v11
	v_fma_f32 v10, -v10, v12, v13
	s_delay_alu instid0(VALU_DEP_1) | instskip(NEXT) | instid1(VALU_DEP_1)
	v_div_fmas_f32 v10, v10, v11, v12
	v_div_fixup_f32 v4, v10, v6, v4
	v_mov_b32_e32 v10, 0x80
	s_delay_alu instid0(VALU_DEP_2) | instskip(SKIP_1) | instid1(VALU_DEP_2)
	v_minmax_f32 v11, v4, s7, 0xc3600000
	v_mov_b32_e32 v4, 0x80
	v_and_b32_e32 v12, 0x7fffffff, v11
	s_delay_alu instid0(VALU_DEP_1)
	v_cmpx_gt_u32_e32 0x43800000, v12
	s_cbranch_execz .LBB70_100
; %bb.95:                               ;   in Loop: Header=BB70_57 Depth=1
	v_cmp_lt_u32_e32 vcc_lo, 0x3bffffff, v12
	s_mov_b32 s13, 0
                                        ; implicit-def: $vgpr12
	s_and_saveexec_b32 s15, vcc_lo
	s_delay_alu instid0(SALU_CYCLE_1)
	s_xor_b32 s15, exec_lo, s15
	s_cbranch_execnz .LBB70_166
; %bb.96:                               ;   in Loop: Header=BB70_57 Depth=1
	s_or_saveexec_b32 s15, s15
                                        ; implicit-def: $sgpr16
	s_delay_alu instid0(SALU_CYCLE_1)
	s_xor_b32 exec_lo, exec_lo, s15
	s_cbranch_execnz .LBB70_167
.LBB70_97:                              ;   in Loop: Header=BB70_57 Depth=1
	s_or_b32 exec_lo, exec_lo, s15
	v_mov_b32_e32 v10, s16
	s_and_saveexec_b32 s15, s13
.LBB70_98:                              ;   in Loop: Header=BB70_57 Depth=1
	v_lshrrev_b32_e32 v10, 24, v11
	s_delay_alu instid0(VALU_DEP_1)
	v_and_or_b32 v10, 0x80, v10, v12
.LBB70_99:                              ;   in Loop: Header=BB70_57 Depth=1
	s_or_b32 exec_lo, exec_lo, s15
.LBB70_100:                             ;   in Loop: Header=BB70_57 Depth=1
	s_delay_alu instid0(SALU_CYCLE_1) | instskip(SKIP_3) | instid1(VALU_DEP_2)
	s_or_b32 exec_lo, exec_lo, s9
	v_mul_f32_e32 v9, v28, v9
	v_and_b32_e32 v5, 0xffff0000, v5
	s_mov_b32 s9, exec_lo
	v_bfe_u32 v11, v9, 16, 1
	v_cmp_o_f32_e32 vcc_lo, v9, v9
	s_delay_alu instid0(VALU_DEP_2) | instskip(NEXT) | instid1(VALU_DEP_1)
	v_add3_u32 v11, v9, v11, 0x7fff
	v_and_b32_e32 v11, 0xffff0000, v11
	s_delay_alu instid0(VALU_DEP_1) | instskip(NEXT) | instid1(VALU_DEP_1)
	v_cndmask_b32_e32 v9, 0x7fc00000, v11, vcc_lo
	v_mul_f32_e32 v5, v9, v5
	s_delay_alu instid0(VALU_DEP_1) | instskip(SKIP_1) | instid1(VALU_DEP_2)
	v_bfe_u32 v9, v5, 16, 1
	v_cmp_o_f32_e32 vcc_lo, v5, v5
	v_add3_u32 v9, v5, v9, 0x7fff
	s_delay_alu instid0(VALU_DEP_1) | instskip(NEXT) | instid1(VALU_DEP_1)
	v_and_b32_e32 v9, 0xffff0000, v9
	v_cndmask_b32_e32 v5, 0x7fc00000, v9, vcc_lo
	s_delay_alu instid0(VALU_DEP_1) | instskip(NEXT) | instid1(VALU_DEP_1)
	v_div_scale_f32 v9, null, v6, v6, v5
	v_rcp_f32_e32 v11, v9
	s_waitcnt_depctr 0xfff
	v_fma_f32 v12, -v9, v11, 1.0
	s_delay_alu instid0(VALU_DEP_1) | instskip(SKIP_1) | instid1(VALU_DEP_1)
	v_fmac_f32_e32 v11, v12, v11
	v_div_scale_f32 v12, vcc_lo, v5, v6, v5
	v_mul_f32_e32 v13, v12, v11
	s_delay_alu instid0(VALU_DEP_1) | instskip(NEXT) | instid1(VALU_DEP_1)
	v_fma_f32 v14, -v9, v13, v12
	v_fmac_f32_e32 v13, v14, v11
	s_delay_alu instid0(VALU_DEP_1) | instskip(NEXT) | instid1(VALU_DEP_1)
	v_fma_f32 v9, -v9, v13, v12
	v_div_fmas_f32 v9, v9, v11, v13
	s_delay_alu instid0(VALU_DEP_1) | instskip(NEXT) | instid1(VALU_DEP_1)
	v_div_fixup_f32 v5, v9, v6, v5
	v_minmax_f32 v5, v5, s7, 0xc3600000
	s_delay_alu instid0(VALU_DEP_1) | instskip(NEXT) | instid1(VALU_DEP_1)
	v_and_b32_e32 v6, 0x7fffffff, v5
	v_cmpx_gt_u32_e32 0x43800000, v6
	s_cbranch_execz .LBB70_106
; %bb.101:                              ;   in Loop: Header=BB70_57 Depth=1
	v_cmp_lt_u32_e32 vcc_lo, 0x3bffffff, v6
	s_mov_b32 s13, 0
                                        ; implicit-def: $vgpr6
	s_and_saveexec_b32 s15, vcc_lo
	s_delay_alu instid0(SALU_CYCLE_1)
	s_xor_b32 s15, exec_lo, s15
	s_cbranch_execnz .LBB70_168
; %bb.102:                              ;   in Loop: Header=BB70_57 Depth=1
	s_or_saveexec_b32 s15, s15
                                        ; implicit-def: $sgpr16
	s_delay_alu instid0(SALU_CYCLE_1)
	s_xor_b32 exec_lo, exec_lo, s15
	s_cbranch_execnz .LBB70_169
.LBB70_103:                             ;   in Loop: Header=BB70_57 Depth=1
	s_or_b32 exec_lo, exec_lo, s15
	v_mov_b32_e32 v4, s16
	s_and_saveexec_b32 s15, s13
.LBB70_104:                             ;   in Loop: Header=BB70_57 Depth=1
	v_lshrrev_b32_e32 v4, 24, v5
	s_delay_alu instid0(VALU_DEP_1)
	v_and_or_b32 v4, 0x80, v4, v6
.LBB70_105:                             ;   in Loop: Header=BB70_57 Depth=1
	s_or_b32 exec_lo, exec_lo, s15
.LBB70_106:                             ;   in Loop: Header=BB70_57 Depth=1
	s_delay_alu instid0(SALU_CYCLE_1)
	s_or_b32 exec_lo, exec_lo, s9
	v_lshlrev_b32_e32 v9, 16, v10
	v_lshlrev_b32_e32 v7, 8, v7
	v_lshlrev_b64 v[5:6], 2, v[2:3]
	v_and_b32_e32 v8, 0xff, v8
	v_add_nc_u32_e32 v3, s5, v0
	v_perm_b32 v9, v4, v9, 0x4020c0c
	v_and_b32_e32 v7, 0xff00, v7
	s_mov_b32 s13, -1
	v_add_co_u32 v4, vcc_lo, s2, v5
	v_add_co_ci_u32_e32 v5, vcc_lo, s3, v6, vcc_lo
	s_delay_alu instid0(VALU_DEP_3)
	v_or3_b32 v6, v9, v7, v8
	s_mov_b32 s9, exec_lo
	global_store_b32 v[4:5], v6, off
	v_cmpx_gt_u32_e64 s12, v3
	s_cbranch_execz .LBB70_55
; %bb.107:                              ;   in Loop: Header=BB70_57 Depth=1
	v_mov_b32_e32 v4, v1
	s_mov_b32 s13, exec_lo
	s_delay_alu instid0(VALU_DEP_1) | instskip(NEXT) | instid1(VALU_DEP_1)
	v_lshlrev_b64 v[5:6], 3, v[3:4]
	v_add_co_u32 v7, vcc_lo, s14, v5
	s_delay_alu instid0(VALU_DEP_2)
	v_add_co_ci_u32_e32 v8, vcc_lo, s30, v6, vcc_lo
	v_add_co_u32 v15, vcc_lo, s31, v5
	v_add_co_ci_u32_e32 v16, vcc_lo, s33, v6, vcc_lo
	v_add_co_u32 v5, vcc_lo, s10, v5
	v_add_co_ci_u32_e32 v6, vcc_lo, s11, v6, vcc_lo
	global_load_b64 v[8:9], v[7:8], off
	global_load_b64 v[10:11], v[15:16], off
	v_lshrrev_b32_e32 v7, 3, v3
	global_load_b64 v[5:6], v[5:6], off
	v_and_b32_e32 v7, 0x7fffffc, v7
	global_load_b32 v7, v7, s[0:1]
	s_waitcnt vmcnt(3)
	v_lshlrev_b32_e32 v12, 16, v8
	v_and_b32_e32 v19, 0xffff0000, v8
	v_alignbit_b32 v8, v9, v8, 16
	v_and_b32_e32 v9, 0xffff0000, v9
	s_waitcnt vmcnt(1)
	v_lshlrev_b32_e32 v17, 16, v5
	v_lshlrev_b32_e32 v13, 16, v10
	s_delay_alu instid0(VALU_DEP_1) | instskip(NEXT) | instid1(VALU_DEP_1)
	v_add_f32_e32 v13, v12, v13
	v_mul_f32_e32 v12, v28, v13
	s_delay_alu instid0(VALU_DEP_1) | instskip(SKIP_1) | instid1(VALU_DEP_2)
	v_bfe_u32 v14, v12, 16, 1
	v_cmp_o_f32_e32 vcc_lo, v12, v12
	v_add3_u32 v14, v12, v14, 0x7fff
	s_delay_alu instid0(VALU_DEP_1) | instskip(NEXT) | instid1(VALU_DEP_1)
	v_and_b32_e32 v14, 0xffff0000, v14
	v_cndmask_b32_e32 v12, 0x7fc00000, v14, vcc_lo
	s_delay_alu instid0(VALU_DEP_1) | instskip(NEXT) | instid1(VALU_DEP_1)
	v_mul_f32_e32 v12, v12, v17
	v_bfe_u32 v14, v12, 16, 1
	v_cmp_o_f32_e32 vcc_lo, v12, v12
	s_delay_alu instid0(VALU_DEP_2) | instskip(NEXT) | instid1(VALU_DEP_1)
	v_add3_u32 v14, v12, v14, 0x7fff
	v_and_b32_e32 v14, 0xffff0000, v14
	s_delay_alu instid0(VALU_DEP_1) | instskip(SKIP_1) | instid1(VALU_DEP_1)
	v_cndmask_b32_e32 v14, 0x7fc00000, v14, vcc_lo
	s_waitcnt vmcnt(0)
	v_div_scale_f32 v17, null, v7, v7, v14
	v_div_scale_f32 v20, vcc_lo, v14, v7, v14
	s_delay_alu instid0(VALU_DEP_2) | instskip(SKIP_2) | instid1(VALU_DEP_1)
	v_rcp_f32_e32 v18, v17
	s_waitcnt_depctr 0xfff
	v_fma_f32 v12, -v17, v18, 1.0
	v_fmac_f32_e32 v18, v12, v18
	v_alignbit_b32 v12, v11, v10, 16
	v_and_b32_e32 v10, 0xffff0000, v10
	v_and_b32_e32 v11, 0xffff0000, v11
	s_delay_alu instid0(VALU_DEP_3) | instskip(NEXT) | instid1(VALU_DEP_3)
	v_dual_mul_f32 v21, v20, v18 :: v_dual_and_b32 v22, 0xffff0000, v12
	v_add_f32_e32 v12, v19, v10
	s_delay_alu instid0(VALU_DEP_2) | instskip(NEXT) | instid1(VALU_DEP_1)
	v_fma_f32 v19, -v17, v21, v20
	v_dual_fmac_f32 v21, v19, v18 :: v_dual_and_b32 v8, 0xffff0000, v8
	s_delay_alu instid0(VALU_DEP_1) | instskip(NEXT) | instid1(VALU_DEP_4)
	v_dual_add_f32 v10, v9, v11 :: v_dual_add_f32 v11, v8, v22
	v_bfe_u32 v9, v12, 16, 1
	v_bfe_u32 v8, v13, 16, 1
	s_delay_alu instid0(VALU_DEP_4) | instskip(NEXT) | instid1(VALU_DEP_4)
	v_fma_f32 v17, -v17, v21, v20
	v_bfe_u32 v19, v10, 16, 1
	v_bfe_u32 v22, v11, 16, 1
	v_add3_u32 v9, v12, v9, 0x7fff
	v_add3_u32 v8, v13, v8, 0x7fff
	v_div_fmas_f32 v17, v17, v18, v21
	v_cmp_o_f32_e32 vcc_lo, v12, v12
	v_add3_u32 v19, v10, v19, 0x7fff
	v_and_b32_e32 v9, 0xffff0000, v9
	v_lshrrev_b32_e32 v8, 16, v8
	v_add3_u32 v20, v11, v22, 0x7fff
	v_div_fixup_f32 v14, v17, v7, v14
	v_and_b32_e32 v18, 0xffff0000, v19
	v_cndmask_b32_e32 v9, 0x7fc00000, v9, vcc_lo
	v_cmp_o_f32_e32 vcc_lo, v13, v13
	v_lshrrev_b32_e32 v19, 16, v20
	v_minmax_f32 v13, v14, s7, 0xc3600000
	v_cndmask_b32_e32 v8, 0x7fc0, v8, vcc_lo
	v_cmp_o_f32_e32 vcc_lo, v10, v10
	s_delay_alu instid0(VALU_DEP_3) | instskip(NEXT) | instid1(VALU_DEP_3)
	v_and_b32_e32 v14, 0x7fffffff, v13
	v_or_b32_e32 v9, v8, v9
	v_cndmask_b32_e32 v17, 0x7fc00000, v18, vcc_lo
	v_cmp_o_f32_e32 vcc_lo, v11, v11
	v_mov_b32_e32 v8, 0x80
	v_cndmask_b32_e32 v18, 0x7fc0, v19, vcc_lo
	s_delay_alu instid0(VALU_DEP_1)
	v_or3_b32 v18, 0, v18, v17
	v_or3_b32 v17, v9, 0, 0
	v_mov_b32_e32 v9, 0x80
	global_store_b64 v[15:16], v[17:18], off
	v_cmpx_gt_u32_e32 0x43800000, v14
	s_cbranch_execz .LBB70_113
; %bb.108:                              ;   in Loop: Header=BB70_57 Depth=1
	v_cmp_lt_u32_e32 vcc_lo, 0x3bffffff, v14
	s_mov_b32 s15, 0
                                        ; implicit-def: $vgpr14
	s_and_saveexec_b32 s16, vcc_lo
	s_delay_alu instid0(SALU_CYCLE_1)
	s_xor_b32 s16, exec_lo, s16
	s_cbranch_execnz .LBB70_170
; %bb.109:                              ;   in Loop: Header=BB70_57 Depth=1
	s_or_saveexec_b32 s16, s16
                                        ; implicit-def: $sgpr17
	s_delay_alu instid0(SALU_CYCLE_1)
	s_xor_b32 exec_lo, exec_lo, s16
	s_cbranch_execnz .LBB70_171
.LBB70_110:                             ;   in Loop: Header=BB70_57 Depth=1
	s_or_b32 exec_lo, exec_lo, s16
	v_mov_b32_e32 v9, s17
	s_and_saveexec_b32 s16, s15
.LBB70_111:                             ;   in Loop: Header=BB70_57 Depth=1
	v_lshrrev_b32_e32 v9, 24, v13
	s_delay_alu instid0(VALU_DEP_1)
	v_and_or_b32 v9, 0x80, v9, v14
.LBB70_112:                             ;   in Loop: Header=BB70_57 Depth=1
	s_or_b32 exec_lo, exec_lo, s16
.LBB70_113:                             ;   in Loop: Header=BB70_57 Depth=1
	s_delay_alu instid0(SALU_CYCLE_1) | instskip(SKIP_3) | instid1(VALU_DEP_2)
	s_or_b32 exec_lo, exec_lo, s13
	v_mul_f32_e32 v12, v28, v12
	v_and_b32_e32 v14, 0xffff0000, v5
	s_mov_b32 s13, exec_lo
	v_bfe_u32 v13, v12, 16, 1
	s_delay_alu instid0(VALU_DEP_1) | instskip(NEXT) | instid1(VALU_DEP_1)
	v_add3_u32 v13, v12, v13, 0x7fff
	v_and_b32_e32 v13, 0xffff0000, v13
	v_cmp_o_f32_e32 vcc_lo, v12, v12
	s_delay_alu instid0(VALU_DEP_2) | instskip(NEXT) | instid1(VALU_DEP_1)
	v_cndmask_b32_e32 v12, 0x7fc00000, v13, vcc_lo
	v_mul_f32_e32 v12, v12, v14
	s_delay_alu instid0(VALU_DEP_1) | instskip(NEXT) | instid1(VALU_DEP_1)
	v_bfe_u32 v13, v12, 16, 1
	v_add3_u32 v13, v12, v13, 0x7fff
	s_delay_alu instid0(VALU_DEP_1) | instskip(SKIP_1) | instid1(VALU_DEP_2)
	v_and_b32_e32 v13, 0xffff0000, v13
	v_cmp_o_f32_e32 vcc_lo, v12, v12
	v_cndmask_b32_e32 v12, 0x7fc00000, v13, vcc_lo
	s_delay_alu instid0(VALU_DEP_1) | instskip(NEXT) | instid1(VALU_DEP_1)
	v_div_scale_f32 v13, null, v7, v7, v12
	v_rcp_f32_e32 v14, v13
	s_waitcnt_depctr 0xfff
	v_fma_f32 v15, -v13, v14, 1.0
	s_delay_alu instid0(VALU_DEP_1) | instskip(SKIP_1) | instid1(VALU_DEP_1)
	v_fmac_f32_e32 v14, v15, v14
	v_div_scale_f32 v15, vcc_lo, v12, v7, v12
	v_mul_f32_e32 v16, v15, v14
	s_delay_alu instid0(VALU_DEP_1) | instskip(NEXT) | instid1(VALU_DEP_1)
	v_fma_f32 v17, -v13, v16, v15
	v_fmac_f32_e32 v16, v17, v14
	s_delay_alu instid0(VALU_DEP_1) | instskip(NEXT) | instid1(VALU_DEP_1)
	v_fma_f32 v13, -v13, v16, v15
	v_div_fmas_f32 v13, v13, v14, v16
	s_delay_alu instid0(VALU_DEP_1) | instskip(NEXT) | instid1(VALU_DEP_1)
	v_div_fixup_f32 v12, v13, v7, v12
	v_minmax_f32 v12, v12, s7, 0xc3600000
	s_delay_alu instid0(VALU_DEP_1) | instskip(NEXT) | instid1(VALU_DEP_1)
	v_and_b32_e32 v13, 0x7fffffff, v12
	v_cmpx_gt_u32_e32 0x43800000, v13
	s_cbranch_execz .LBB70_119
; %bb.114:                              ;   in Loop: Header=BB70_57 Depth=1
	v_cmp_lt_u32_e32 vcc_lo, 0x3bffffff, v13
	s_mov_b32 s15, 0
                                        ; implicit-def: $vgpr13
	s_and_saveexec_b32 s16, vcc_lo
	s_delay_alu instid0(SALU_CYCLE_1)
	s_xor_b32 s16, exec_lo, s16
	s_cbranch_execnz .LBB70_172
; %bb.115:                              ;   in Loop: Header=BB70_57 Depth=1
	s_or_saveexec_b32 s16, s16
                                        ; implicit-def: $sgpr17
	s_delay_alu instid0(SALU_CYCLE_1)
	s_xor_b32 exec_lo, exec_lo, s16
	s_cbranch_execnz .LBB70_173
.LBB70_116:                             ;   in Loop: Header=BB70_57 Depth=1
	s_or_b32 exec_lo, exec_lo, s16
	v_mov_b32_e32 v8, s17
	s_and_saveexec_b32 s16, s15
.LBB70_117:                             ;   in Loop: Header=BB70_57 Depth=1
	v_lshrrev_b32_e32 v8, 24, v12
	s_delay_alu instid0(VALU_DEP_1)
	v_and_or_b32 v8, 0x80, v8, v13
.LBB70_118:                             ;   in Loop: Header=BB70_57 Depth=1
	s_or_b32 exec_lo, exec_lo, s16
.LBB70_119:                             ;   in Loop: Header=BB70_57 Depth=1
	s_delay_alu instid0(SALU_CYCLE_1) | instskip(SKIP_3) | instid1(VALU_DEP_2)
	s_or_b32 exec_lo, exec_lo, s13
	v_mul_f32_e32 v11, v28, v11
	v_alignbit_b32 v5, v6, v5, 16
	s_mov_b32 s13, exec_lo
	v_bfe_u32 v12, v11, 16, 1
	s_delay_alu instid0(VALU_DEP_2) | instskip(NEXT) | instid1(VALU_DEP_2)
	v_and_b32_e32 v5, 0xffff0000, v5
	v_add3_u32 v12, v11, v12, 0x7fff
	s_delay_alu instid0(VALU_DEP_1) | instskip(SKIP_1) | instid1(VALU_DEP_2)
	v_and_b32_e32 v12, 0xffff0000, v12
	v_cmp_o_f32_e32 vcc_lo, v11, v11
	v_cndmask_b32_e32 v11, 0x7fc00000, v12, vcc_lo
	s_delay_alu instid0(VALU_DEP_1) | instskip(NEXT) | instid1(VALU_DEP_1)
	v_mul_f32_e32 v5, v11, v5
	v_bfe_u32 v11, v5, 16, 1
	v_cmp_o_f32_e32 vcc_lo, v5, v5
	s_delay_alu instid0(VALU_DEP_2) | instskip(NEXT) | instid1(VALU_DEP_1)
	v_add3_u32 v11, v5, v11, 0x7fff
	v_and_b32_e32 v11, 0xffff0000, v11
	s_delay_alu instid0(VALU_DEP_1) | instskip(NEXT) | instid1(VALU_DEP_1)
	v_cndmask_b32_e32 v5, 0x7fc00000, v11, vcc_lo
	v_div_scale_f32 v11, null, v7, v7, v5
	v_div_scale_f32 v14, vcc_lo, v5, v7, v5
	s_delay_alu instid0(VALU_DEP_2) | instskip(SKIP_2) | instid1(VALU_DEP_1)
	v_rcp_f32_e32 v12, v11
	s_waitcnt_depctr 0xfff
	v_fma_f32 v13, -v11, v12, 1.0
	v_fmac_f32_e32 v12, v13, v12
	s_delay_alu instid0(VALU_DEP_1) | instskip(NEXT) | instid1(VALU_DEP_1)
	v_mul_f32_e32 v13, v14, v12
	v_fma_f32 v15, -v11, v13, v14
	s_delay_alu instid0(VALU_DEP_1) | instskip(NEXT) | instid1(VALU_DEP_1)
	v_fmac_f32_e32 v13, v15, v12
	v_fma_f32 v11, -v11, v13, v14
	s_delay_alu instid0(VALU_DEP_1) | instskip(NEXT) | instid1(VALU_DEP_1)
	v_div_fmas_f32 v11, v11, v12, v13
	v_div_fixup_f32 v5, v11, v7, v5
	v_mov_b32_e32 v11, 0x80
	s_delay_alu instid0(VALU_DEP_2) | instskip(SKIP_1) | instid1(VALU_DEP_2)
	v_minmax_f32 v12, v5, s7, 0xc3600000
	v_mov_b32_e32 v5, 0x80
	v_and_b32_e32 v13, 0x7fffffff, v12
	s_delay_alu instid0(VALU_DEP_1)
	v_cmpx_gt_u32_e32 0x43800000, v13
	s_cbranch_execz .LBB70_125
; %bb.120:                              ;   in Loop: Header=BB70_57 Depth=1
	v_cmp_lt_u32_e32 vcc_lo, 0x3bffffff, v13
	s_mov_b32 s15, 0
                                        ; implicit-def: $vgpr13
	s_and_saveexec_b32 s16, vcc_lo
	s_delay_alu instid0(SALU_CYCLE_1)
	s_xor_b32 s16, exec_lo, s16
	s_cbranch_execnz .LBB70_174
; %bb.121:                              ;   in Loop: Header=BB70_57 Depth=1
	s_or_saveexec_b32 s16, s16
                                        ; implicit-def: $sgpr17
	s_delay_alu instid0(SALU_CYCLE_1)
	s_xor_b32 exec_lo, exec_lo, s16
	s_cbranch_execnz .LBB70_175
.LBB70_122:                             ;   in Loop: Header=BB70_57 Depth=1
	s_or_b32 exec_lo, exec_lo, s16
	v_mov_b32_e32 v11, s17
	s_and_saveexec_b32 s16, s15
.LBB70_123:                             ;   in Loop: Header=BB70_57 Depth=1
	v_lshrrev_b32_e32 v11, 24, v12
	s_delay_alu instid0(VALU_DEP_1)
	v_and_or_b32 v11, 0x80, v11, v13
.LBB70_124:                             ;   in Loop: Header=BB70_57 Depth=1
	s_or_b32 exec_lo, exec_lo, s16
.LBB70_125:                             ;   in Loop: Header=BB70_57 Depth=1
	s_delay_alu instid0(SALU_CYCLE_1) | instskip(SKIP_3) | instid1(VALU_DEP_2)
	s_or_b32 exec_lo, exec_lo, s13
	v_mul_f32_e32 v10, v28, v10
	v_and_b32_e32 v6, 0xffff0000, v6
	s_mov_b32 s13, exec_lo
	v_bfe_u32 v12, v10, 16, 1
	v_cmp_o_f32_e32 vcc_lo, v10, v10
	s_delay_alu instid0(VALU_DEP_2) | instskip(NEXT) | instid1(VALU_DEP_1)
	v_add3_u32 v12, v10, v12, 0x7fff
	v_and_b32_e32 v12, 0xffff0000, v12
	s_delay_alu instid0(VALU_DEP_1) | instskip(NEXT) | instid1(VALU_DEP_1)
	v_cndmask_b32_e32 v10, 0x7fc00000, v12, vcc_lo
	v_mul_f32_e32 v6, v10, v6
	s_delay_alu instid0(VALU_DEP_1) | instskip(SKIP_1) | instid1(VALU_DEP_2)
	v_bfe_u32 v10, v6, 16, 1
	v_cmp_o_f32_e32 vcc_lo, v6, v6
	v_add3_u32 v10, v6, v10, 0x7fff
	s_delay_alu instid0(VALU_DEP_1) | instskip(NEXT) | instid1(VALU_DEP_1)
	v_and_b32_e32 v10, 0xffff0000, v10
	v_cndmask_b32_e32 v6, 0x7fc00000, v10, vcc_lo
	s_delay_alu instid0(VALU_DEP_1) | instskip(NEXT) | instid1(VALU_DEP_1)
	v_div_scale_f32 v10, null, v7, v7, v6
	v_rcp_f32_e32 v12, v10
	s_waitcnt_depctr 0xfff
	v_fma_f32 v13, -v10, v12, 1.0
	s_delay_alu instid0(VALU_DEP_1) | instskip(SKIP_1) | instid1(VALU_DEP_1)
	v_fmac_f32_e32 v12, v13, v12
	v_div_scale_f32 v13, vcc_lo, v6, v7, v6
	v_mul_f32_e32 v14, v13, v12
	s_delay_alu instid0(VALU_DEP_1) | instskip(NEXT) | instid1(VALU_DEP_1)
	v_fma_f32 v15, -v10, v14, v13
	v_fmac_f32_e32 v14, v15, v12
	s_delay_alu instid0(VALU_DEP_1) | instskip(NEXT) | instid1(VALU_DEP_1)
	v_fma_f32 v10, -v10, v14, v13
	v_div_fmas_f32 v10, v10, v12, v14
	s_delay_alu instid0(VALU_DEP_1) | instskip(NEXT) | instid1(VALU_DEP_1)
	v_div_fixup_f32 v6, v10, v7, v6
	v_minmax_f32 v6, v6, s7, 0xc3600000
	s_delay_alu instid0(VALU_DEP_1) | instskip(NEXT) | instid1(VALU_DEP_1)
	v_and_b32_e32 v7, 0x7fffffff, v6
	v_cmpx_gt_u32_e32 0x43800000, v7
	s_cbranch_execz .LBB70_131
; %bb.126:                              ;   in Loop: Header=BB70_57 Depth=1
	v_cmp_lt_u32_e32 vcc_lo, 0x3bffffff, v7
	s_mov_b32 s15, 0
                                        ; implicit-def: $vgpr7
	s_and_saveexec_b32 s16, vcc_lo
	s_delay_alu instid0(SALU_CYCLE_1)
	s_xor_b32 s16, exec_lo, s16
	s_cbranch_execnz .LBB70_176
; %bb.127:                              ;   in Loop: Header=BB70_57 Depth=1
	s_or_saveexec_b32 s16, s16
                                        ; implicit-def: $sgpr17
	s_delay_alu instid0(SALU_CYCLE_1)
	s_xor_b32 exec_lo, exec_lo, s16
	s_cbranch_execnz .LBB70_177
.LBB70_128:                             ;   in Loop: Header=BB70_57 Depth=1
	s_or_b32 exec_lo, exec_lo, s16
	v_mov_b32_e32 v5, s17
	s_and_saveexec_b32 s16, s15
.LBB70_129:                             ;   in Loop: Header=BB70_57 Depth=1
	v_lshrrev_b32_e32 v5, 24, v6
	s_delay_alu instid0(VALU_DEP_1)
	v_and_or_b32 v5, 0x80, v5, v7
.LBB70_130:                             ;   in Loop: Header=BB70_57 Depth=1
	s_or_b32 exec_lo, exec_lo, s16
.LBB70_131:                             ;   in Loop: Header=BB70_57 Depth=1
	s_delay_alu instid0(SALU_CYCLE_1)
	s_or_b32 exec_lo, exec_lo, s13
	v_lshlrev_b32_e32 v6, 16, v11
	v_lshlrev_b32_e32 v7, 8, v8
	v_lshlrev_b64 v[3:4], 2, v[3:4]
	v_and_b32_e32 v8, 0xff, v9
	v_add_nc_u32_e32 v0, s4, v0
	v_perm_b32 v5, v5, v6, 0x4020c0c
	v_and_b32_e32 v6, 0xff00, v7
	s_mov_b32 s15, -1
	v_add_co_u32 v3, vcc_lo, s2, v3
	v_add_co_ci_u32_e32 v4, vcc_lo, s3, v4, vcc_lo
	s_delay_alu instid0(VALU_DEP_3)
	v_or3_b32 v5, v5, v6, v8
	s_mov_b32 s13, exec_lo
	global_store_b32 v[3:4], v5, off
	v_cmpx_gt_u32_e64 s12, v0
	s_cbranch_execz .LBB70_54
; %bb.132:                              ;   in Loop: Header=BB70_57 Depth=1
	v_lshlrev_b64 v[3:4], 3, v[0:1]
	s_mov_b32 s15, exec_lo
	s_delay_alu instid0(VALU_DEP_1) | instskip(NEXT) | instid1(VALU_DEP_2)
	v_add_co_u32 v5, vcc_lo, s14, v3
	v_add_co_ci_u32_e32 v6, vcc_lo, s30, v4, vcc_lo
	v_add_co_u32 v13, vcc_lo, s31, v3
	v_add_co_ci_u32_e32 v14, vcc_lo, s33, v4, vcc_lo
	v_add_co_u32 v3, vcc_lo, s10, v3
	v_add_co_ci_u32_e32 v4, vcc_lo, s11, v4, vcc_lo
	global_load_b64 v[6:7], v[5:6], off
	global_load_b64 v[8:9], v[13:14], off
	v_lshrrev_b32_e32 v5, 3, v0
	global_load_b64 v[3:4], v[3:4], off
	s_waitcnt vmcnt(2)
	v_lshlrev_b32_e32 v10, 16, v6
	s_waitcnt vmcnt(0)
	v_lshlrev_b32_e32 v15, 16, v3
	v_lshlrev_b32_e32 v11, 16, v8
	s_delay_alu instid0(VALU_DEP_1) | instskip(NEXT) | instid1(VALU_DEP_1)
	v_add_f32_e32 v11, v10, v11
	v_dual_mul_f32 v10, v28, v11 :: v_dual_and_b32 v5, 0x7fffffc, v5
	global_load_b32 v5, v5, s[0:1]
	v_bfe_u32 v12, v10, 16, 1
	v_cmp_o_f32_e32 vcc_lo, v10, v10
	s_delay_alu instid0(VALU_DEP_2) | instskip(NEXT) | instid1(VALU_DEP_1)
	v_add3_u32 v12, v10, v12, 0x7fff
	v_and_b32_e32 v12, 0xffff0000, v12
	s_delay_alu instid0(VALU_DEP_1) | instskip(NEXT) | instid1(VALU_DEP_1)
	v_cndmask_b32_e32 v10, 0x7fc00000, v12, vcc_lo
	v_mul_f32_e32 v10, v10, v15
	s_delay_alu instid0(VALU_DEP_1) | instskip(SKIP_1) | instid1(VALU_DEP_2)
	v_bfe_u32 v12, v10, 16, 1
	v_cmp_o_f32_e32 vcc_lo, v10, v10
	v_add3_u32 v12, v10, v12, 0x7fff
	s_delay_alu instid0(VALU_DEP_1) | instskip(NEXT) | instid1(VALU_DEP_1)
	v_and_b32_e32 v12, 0xffff0000, v12
	v_cndmask_b32_e32 v12, 0x7fc00000, v12, vcc_lo
	s_waitcnt vmcnt(0)
	s_delay_alu instid0(VALU_DEP_1) | instskip(SKIP_1) | instid1(VALU_DEP_2)
	v_div_scale_f32 v15, null, v5, v5, v12
	v_div_scale_f32 v18, vcc_lo, v12, v5, v12
	v_rcp_f32_e32 v16, v15
	s_waitcnt_depctr 0xfff
	v_fma_f32 v10, -v15, v16, 1.0
	v_and_b32_e32 v17, 0xffff0000, v6
	v_alignbit_b32 v6, v7, v6, 16
	s_delay_alu instid0(VALU_DEP_3) | instskip(SKIP_4) | instid1(VALU_DEP_4)
	v_fmac_f32_e32 v16, v10, v16
	v_alignbit_b32 v10, v9, v8, 16
	v_and_b32_e32 v8, 0xffff0000, v8
	v_and_b32_e32 v7, 0xffff0000, v7
	;; [unrolled: 1-line block ×3, first 2 shown]
	v_dual_mul_f32 v19, v18, v16 :: v_dual_and_b32 v20, 0xffff0000, v10
	s_delay_alu instid0(VALU_DEP_4) | instskip(NEXT) | instid1(VALU_DEP_2)
	v_add_f32_e32 v10, v17, v8
	v_fma_f32 v17, -v15, v19, v18
	s_delay_alu instid0(VALU_DEP_1) | instskip(NEXT) | instid1(VALU_DEP_1)
	v_dual_fmac_f32 v19, v17, v16 :: v_dual_and_b32 v6, 0xffff0000, v6
	v_dual_add_f32 v8, v7, v9 :: v_dual_add_f32 v9, v6, v20
	s_delay_alu instid0(VALU_DEP_4) | instskip(SKIP_1) | instid1(VALU_DEP_4)
	v_bfe_u32 v7, v10, 16, 1
	v_bfe_u32 v6, v11, 16, 1
	v_fma_f32 v15, -v15, v19, v18
	s_delay_alu instid0(VALU_DEP_4)
	v_bfe_u32 v17, v8, 16, 1
	v_bfe_u32 v20, v9, 16, 1
	v_add3_u32 v7, v10, v7, 0x7fff
	v_add3_u32 v6, v11, v6, 0x7fff
	v_div_fmas_f32 v15, v15, v16, v19
	v_cmp_o_f32_e32 vcc_lo, v10, v10
	v_add3_u32 v17, v8, v17, 0x7fff
	v_and_b32_e32 v7, 0xffff0000, v7
	v_lshrrev_b32_e32 v6, 16, v6
	v_add3_u32 v18, v9, v20, 0x7fff
	v_div_fixup_f32 v12, v15, v5, v12
	v_and_b32_e32 v16, 0xffff0000, v17
	v_cndmask_b32_e32 v7, 0x7fc00000, v7, vcc_lo
	v_cmp_o_f32_e32 vcc_lo, v11, v11
	v_lshrrev_b32_e32 v17, 16, v18
	v_minmax_f32 v11, v12, s7, 0xc3600000
	v_cndmask_b32_e32 v6, 0x7fc0, v6, vcc_lo
	v_cmp_o_f32_e32 vcc_lo, v8, v8
	s_delay_alu instid0(VALU_DEP_3) | instskip(NEXT) | instid1(VALU_DEP_3)
	v_and_b32_e32 v12, 0x7fffffff, v11
	v_or_b32_e32 v6, v6, v7
	v_cndmask_b32_e32 v15, 0x7fc00000, v16, vcc_lo
	v_cmp_o_f32_e32 vcc_lo, v9, v9
	v_mov_b32_e32 v7, 0x80
	v_cndmask_b32_e32 v16, 0x7fc0, v17, vcc_lo
	s_delay_alu instid0(VALU_DEP_1)
	v_or3_b32 v16, 0, v16, v15
	v_or3_b32 v15, v6, 0, 0
	v_mov_b32_e32 v6, 0x80
	global_store_b64 v[13:14], v[15:16], off
	v_cmpx_gt_u32_e32 0x43800000, v12
	s_cbranch_execz .LBB70_138
; %bb.133:                              ;   in Loop: Header=BB70_57 Depth=1
	v_cmp_lt_u32_e32 vcc_lo, 0x3bffffff, v12
	s_mov_b32 s16, 0
                                        ; implicit-def: $vgpr12
	s_and_saveexec_b32 s17, vcc_lo
	s_delay_alu instid0(SALU_CYCLE_1)
	s_xor_b32 s17, exec_lo, s17
	s_cbranch_execnz .LBB70_178
; %bb.134:                              ;   in Loop: Header=BB70_57 Depth=1
	s_or_saveexec_b32 s17, s17
                                        ; implicit-def: $sgpr18
	s_delay_alu instid0(SALU_CYCLE_1)
	s_xor_b32 exec_lo, exec_lo, s17
	s_cbranch_execnz .LBB70_179
.LBB70_135:                             ;   in Loop: Header=BB70_57 Depth=1
	s_or_b32 exec_lo, exec_lo, s17
	v_mov_b32_e32 v6, s18
	s_and_saveexec_b32 s17, s16
.LBB70_136:                             ;   in Loop: Header=BB70_57 Depth=1
	v_lshrrev_b32_e32 v6, 24, v11
	s_delay_alu instid0(VALU_DEP_1)
	v_and_or_b32 v6, 0x80, v6, v12
.LBB70_137:                             ;   in Loop: Header=BB70_57 Depth=1
	s_or_b32 exec_lo, exec_lo, s17
.LBB70_138:                             ;   in Loop: Header=BB70_57 Depth=1
	s_delay_alu instid0(SALU_CYCLE_1) | instskip(SKIP_3) | instid1(VALU_DEP_2)
	s_or_b32 exec_lo, exec_lo, s15
	v_mul_f32_e32 v10, v28, v10
	v_and_b32_e32 v12, 0xffff0000, v3
	s_mov_b32 s15, exec_lo
	v_bfe_u32 v11, v10, 16, 1
	s_delay_alu instid0(VALU_DEP_1) | instskip(NEXT) | instid1(VALU_DEP_1)
	v_add3_u32 v11, v10, v11, 0x7fff
	v_and_b32_e32 v11, 0xffff0000, v11
	v_cmp_o_f32_e32 vcc_lo, v10, v10
	s_delay_alu instid0(VALU_DEP_2) | instskip(NEXT) | instid1(VALU_DEP_1)
	v_cndmask_b32_e32 v10, 0x7fc00000, v11, vcc_lo
	v_mul_f32_e32 v10, v10, v12
	s_delay_alu instid0(VALU_DEP_1) | instskip(NEXT) | instid1(VALU_DEP_1)
	v_bfe_u32 v11, v10, 16, 1
	v_add3_u32 v11, v10, v11, 0x7fff
	s_delay_alu instid0(VALU_DEP_1) | instskip(SKIP_1) | instid1(VALU_DEP_2)
	v_and_b32_e32 v11, 0xffff0000, v11
	v_cmp_o_f32_e32 vcc_lo, v10, v10
	v_cndmask_b32_e32 v10, 0x7fc00000, v11, vcc_lo
	s_delay_alu instid0(VALU_DEP_1) | instskip(NEXT) | instid1(VALU_DEP_1)
	v_div_scale_f32 v11, null, v5, v5, v10
	v_rcp_f32_e32 v12, v11
	s_waitcnt_depctr 0xfff
	v_fma_f32 v13, -v11, v12, 1.0
	s_delay_alu instid0(VALU_DEP_1) | instskip(SKIP_1) | instid1(VALU_DEP_1)
	v_fmac_f32_e32 v12, v13, v12
	v_div_scale_f32 v13, vcc_lo, v10, v5, v10
	v_mul_f32_e32 v14, v13, v12
	s_delay_alu instid0(VALU_DEP_1) | instskip(NEXT) | instid1(VALU_DEP_1)
	v_fma_f32 v15, -v11, v14, v13
	v_fmac_f32_e32 v14, v15, v12
	s_delay_alu instid0(VALU_DEP_1) | instskip(NEXT) | instid1(VALU_DEP_1)
	v_fma_f32 v11, -v11, v14, v13
	v_div_fmas_f32 v11, v11, v12, v14
	s_delay_alu instid0(VALU_DEP_1) | instskip(NEXT) | instid1(VALU_DEP_1)
	v_div_fixup_f32 v10, v11, v5, v10
	v_minmax_f32 v10, v10, s7, 0xc3600000
	s_delay_alu instid0(VALU_DEP_1) | instskip(NEXT) | instid1(VALU_DEP_1)
	v_and_b32_e32 v11, 0x7fffffff, v10
	v_cmpx_gt_u32_e32 0x43800000, v11
	s_cbranch_execz .LBB70_144
; %bb.139:                              ;   in Loop: Header=BB70_57 Depth=1
	v_cmp_lt_u32_e32 vcc_lo, 0x3bffffff, v11
	s_mov_b32 s16, 0
                                        ; implicit-def: $vgpr11
	s_and_saveexec_b32 s17, vcc_lo
	s_delay_alu instid0(SALU_CYCLE_1)
	s_xor_b32 s17, exec_lo, s17
	s_cbranch_execnz .LBB70_180
; %bb.140:                              ;   in Loop: Header=BB70_57 Depth=1
	s_or_saveexec_b32 s17, s17
                                        ; implicit-def: $sgpr18
	s_delay_alu instid0(SALU_CYCLE_1)
	s_xor_b32 exec_lo, exec_lo, s17
	s_cbranch_execnz .LBB70_181
.LBB70_141:                             ;   in Loop: Header=BB70_57 Depth=1
	s_or_b32 exec_lo, exec_lo, s17
	v_mov_b32_e32 v7, s18
	s_and_saveexec_b32 s17, s16
.LBB70_142:                             ;   in Loop: Header=BB70_57 Depth=1
	v_lshrrev_b32_e32 v7, 24, v10
	s_delay_alu instid0(VALU_DEP_1)
	v_and_or_b32 v7, 0x80, v7, v11
.LBB70_143:                             ;   in Loop: Header=BB70_57 Depth=1
	s_or_b32 exec_lo, exec_lo, s17
.LBB70_144:                             ;   in Loop: Header=BB70_57 Depth=1
	s_delay_alu instid0(SALU_CYCLE_1) | instskip(SKIP_3) | instid1(VALU_DEP_2)
	s_or_b32 exec_lo, exec_lo, s15
	v_mul_f32_e32 v9, v28, v9
	v_alignbit_b32 v3, v4, v3, 16
	s_mov_b32 s15, exec_lo
	v_bfe_u32 v10, v9, 16, 1
	s_delay_alu instid0(VALU_DEP_2) | instskip(NEXT) | instid1(VALU_DEP_2)
	v_and_b32_e32 v3, 0xffff0000, v3
	v_add3_u32 v10, v9, v10, 0x7fff
	s_delay_alu instid0(VALU_DEP_1) | instskip(SKIP_1) | instid1(VALU_DEP_2)
	v_and_b32_e32 v10, 0xffff0000, v10
	v_cmp_o_f32_e32 vcc_lo, v9, v9
	v_cndmask_b32_e32 v9, 0x7fc00000, v10, vcc_lo
	s_delay_alu instid0(VALU_DEP_1) | instskip(NEXT) | instid1(VALU_DEP_1)
	v_mul_f32_e32 v3, v9, v3
	v_bfe_u32 v9, v3, 16, 1
	v_cmp_o_f32_e32 vcc_lo, v3, v3
	s_delay_alu instid0(VALU_DEP_2) | instskip(NEXT) | instid1(VALU_DEP_1)
	v_add3_u32 v9, v3, v9, 0x7fff
	v_and_b32_e32 v9, 0xffff0000, v9
	s_delay_alu instid0(VALU_DEP_1) | instskip(NEXT) | instid1(VALU_DEP_1)
	v_cndmask_b32_e32 v3, 0x7fc00000, v9, vcc_lo
	v_div_scale_f32 v9, null, v5, v5, v3
	v_div_scale_f32 v12, vcc_lo, v3, v5, v3
	s_delay_alu instid0(VALU_DEP_2) | instskip(SKIP_2) | instid1(VALU_DEP_1)
	v_rcp_f32_e32 v10, v9
	s_waitcnt_depctr 0xfff
	v_fma_f32 v11, -v9, v10, 1.0
	v_fmac_f32_e32 v10, v11, v10
	s_delay_alu instid0(VALU_DEP_1) | instskip(NEXT) | instid1(VALU_DEP_1)
	v_mul_f32_e32 v11, v12, v10
	v_fma_f32 v13, -v9, v11, v12
	s_delay_alu instid0(VALU_DEP_1) | instskip(NEXT) | instid1(VALU_DEP_1)
	v_fmac_f32_e32 v11, v13, v10
	v_fma_f32 v9, -v9, v11, v12
	s_delay_alu instid0(VALU_DEP_1) | instskip(NEXT) | instid1(VALU_DEP_1)
	v_div_fmas_f32 v9, v9, v10, v11
	v_div_fixup_f32 v3, v9, v5, v3
	v_mov_b32_e32 v9, 0x80
	s_delay_alu instid0(VALU_DEP_2) | instskip(SKIP_1) | instid1(VALU_DEP_2)
	v_minmax_f32 v10, v3, s7, 0xc3600000
	v_mov_b32_e32 v3, 0x80
	v_and_b32_e32 v11, 0x7fffffff, v10
	s_delay_alu instid0(VALU_DEP_1)
	v_cmpx_gt_u32_e32 0x43800000, v11
	s_cbranch_execz .LBB70_150
; %bb.145:                              ;   in Loop: Header=BB70_57 Depth=1
	v_cmp_lt_u32_e32 vcc_lo, 0x3bffffff, v11
	s_mov_b32 s16, 0
                                        ; implicit-def: $vgpr11
	s_and_saveexec_b32 s17, vcc_lo
	s_delay_alu instid0(SALU_CYCLE_1)
	s_xor_b32 s17, exec_lo, s17
	s_cbranch_execnz .LBB70_182
; %bb.146:                              ;   in Loop: Header=BB70_57 Depth=1
	s_or_saveexec_b32 s17, s17
                                        ; implicit-def: $sgpr18
	s_delay_alu instid0(SALU_CYCLE_1)
	s_xor_b32 exec_lo, exec_lo, s17
	s_cbranch_execnz .LBB70_183
.LBB70_147:                             ;   in Loop: Header=BB70_57 Depth=1
	s_or_b32 exec_lo, exec_lo, s17
	v_mov_b32_e32 v9, s18
	s_and_saveexec_b32 s17, s16
.LBB70_148:                             ;   in Loop: Header=BB70_57 Depth=1
	v_lshrrev_b32_e32 v9, 24, v10
	s_delay_alu instid0(VALU_DEP_1)
	v_and_or_b32 v9, 0x80, v9, v11
.LBB70_149:                             ;   in Loop: Header=BB70_57 Depth=1
	s_or_b32 exec_lo, exec_lo, s17
.LBB70_150:                             ;   in Loop: Header=BB70_57 Depth=1
	s_delay_alu instid0(SALU_CYCLE_1) | instskip(SKIP_3) | instid1(VALU_DEP_2)
	s_or_b32 exec_lo, exec_lo, s15
	v_mul_f32_e32 v8, v28, v8
	v_and_b32_e32 v4, 0xffff0000, v4
	s_mov_b32 s15, exec_lo
	v_bfe_u32 v10, v8, 16, 1
	v_cmp_o_f32_e32 vcc_lo, v8, v8
	s_delay_alu instid0(VALU_DEP_2) | instskip(NEXT) | instid1(VALU_DEP_1)
	v_add3_u32 v10, v8, v10, 0x7fff
	v_and_b32_e32 v10, 0xffff0000, v10
	s_delay_alu instid0(VALU_DEP_1) | instskip(NEXT) | instid1(VALU_DEP_1)
	v_cndmask_b32_e32 v8, 0x7fc00000, v10, vcc_lo
	v_mul_f32_e32 v4, v8, v4
	s_delay_alu instid0(VALU_DEP_1) | instskip(SKIP_1) | instid1(VALU_DEP_2)
	v_bfe_u32 v8, v4, 16, 1
	v_cmp_o_f32_e32 vcc_lo, v4, v4
	v_add3_u32 v8, v4, v8, 0x7fff
	s_delay_alu instid0(VALU_DEP_1) | instskip(NEXT) | instid1(VALU_DEP_1)
	v_and_b32_e32 v8, 0xffff0000, v8
	v_cndmask_b32_e32 v4, 0x7fc00000, v8, vcc_lo
	s_delay_alu instid0(VALU_DEP_1) | instskip(NEXT) | instid1(VALU_DEP_1)
	v_div_scale_f32 v8, null, v5, v5, v4
	v_rcp_f32_e32 v10, v8
	s_waitcnt_depctr 0xfff
	v_fma_f32 v11, -v8, v10, 1.0
	s_delay_alu instid0(VALU_DEP_1) | instskip(SKIP_1) | instid1(VALU_DEP_1)
	v_fmac_f32_e32 v10, v11, v10
	v_div_scale_f32 v11, vcc_lo, v4, v5, v4
	v_mul_f32_e32 v12, v11, v10
	s_delay_alu instid0(VALU_DEP_1) | instskip(NEXT) | instid1(VALU_DEP_1)
	v_fma_f32 v13, -v8, v12, v11
	v_fmac_f32_e32 v12, v13, v10
	s_delay_alu instid0(VALU_DEP_1) | instskip(NEXT) | instid1(VALU_DEP_1)
	v_fma_f32 v8, -v8, v12, v11
	v_div_fmas_f32 v8, v8, v10, v12
	s_delay_alu instid0(VALU_DEP_1) | instskip(NEXT) | instid1(VALU_DEP_1)
	v_div_fixup_f32 v4, v8, v5, v4
	v_minmax_f32 v4, v4, s7, 0xc3600000
	s_delay_alu instid0(VALU_DEP_1) | instskip(NEXT) | instid1(VALU_DEP_1)
	v_and_b32_e32 v5, 0x7fffffff, v4
	v_cmpx_gt_u32_e32 0x43800000, v5
	s_cbranch_execz .LBB70_53
; %bb.151:                              ;   in Loop: Header=BB70_57 Depth=1
	v_cmp_lt_u32_e32 vcc_lo, 0x3bffffff, v5
	s_mov_b32 s16, 0
                                        ; implicit-def: $vgpr5
	s_and_saveexec_b32 s17, vcc_lo
	s_delay_alu instid0(SALU_CYCLE_1)
	s_xor_b32 s17, exec_lo, s17
	s_cbranch_execnz .LBB70_184
; %bb.152:                              ;   in Loop: Header=BB70_57 Depth=1
	s_or_saveexec_b32 s17, s17
                                        ; implicit-def: $sgpr18
	s_delay_alu instid0(SALU_CYCLE_1)
	s_xor_b32 exec_lo, exec_lo, s17
	s_cbranch_execnz .LBB70_185
.LBB70_153:                             ;   in Loop: Header=BB70_57 Depth=1
	s_or_b32 exec_lo, exec_lo, s17
	v_mov_b32_e32 v3, s18
	s_and_saveexec_b32 s17, s16
	s_cbranch_execz .LBB70_52
	s_branch .LBB70_186
.LBB70_154:                             ;   in Loop: Header=BB70_57 Depth=1
	v_bfe_u32 v6, v10, 20, 1
	s_mov_b32 s9, exec_lo
	s_delay_alu instid0(VALU_DEP_1) | instskip(NEXT) | instid1(VALU_DEP_1)
	v_add3_u32 v6, v10, v6, 0x487ffff
	v_lshrrev_b32_e32 v11, 20, v6
	s_or_saveexec_b32 s13, s13
                                        ; implicit-def: $sgpr15
	s_delay_alu instid0(SALU_CYCLE_1)
	s_xor_b32 exec_lo, exec_lo, s13
	s_cbranch_execz .LBB70_60
.LBB70_155:                             ;   in Loop: Header=BB70_57 Depth=1
	v_add_f32_e64 v6, 0x46000000, |v10|
	s_and_not1_b32 s9, s9, exec_lo
	s_mov_b32 s15, 0
	s_delay_alu instid0(VALU_DEP_1) | instskip(NEXT) | instid1(VALU_DEP_1)
	v_and_b32_e32 v11, 0xff, v6
	v_cmp_ne_u32_e32 vcc_lo, 0, v11
	s_and_b32 s16, vcc_lo, exec_lo
	s_delay_alu instid0(SALU_CYCLE_1)
	s_or_b32 s9, s9, s16
	s_or_b32 exec_lo, exec_lo, s13
	v_mov_b32_e32 v6, s15
	s_and_saveexec_b32 s13, s9
	s_cbranch_execnz .LBB70_61
	s_branch .LBB70_62
.LBB70_156:                             ;   in Loop: Header=BB70_57 Depth=1
	v_bfe_u32 v5, v9, 20, 1
	s_mov_b32 s9, exec_lo
	s_delay_alu instid0(VALU_DEP_1) | instskip(NEXT) | instid1(VALU_DEP_1)
	v_add3_u32 v5, v9, v5, 0x487ffff
	v_lshrrev_b32_e32 v10, 20, v5
	s_or_saveexec_b32 s13, s13
                                        ; implicit-def: $sgpr15
	s_delay_alu instid0(SALU_CYCLE_1)
	s_xor_b32 exec_lo, exec_lo, s13
	s_cbranch_execz .LBB70_66
.LBB70_157:                             ;   in Loop: Header=BB70_57 Depth=1
	v_add_f32_e64 v5, 0x46000000, |v9|
	s_and_not1_b32 s9, s9, exec_lo
	s_mov_b32 s15, 0
	s_delay_alu instid0(VALU_DEP_1) | instskip(NEXT) | instid1(VALU_DEP_1)
	v_and_b32_e32 v10, 0xff, v5
	v_cmp_ne_u32_e32 vcc_lo, 0, v10
	s_and_b32 s16, vcc_lo, exec_lo
	s_delay_alu instid0(SALU_CYCLE_1)
	s_or_b32 s9, s9, s16
	s_or_b32 exec_lo, exec_lo, s13
	v_mov_b32_e32 v5, s15
	s_and_saveexec_b32 s13, s9
	s_cbranch_execnz .LBB70_67
	s_branch .LBB70_68
.LBB70_158:                             ;   in Loop: Header=BB70_57 Depth=1
	v_bfe_u32 v8, v9, 20, 1
	s_mov_b32 s9, exec_lo
	s_delay_alu instid0(VALU_DEP_1) | instskip(NEXT) | instid1(VALU_DEP_1)
	v_add3_u32 v8, v9, v8, 0x487ffff
	v_lshrrev_b32_e32 v10, 20, v8
	s_or_saveexec_b32 s13, s13
                                        ; implicit-def: $sgpr15
	s_delay_alu instid0(SALU_CYCLE_1)
	s_xor_b32 exec_lo, exec_lo, s13
	s_cbranch_execz .LBB70_72
.LBB70_159:                             ;   in Loop: Header=BB70_57 Depth=1
	v_add_f32_e64 v8, 0x46000000, |v9|
	s_and_not1_b32 s9, s9, exec_lo
	s_mov_b32 s15, 0
	s_delay_alu instid0(VALU_DEP_1) | instskip(NEXT) | instid1(VALU_DEP_1)
	v_and_b32_e32 v10, 0xff, v8
	v_cmp_ne_u32_e32 vcc_lo, 0, v10
	s_and_b32 s16, vcc_lo, exec_lo
	s_delay_alu instid0(SALU_CYCLE_1)
	s_or_b32 s9, s9, s16
	s_or_b32 exec_lo, exec_lo, s13
	v_mov_b32_e32 v8, s15
	s_and_saveexec_b32 s13, s9
	s_cbranch_execnz .LBB70_73
	s_branch .LBB70_74
.LBB70_160:                             ;   in Loop: Header=BB70_57 Depth=1
	v_bfe_u32 v2, v3, 20, 1
	s_mov_b32 s9, exec_lo
	s_delay_alu instid0(VALU_DEP_1) | instskip(NEXT) | instid1(VALU_DEP_1)
	v_add3_u32 v2, v3, v2, 0x487ffff
	v_lshrrev_b32_e32 v4, 20, v2
	s_or_saveexec_b32 s13, s13
                                        ; implicit-def: $sgpr15
	s_delay_alu instid0(SALU_CYCLE_1)
	s_xor_b32 exec_lo, exec_lo, s13
	s_cbranch_execz .LBB70_78
.LBB70_161:                             ;   in Loop: Header=BB70_57 Depth=1
	v_add_f32_e64 v2, 0x46000000, |v3|
	s_and_not1_b32 s9, s9, exec_lo
	s_mov_b32 s15, 0
	s_delay_alu instid0(VALU_DEP_1) | instskip(NEXT) | instid1(VALU_DEP_1)
	v_and_b32_e32 v4, 0xff, v2
	v_cmp_ne_u32_e32 vcc_lo, 0, v4
	s_and_b32 s16, vcc_lo, exec_lo
	s_delay_alu instid0(SALU_CYCLE_1)
	s_or_b32 s9, s9, s16
	s_or_b32 exec_lo, exec_lo, s13
	v_mov_b32_e32 v2, s15
	s_and_saveexec_b32 s13, s9
	s_cbranch_execnz .LBB70_79
	s_branch .LBB70_80
.LBB70_162:                             ;   in Loop: Header=BB70_57 Depth=1
	v_bfe_u32 v8, v12, 20, 1
	s_mov_b32 s13, exec_lo
	s_delay_alu instid0(VALU_DEP_1) | instskip(NEXT) | instid1(VALU_DEP_1)
	v_add3_u32 v8, v12, v8, 0x487ffff
	v_lshrrev_b32_e32 v13, 20, v8
	s_or_saveexec_b32 s15, s15
                                        ; implicit-def: $sgpr16
	s_delay_alu instid0(SALU_CYCLE_1)
	s_xor_b32 exec_lo, exec_lo, s15
	s_cbranch_execz .LBB70_85
.LBB70_163:                             ;   in Loop: Header=BB70_57 Depth=1
	v_add_f32_e64 v8, 0x46000000, |v12|
	s_and_not1_b32 s13, s13, exec_lo
	s_mov_b32 s16, 0
	s_delay_alu instid0(VALU_DEP_1) | instskip(NEXT) | instid1(VALU_DEP_1)
	v_and_b32_e32 v13, 0xff, v8
	v_cmp_ne_u32_e32 vcc_lo, 0, v13
	s_and_b32 s17, vcc_lo, exec_lo
	s_delay_alu instid0(SALU_CYCLE_1)
	s_or_b32 s13, s13, s17
	s_or_b32 exec_lo, exec_lo, s15
	v_mov_b32_e32 v8, s16
	s_and_saveexec_b32 s15, s13
	s_cbranch_execnz .LBB70_86
	s_branch .LBB70_87
.LBB70_164:                             ;   in Loop: Header=BB70_57 Depth=1
	v_bfe_u32 v7, v11, 20, 1
	s_mov_b32 s13, exec_lo
	s_delay_alu instid0(VALU_DEP_1) | instskip(NEXT) | instid1(VALU_DEP_1)
	v_add3_u32 v7, v11, v7, 0x487ffff
	v_lshrrev_b32_e32 v12, 20, v7
	s_or_saveexec_b32 s15, s15
                                        ; implicit-def: $sgpr16
	s_delay_alu instid0(SALU_CYCLE_1)
	s_xor_b32 exec_lo, exec_lo, s15
	s_cbranch_execz .LBB70_91
.LBB70_165:                             ;   in Loop: Header=BB70_57 Depth=1
	v_add_f32_e64 v7, 0x46000000, |v11|
	s_and_not1_b32 s13, s13, exec_lo
	s_mov_b32 s16, 0
	s_delay_alu instid0(VALU_DEP_1) | instskip(NEXT) | instid1(VALU_DEP_1)
	v_and_b32_e32 v12, 0xff, v7
	v_cmp_ne_u32_e32 vcc_lo, 0, v12
	s_and_b32 s17, vcc_lo, exec_lo
	s_delay_alu instid0(SALU_CYCLE_1)
	s_or_b32 s13, s13, s17
	s_or_b32 exec_lo, exec_lo, s15
	v_mov_b32_e32 v7, s16
	s_and_saveexec_b32 s15, s13
	s_cbranch_execnz .LBB70_92
	s_branch .LBB70_93
.LBB70_166:                             ;   in Loop: Header=BB70_57 Depth=1
	v_bfe_u32 v10, v11, 20, 1
	s_mov_b32 s13, exec_lo
	s_delay_alu instid0(VALU_DEP_1) | instskip(NEXT) | instid1(VALU_DEP_1)
	v_add3_u32 v10, v11, v10, 0x487ffff
	v_lshrrev_b32_e32 v12, 20, v10
	s_or_saveexec_b32 s15, s15
                                        ; implicit-def: $sgpr16
	s_delay_alu instid0(SALU_CYCLE_1)
	s_xor_b32 exec_lo, exec_lo, s15
	s_cbranch_execz .LBB70_97
.LBB70_167:                             ;   in Loop: Header=BB70_57 Depth=1
	v_add_f32_e64 v10, 0x46000000, |v11|
	s_and_not1_b32 s13, s13, exec_lo
	s_mov_b32 s16, 0
	s_delay_alu instid0(VALU_DEP_1) | instskip(NEXT) | instid1(VALU_DEP_1)
	v_and_b32_e32 v12, 0xff, v10
	v_cmp_ne_u32_e32 vcc_lo, 0, v12
	s_and_b32 s17, vcc_lo, exec_lo
	s_delay_alu instid0(SALU_CYCLE_1)
	s_or_b32 s13, s13, s17
	s_or_b32 exec_lo, exec_lo, s15
	v_mov_b32_e32 v10, s16
	s_and_saveexec_b32 s15, s13
	s_cbranch_execnz .LBB70_98
	s_branch .LBB70_99
.LBB70_168:                             ;   in Loop: Header=BB70_57 Depth=1
	v_bfe_u32 v4, v5, 20, 1
	s_mov_b32 s13, exec_lo
	s_delay_alu instid0(VALU_DEP_1) | instskip(NEXT) | instid1(VALU_DEP_1)
	v_add3_u32 v4, v5, v4, 0x487ffff
	v_lshrrev_b32_e32 v6, 20, v4
	s_or_saveexec_b32 s15, s15
                                        ; implicit-def: $sgpr16
	s_delay_alu instid0(SALU_CYCLE_1)
	s_xor_b32 exec_lo, exec_lo, s15
	s_cbranch_execz .LBB70_103
.LBB70_169:                             ;   in Loop: Header=BB70_57 Depth=1
	v_add_f32_e64 v4, 0x46000000, |v5|
	s_and_not1_b32 s13, s13, exec_lo
	s_mov_b32 s16, 0
	s_delay_alu instid0(VALU_DEP_1) | instskip(NEXT) | instid1(VALU_DEP_1)
	v_and_b32_e32 v6, 0xff, v4
	v_cmp_ne_u32_e32 vcc_lo, 0, v6
	s_and_b32 s17, vcc_lo, exec_lo
	s_delay_alu instid0(SALU_CYCLE_1)
	s_or_b32 s13, s13, s17
	s_or_b32 exec_lo, exec_lo, s15
	v_mov_b32_e32 v4, s16
	s_and_saveexec_b32 s15, s13
	s_cbranch_execnz .LBB70_104
	s_branch .LBB70_105
.LBB70_170:                             ;   in Loop: Header=BB70_57 Depth=1
	v_bfe_u32 v9, v13, 20, 1
	s_mov_b32 s15, exec_lo
	s_delay_alu instid0(VALU_DEP_1) | instskip(NEXT) | instid1(VALU_DEP_1)
	v_add3_u32 v9, v13, v9, 0x487ffff
	v_lshrrev_b32_e32 v14, 20, v9
	s_or_saveexec_b32 s16, s16
                                        ; implicit-def: $sgpr17
	s_delay_alu instid0(SALU_CYCLE_1)
	s_xor_b32 exec_lo, exec_lo, s16
	s_cbranch_execz .LBB70_110
.LBB70_171:                             ;   in Loop: Header=BB70_57 Depth=1
	v_add_f32_e64 v9, 0x46000000, |v13|
	s_and_not1_b32 s15, s15, exec_lo
	s_mov_b32 s17, 0
	s_delay_alu instid0(VALU_DEP_1) | instskip(NEXT) | instid1(VALU_DEP_1)
	v_and_b32_e32 v14, 0xff, v9
	v_cmp_ne_u32_e32 vcc_lo, 0, v14
	s_and_b32 s18, vcc_lo, exec_lo
	s_delay_alu instid0(SALU_CYCLE_1)
	s_or_b32 s15, s15, s18
	s_or_b32 exec_lo, exec_lo, s16
	v_mov_b32_e32 v9, s17
	s_and_saveexec_b32 s16, s15
	s_cbranch_execnz .LBB70_111
	s_branch .LBB70_112
.LBB70_172:                             ;   in Loop: Header=BB70_57 Depth=1
	v_bfe_u32 v8, v12, 20, 1
	s_mov_b32 s15, exec_lo
	s_delay_alu instid0(VALU_DEP_1) | instskip(NEXT) | instid1(VALU_DEP_1)
	v_add3_u32 v8, v12, v8, 0x487ffff
	v_lshrrev_b32_e32 v13, 20, v8
	s_or_saveexec_b32 s16, s16
                                        ; implicit-def: $sgpr17
	s_delay_alu instid0(SALU_CYCLE_1)
	s_xor_b32 exec_lo, exec_lo, s16
	s_cbranch_execz .LBB70_116
.LBB70_173:                             ;   in Loop: Header=BB70_57 Depth=1
	v_add_f32_e64 v8, 0x46000000, |v12|
	s_and_not1_b32 s15, s15, exec_lo
	s_mov_b32 s17, 0
	s_delay_alu instid0(VALU_DEP_1) | instskip(NEXT) | instid1(VALU_DEP_1)
	v_and_b32_e32 v13, 0xff, v8
	v_cmp_ne_u32_e32 vcc_lo, 0, v13
	s_and_b32 s18, vcc_lo, exec_lo
	s_delay_alu instid0(SALU_CYCLE_1)
	s_or_b32 s15, s15, s18
	s_or_b32 exec_lo, exec_lo, s16
	v_mov_b32_e32 v8, s17
	s_and_saveexec_b32 s16, s15
	s_cbranch_execnz .LBB70_117
	s_branch .LBB70_118
.LBB70_174:                             ;   in Loop: Header=BB70_57 Depth=1
	v_bfe_u32 v11, v12, 20, 1
	s_mov_b32 s15, exec_lo
	s_delay_alu instid0(VALU_DEP_1) | instskip(NEXT) | instid1(VALU_DEP_1)
	v_add3_u32 v11, v12, v11, 0x487ffff
	v_lshrrev_b32_e32 v13, 20, v11
	s_or_saveexec_b32 s16, s16
                                        ; implicit-def: $sgpr17
	s_delay_alu instid0(SALU_CYCLE_1)
	s_xor_b32 exec_lo, exec_lo, s16
	s_cbranch_execz .LBB70_122
.LBB70_175:                             ;   in Loop: Header=BB70_57 Depth=1
	v_add_f32_e64 v11, 0x46000000, |v12|
	s_and_not1_b32 s15, s15, exec_lo
	s_mov_b32 s17, 0
	s_delay_alu instid0(VALU_DEP_1) | instskip(NEXT) | instid1(VALU_DEP_1)
	v_and_b32_e32 v13, 0xff, v11
	v_cmp_ne_u32_e32 vcc_lo, 0, v13
	s_and_b32 s18, vcc_lo, exec_lo
	s_delay_alu instid0(SALU_CYCLE_1)
	s_or_b32 s15, s15, s18
	s_or_b32 exec_lo, exec_lo, s16
	v_mov_b32_e32 v11, s17
	s_and_saveexec_b32 s16, s15
	s_cbranch_execnz .LBB70_123
	s_branch .LBB70_124
.LBB70_176:                             ;   in Loop: Header=BB70_57 Depth=1
	v_bfe_u32 v5, v6, 20, 1
	s_mov_b32 s15, exec_lo
	s_delay_alu instid0(VALU_DEP_1) | instskip(NEXT) | instid1(VALU_DEP_1)
	v_add3_u32 v5, v6, v5, 0x487ffff
	v_lshrrev_b32_e32 v7, 20, v5
	s_or_saveexec_b32 s16, s16
                                        ; implicit-def: $sgpr17
	s_delay_alu instid0(SALU_CYCLE_1)
	s_xor_b32 exec_lo, exec_lo, s16
	s_cbranch_execz .LBB70_128
.LBB70_177:                             ;   in Loop: Header=BB70_57 Depth=1
	v_add_f32_e64 v5, 0x46000000, |v6|
	s_and_not1_b32 s15, s15, exec_lo
	s_mov_b32 s17, 0
	s_delay_alu instid0(VALU_DEP_1) | instskip(NEXT) | instid1(VALU_DEP_1)
	v_and_b32_e32 v7, 0xff, v5
	v_cmp_ne_u32_e32 vcc_lo, 0, v7
	s_and_b32 s18, vcc_lo, exec_lo
	s_delay_alu instid0(SALU_CYCLE_1)
	s_or_b32 s15, s15, s18
	s_or_b32 exec_lo, exec_lo, s16
	v_mov_b32_e32 v5, s17
	s_and_saveexec_b32 s16, s15
	s_cbranch_execnz .LBB70_129
	s_branch .LBB70_130
.LBB70_178:                             ;   in Loop: Header=BB70_57 Depth=1
	v_bfe_u32 v6, v11, 20, 1
	s_mov_b32 s16, exec_lo
	s_delay_alu instid0(VALU_DEP_1) | instskip(NEXT) | instid1(VALU_DEP_1)
	v_add3_u32 v6, v11, v6, 0x487ffff
	v_lshrrev_b32_e32 v12, 20, v6
	s_or_saveexec_b32 s17, s17
                                        ; implicit-def: $sgpr18
	s_delay_alu instid0(SALU_CYCLE_1)
	s_xor_b32 exec_lo, exec_lo, s17
	s_cbranch_execz .LBB70_135
.LBB70_179:                             ;   in Loop: Header=BB70_57 Depth=1
	v_add_f32_e64 v6, 0x46000000, |v11|
	s_and_not1_b32 s16, s16, exec_lo
	s_mov_b32 s18, 0
	s_delay_alu instid0(VALU_DEP_1) | instskip(NEXT) | instid1(VALU_DEP_1)
	v_and_b32_e32 v12, 0xff, v6
	v_cmp_ne_u32_e32 vcc_lo, 0, v12
	s_and_b32 s19, vcc_lo, exec_lo
	s_delay_alu instid0(SALU_CYCLE_1)
	s_or_b32 s16, s16, s19
	s_or_b32 exec_lo, exec_lo, s17
	v_mov_b32_e32 v6, s18
	s_and_saveexec_b32 s17, s16
	s_cbranch_execnz .LBB70_136
	s_branch .LBB70_137
.LBB70_180:                             ;   in Loop: Header=BB70_57 Depth=1
	v_bfe_u32 v7, v10, 20, 1
	s_mov_b32 s16, exec_lo
	s_delay_alu instid0(VALU_DEP_1) | instskip(NEXT) | instid1(VALU_DEP_1)
	v_add3_u32 v7, v10, v7, 0x487ffff
	v_lshrrev_b32_e32 v11, 20, v7
	s_or_saveexec_b32 s17, s17
                                        ; implicit-def: $sgpr18
	s_delay_alu instid0(SALU_CYCLE_1)
	s_xor_b32 exec_lo, exec_lo, s17
	s_cbranch_execz .LBB70_141
.LBB70_181:                             ;   in Loop: Header=BB70_57 Depth=1
	v_add_f32_e64 v7, 0x46000000, |v10|
	s_and_not1_b32 s16, s16, exec_lo
	s_mov_b32 s18, 0
	s_delay_alu instid0(VALU_DEP_1) | instskip(NEXT) | instid1(VALU_DEP_1)
	v_and_b32_e32 v11, 0xff, v7
	v_cmp_ne_u32_e32 vcc_lo, 0, v11
	s_and_b32 s19, vcc_lo, exec_lo
	s_delay_alu instid0(SALU_CYCLE_1)
	s_or_b32 s16, s16, s19
	s_or_b32 exec_lo, exec_lo, s17
	v_mov_b32_e32 v7, s18
	s_and_saveexec_b32 s17, s16
	s_cbranch_execnz .LBB70_142
	s_branch .LBB70_143
.LBB70_182:                             ;   in Loop: Header=BB70_57 Depth=1
	v_bfe_u32 v9, v10, 20, 1
	s_mov_b32 s16, exec_lo
	s_delay_alu instid0(VALU_DEP_1) | instskip(NEXT) | instid1(VALU_DEP_1)
	v_add3_u32 v9, v10, v9, 0x487ffff
	v_lshrrev_b32_e32 v11, 20, v9
	s_or_saveexec_b32 s17, s17
                                        ; implicit-def: $sgpr18
	s_delay_alu instid0(SALU_CYCLE_1)
	s_xor_b32 exec_lo, exec_lo, s17
	s_cbranch_execz .LBB70_147
.LBB70_183:                             ;   in Loop: Header=BB70_57 Depth=1
	v_add_f32_e64 v9, 0x46000000, |v10|
	s_and_not1_b32 s16, s16, exec_lo
	s_mov_b32 s18, 0
	s_delay_alu instid0(VALU_DEP_1) | instskip(NEXT) | instid1(VALU_DEP_1)
	v_and_b32_e32 v11, 0xff, v9
	v_cmp_ne_u32_e32 vcc_lo, 0, v11
	s_and_b32 s19, vcc_lo, exec_lo
	s_delay_alu instid0(SALU_CYCLE_1)
	s_or_b32 s16, s16, s19
	s_or_b32 exec_lo, exec_lo, s17
	v_mov_b32_e32 v9, s18
	s_and_saveexec_b32 s17, s16
	s_cbranch_execnz .LBB70_148
	s_branch .LBB70_149
.LBB70_184:                             ;   in Loop: Header=BB70_57 Depth=1
	v_bfe_u32 v3, v4, 20, 1
	s_mov_b32 s16, exec_lo
	s_delay_alu instid0(VALU_DEP_1) | instskip(NEXT) | instid1(VALU_DEP_1)
	v_add3_u32 v3, v4, v3, 0x487ffff
	v_lshrrev_b32_e32 v5, 20, v3
	s_or_saveexec_b32 s17, s17
                                        ; implicit-def: $sgpr18
	s_delay_alu instid0(SALU_CYCLE_1)
	s_xor_b32 exec_lo, exec_lo, s17
	s_cbranch_execz .LBB70_153
.LBB70_185:                             ;   in Loop: Header=BB70_57 Depth=1
	v_add_f32_e64 v3, 0x46000000, |v4|
	s_and_not1_b32 s16, s16, exec_lo
	s_mov_b32 s18, 0
	s_delay_alu instid0(VALU_DEP_1) | instskip(NEXT) | instid1(VALU_DEP_1)
	v_and_b32_e32 v5, 0xff, v3
	v_cmp_ne_u32_e32 vcc_lo, 0, v5
	s_and_b32 s19, vcc_lo, exec_lo
	s_delay_alu instid0(SALU_CYCLE_1)
	s_or_b32 s16, s16, s19
	s_or_b32 exec_lo, exec_lo, s17
	v_mov_b32_e32 v3, s18
	s_and_saveexec_b32 s17, s16
	s_cbranch_execz .LBB70_52
.LBB70_186:                             ;   in Loop: Header=BB70_57 Depth=1
	v_lshrrev_b32_e32 v3, 24, v4
	s_delay_alu instid0(VALU_DEP_1)
	v_and_or_b32 v3, 0x80, v3, v5
	s_branch .LBB70_52
.LBB70_187:
	s_nop 0
	s_sendmsg sendmsg(MSG_DEALLOC_VGPRS)
	s_endpgm
	.section	.rodata,"a",@progbits
	.p2align	6, 0x0
	.amdhsa_kernel _ZN4vllm31rms_norm_per_block_quant_kernelIN3c108BFloat16ENS1_15Float8_e4m3fnuzELb1ELb0ELi128EEEvPT0_PfPKT_S9_PKffiiPS7_l
		.amdhsa_group_segment_fixed_size 4228
		.amdhsa_private_segment_fixed_size 0
		.amdhsa_kernarg_size 328
		.amdhsa_user_sgpr_count 15
		.amdhsa_user_sgpr_dispatch_ptr 0
		.amdhsa_user_sgpr_queue_ptr 0
		.amdhsa_user_sgpr_kernarg_segment_ptr 1
		.amdhsa_user_sgpr_dispatch_id 0
		.amdhsa_user_sgpr_private_segment_size 0
		.amdhsa_wavefront_size32 1
		.amdhsa_uses_dynamic_stack 0
		.amdhsa_enable_private_segment 0
		.amdhsa_system_sgpr_workgroup_id_x 1
		.amdhsa_system_sgpr_workgroup_id_y 0
		.amdhsa_system_sgpr_workgroup_id_z 0
		.amdhsa_system_sgpr_workgroup_info 0
		.amdhsa_system_vgpr_workitem_id 0
		.amdhsa_next_free_vgpr 54
		.amdhsa_next_free_sgpr 41
		.amdhsa_reserve_vcc 1
		.amdhsa_float_round_mode_32 0
		.amdhsa_float_round_mode_16_64 0
		.amdhsa_float_denorm_mode_32 3
		.amdhsa_float_denorm_mode_16_64 3
		.amdhsa_dx10_clamp 1
		.amdhsa_ieee_mode 1
		.amdhsa_fp16_overflow 0
		.amdhsa_workgroup_processor_mode 1
		.amdhsa_memory_ordered 1
		.amdhsa_forward_progress 0
		.amdhsa_shared_vgpr_count 0
		.amdhsa_exception_fp_ieee_invalid_op 0
		.amdhsa_exception_fp_denorm_src 0
		.amdhsa_exception_fp_ieee_div_zero 0
		.amdhsa_exception_fp_ieee_overflow 0
		.amdhsa_exception_fp_ieee_underflow 0
		.amdhsa_exception_fp_ieee_inexact 0
		.amdhsa_exception_int_div_zero 0
	.end_amdhsa_kernel
	.section	.text._ZN4vllm31rms_norm_per_block_quant_kernelIN3c108BFloat16ENS1_15Float8_e4m3fnuzELb1ELb0ELi128EEEvPT0_PfPKT_S9_PKffiiPS7_l,"axG",@progbits,_ZN4vllm31rms_norm_per_block_quant_kernelIN3c108BFloat16ENS1_15Float8_e4m3fnuzELb1ELb0ELi128EEEvPT0_PfPKT_S9_PKffiiPS7_l,comdat
.Lfunc_end70:
	.size	_ZN4vllm31rms_norm_per_block_quant_kernelIN3c108BFloat16ENS1_15Float8_e4m3fnuzELb1ELb0ELi128EEEvPT0_PfPKT_S9_PKffiiPS7_l, .Lfunc_end70-_ZN4vllm31rms_norm_per_block_quant_kernelIN3c108BFloat16ENS1_15Float8_e4m3fnuzELb1ELb0ELi128EEEvPT0_PfPKT_S9_PKffiiPS7_l
                                        ; -- End function
	.section	.AMDGPU.csdata,"",@progbits
; Kernel info:
; codeLenInByte = 16412
; NumSgprs: 43
; NumVgprs: 54
; ScratchSize: 0
; MemoryBound: 0
; FloatMode: 240
; IeeeMode: 1
; LDSByteSize: 4228 bytes/workgroup (compile time only)
; SGPRBlocks: 5
; VGPRBlocks: 6
; NumSGPRsForWavesPerEU: 43
; NumVGPRsForWavesPerEU: 54
; Occupancy: 16
; WaveLimiterHint : 0
; COMPUTE_PGM_RSRC2:SCRATCH_EN: 0
; COMPUTE_PGM_RSRC2:USER_SGPR: 15
; COMPUTE_PGM_RSRC2:TRAP_HANDLER: 0
; COMPUTE_PGM_RSRC2:TGID_X_EN: 1
; COMPUTE_PGM_RSRC2:TGID_Y_EN: 0
; COMPUTE_PGM_RSRC2:TGID_Z_EN: 0
; COMPUTE_PGM_RSRC2:TIDIG_COMP_CNT: 0
	.section	.text._ZN4vllm31rms_norm_per_block_quant_kernelIN3c108BFloat16EaLb1ELb0ELi128EEEvPT0_PfPKT_S8_PKffiiPS6_l,"axG",@progbits,_ZN4vllm31rms_norm_per_block_quant_kernelIN3c108BFloat16EaLb1ELb0ELi128EEEvPT0_PfPKT_S8_PKffiiPS6_l,comdat
	.protected	_ZN4vllm31rms_norm_per_block_quant_kernelIN3c108BFloat16EaLb1ELb0ELi128EEEvPT0_PfPKT_S8_PKffiiPS6_l ; -- Begin function _ZN4vllm31rms_norm_per_block_quant_kernelIN3c108BFloat16EaLb1ELb0ELi128EEEvPT0_PfPKT_S8_PKffiiPS6_l
	.globl	_ZN4vllm31rms_norm_per_block_quant_kernelIN3c108BFloat16EaLb1ELb0ELi128EEEvPT0_PfPKT_S8_PKffiiPS6_l
	.p2align	8
	.type	_ZN4vllm31rms_norm_per_block_quant_kernelIN3c108BFloat16EaLb1ELb0ELi128EEEvPT0_PfPKT_S8_PKffiiPS6_l,@function
_ZN4vllm31rms_norm_per_block_quant_kernelIN3c108BFloat16EaLb1ELb0ELi128EEEvPT0_PfPKT_S8_PKffiiPS6_l: ; @_ZN4vllm31rms_norm_per_block_quant_kernelIN3c108BFloat16EaLb1ELb0ELi128EEEvPT0_PfPKT_S8_PKffiiPS6_l
; %bb.0:
	s_clause 0x2
	s_load_b128 s[16:19], s[0:1], 0x28
	s_load_b256 s[4:11], s[0:1], 0x0
	s_load_b64 s[26:27], s[0:1], 0x38
	v_mov_b32_e32 v6, 0
	s_waitcnt lgkmcnt(0)
	s_ashr_i32 s3, s18, 31
	s_mul_hi_u32 s12, s18, s15
	s_mul_i32 s3, s3, s15
	s_ashr_i32 s21, s17, 31
	s_mul_i32 s2, s18, s15
	s_add_i32 s3, s12, s3
	s_mul_hi_u32 s13, s17, s15
	s_mul_i32 s12, s21, s15
	s_lshl_b64 s[24:25], s[2:3], 1
	s_mul_i32 s18, s17, s15
	s_add_i32 s19, s13, s12
	s_add_u32 s14, s8, s24
	s_addc_u32 s30, s9, s25
	s_lshl_b64 s[28:29], s[18:19], 1
	s_mov_b32 s3, 0
	s_add_u32 s31, s26, s28
	s_addc_u32 s33, s27, s29
	s_ashr_i32 s12, s17, 2
	s_add_u32 s22, s0, 0x48
	v_cmp_gt_u32_e64 s2, s12, v0
	s_mov_b32 s20, s17
	s_addc_u32 s23, s1, 0
	s_delay_alu instid0(VALU_DEP_1)
	s_and_saveexec_b32 s13, s2
	s_cbranch_execz .LBB71_10
; %bb.1:
	s_load_b32 s17, s[22:23], 0x0
	v_dual_mov_b32 v2, 0 :: v_dual_mov_b32 v1, v0
	s_waitcnt lgkmcnt(0)
	s_cmp_lt_u32 s15, s17
	s_cselect_b32 s17, 12, 18
	s_delay_alu instid0(SALU_CYCLE_1)
	s_add_u32 s34, s22, s17
	s_addc_u32 s35, s23, 0
                                        ; implicit-def: $sgpr17
	global_load_u16 v7, v2, s[34:35]
	s_waitcnt vmcnt(0)
	v_lshlrev_b32_e32 v9, 1, v7
	v_mul_lo_u32 v8, v7, 3
	v_add_nc_u32_e32 v10, v7, v7
	v_mov_b32_e32 v6, v2
	s_branch .LBB71_5
.LBB71_2:                               ;   in Loop: Header=BB71_5 Depth=1
	s_or_b32 exec_lo, exec_lo, s36
	s_delay_alu instid0(SALU_CYCLE_1)
	s_or_not1_b32 s36, s37, exec_lo
.LBB71_3:                               ;   in Loop: Header=BB71_5 Depth=1
	s_or_b32 exec_lo, exec_lo, s35
	s_delay_alu instid0(SALU_CYCLE_1) | instskip(SKIP_1) | instid1(SALU_CYCLE_1)
	s_and_not1_b32 s17, s17, exec_lo
	s_and_b32 s35, s36, exec_lo
	s_or_b32 s17, s17, s35
.LBB71_4:                               ;   in Loop: Header=BB71_5 Depth=1
	s_or_b32 exec_lo, exec_lo, s34
	s_delay_alu instid0(SALU_CYCLE_1) | instskip(NEXT) | instid1(SALU_CYCLE_1)
	s_and_b32 s34, exec_lo, s17
	s_or_b32 s3, s34, s3
	s_delay_alu instid0(SALU_CYCLE_1)
	s_and_not1_b32 exec_lo, exec_lo, s3
	s_cbranch_execz .LBB71_9
.LBB71_5:                               ; =>This Inner Loop Header: Depth=1
	v_lshlrev_b64 v[3:4], 3, v[1:2]
	s_or_b32 s17, s17, exec_lo
	s_mov_b32 s34, exec_lo
	s_delay_alu instid0(VALU_DEP_1) | instskip(NEXT) | instid1(VALU_DEP_2)
	v_add_co_u32 v11, vcc_lo, s14, v3
	v_add_co_ci_u32_e32 v12, vcc_lo, s30, v4, vcc_lo
	v_add_co_u32 v3, vcc_lo, s31, v3
	v_add_co_ci_u32_e32 v4, vcc_lo, s33, v4, vcc_lo
	global_load_b64 v[11:12], v[11:12], off
	global_load_b64 v[3:4], v[3:4], off
	s_waitcnt vmcnt(1)
	v_lshlrev_b32_e32 v5, 16, v11
	s_waitcnt vmcnt(0)
	v_lshlrev_b32_e32 v13, 16, v3
	v_and_b32_e32 v14, 0xffff0000, v11
	v_alignbit_b32 v11, v12, v11, 16
	s_delay_alu instid0(VALU_DEP_3) | instskip(NEXT) | instid1(VALU_DEP_1)
	v_add_f32_e32 v5, v5, v13
	v_dual_fmac_f32 v6, v5, v5 :: v_dual_and_b32 v5, 0xffff0000, v12
	v_and_b32_e32 v15, 0xffff0000, v3
	v_alignbit_b32 v3, v4, v3, 16
	s_delay_alu instid0(VALU_DEP_1) | instskip(SKIP_1) | instid1(VALU_DEP_1)
	v_and_b32_e32 v3, 0xffff0000, v3
	v_and_b32_e32 v4, 0xffff0000, v4
	v_dual_add_f32 v4, v5, v4 :: v_dual_and_b32 v11, 0xffff0000, v11
	v_add_f32_e32 v13, v14, v15
	s_delay_alu instid0(VALU_DEP_1) | instskip(NEXT) | instid1(VALU_DEP_1)
	v_dual_add_f32 v3, v11, v3 :: v_dual_fmac_f32 v6, v13, v13
	v_fmac_f32_e32 v6, v3, v3
	s_delay_alu instid0(VALU_DEP_1) | instskip(NEXT) | instid1(VALU_DEP_1)
	v_dual_fmac_f32 v6, v4, v4 :: v_dual_add_nc_u32 v3, v1, v7
	v_cmpx_gt_u32_e64 s12, v3
	s_cbranch_execz .LBB71_4
; %bb.6:                                ;   in Loop: Header=BB71_5 Depth=1
	v_mov_b32_e32 v4, v2
	s_mov_b32 s36, -1
	s_mov_b32 s35, exec_lo
	s_delay_alu instid0(VALU_DEP_1) | instskip(NEXT) | instid1(VALU_DEP_1)
	v_lshlrev_b64 v[4:5], 3, v[3:4]
	v_add_co_u32 v11, vcc_lo, s14, v4
	s_delay_alu instid0(VALU_DEP_2)
	v_add_co_ci_u32_e32 v12, vcc_lo, s30, v5, vcc_lo
	v_add_co_u32 v4, vcc_lo, s31, v4
	v_add_co_ci_u32_e32 v5, vcc_lo, s33, v5, vcc_lo
	global_load_b64 v[11:12], v[11:12], off
	global_load_b64 v[4:5], v[4:5], off
	s_waitcnt vmcnt(1)
	v_lshlrev_b32_e32 v13, 16, v11
	v_and_b32_e32 v15, 0xffff0000, v11
	v_alignbit_b32 v11, v12, v11, 16
	v_and_b32_e32 v12, 0xffff0000, v12
	s_waitcnt vmcnt(0)
	v_lshlrev_b32_e32 v14, 16, v4
	v_and_b32_e32 v16, 0xffff0000, v4
	v_alignbit_b32 v4, v5, v4, 16
	s_delay_alu instid0(VALU_DEP_1) | instskip(SKIP_1) | instid1(VALU_DEP_1)
	v_and_b32_e32 v4, 0xffff0000, v4
	v_and_b32_e32 v5, 0xffff0000, v5
	v_add_f32_e32 v5, v12, v5
	v_add_f32_e32 v13, v13, v14
	s_delay_alu instid0(VALU_DEP_1) | instskip(SKIP_1) | instid1(VALU_DEP_2)
	v_dual_fmac_f32 v6, v13, v13 :: v_dual_and_b32 v11, 0xffff0000, v11
	v_add_f32_e32 v14, v15, v16
	v_add_f32_e32 v4, v11, v4
	s_delay_alu instid0(VALU_DEP_2) | instskip(NEXT) | instid1(VALU_DEP_1)
	v_fmac_f32_e32 v6, v14, v14
	v_fmac_f32_e32 v6, v4, v4
	v_add_nc_u32_e32 v4, v9, v1
	s_delay_alu instid0(VALU_DEP_2) | instskip(NEXT) | instid1(VALU_DEP_2)
	v_fmac_f32_e32 v6, v5, v5
	v_cmpx_gt_u32_e64 s12, v4
	s_cbranch_execz .LBB71_3
; %bb.7:                                ;   in Loop: Header=BB71_5 Depth=1
	v_mov_b32_e32 v5, v2
	v_add_nc_u32_e32 v1, v8, v1
	s_mov_b32 s37, -1
	s_mov_b32 s36, exec_lo
	s_delay_alu instid0(VALU_DEP_2) | instskip(NEXT) | instid1(VALU_DEP_1)
	v_lshlrev_b64 v[4:5], 3, v[4:5]
	v_add_co_u32 v11, vcc_lo, s14, v4
	s_delay_alu instid0(VALU_DEP_2)
	v_add_co_ci_u32_e32 v12, vcc_lo, s30, v5, vcc_lo
	v_add_co_u32 v4, vcc_lo, s31, v4
	v_add_co_ci_u32_e32 v5, vcc_lo, s33, v5, vcc_lo
	global_load_b64 v[11:12], v[11:12], off
	global_load_b64 v[4:5], v[4:5], off
	s_waitcnt vmcnt(1)
	v_and_b32_e32 v15, 0xffff0000, v11
	s_waitcnt vmcnt(0)
	v_lshlrev_b32_e32 v14, 16, v4
	v_and_b32_e32 v16, 0xffff0000, v4
	v_lshlrev_b32_e32 v13, 16, v11
	v_alignbit_b32 v11, v12, v11, 16
	v_alignbit_b32 v4, v5, v4, 16
	s_delay_alu instid0(VALU_DEP_3) | instskip(NEXT) | instid1(VALU_DEP_1)
	v_dual_add_f32 v13, v13, v14 :: v_dual_and_b32 v12, 0xffff0000, v12
	v_fmac_f32_e32 v6, v13, v13
	s_delay_alu instid0(VALU_DEP_4) | instskip(NEXT) | instid1(VALU_DEP_1)
	v_dual_add_f32 v14, v15, v16 :: v_dual_and_b32 v11, 0xffff0000, v11
	v_dual_fmac_f32 v6, v14, v14 :: v_dual_and_b32 v5, 0xffff0000, v5
	s_delay_alu instid0(VALU_DEP_1) | instskip(NEXT) | instid1(VALU_DEP_1)
	v_dual_add_f32 v5, v12, v5 :: v_dual_and_b32 v4, 0xffff0000, v4
	v_add_f32_e32 v4, v11, v4
	s_delay_alu instid0(VALU_DEP_1) | instskip(NEXT) | instid1(VALU_DEP_1)
	v_fmac_f32_e32 v6, v4, v4
	v_fmac_f32_e32 v6, v5, v5
	v_cmpx_gt_u32_e64 s12, v1
	s_xor_b32 s36, exec_lo, s36
	s_cbranch_execz .LBB71_2
; %bb.8:                                ;   in Loop: Header=BB71_5 Depth=1
	v_lshlrev_b64 v[4:5], 3, v[1:2]
	s_delay_alu instid0(VALU_DEP_1) | instskip(NEXT) | instid1(VALU_DEP_2)
	v_add_co_u32 v11, vcc_lo, s14, v4
	v_add_co_ci_u32_e32 v12, vcc_lo, s30, v5, vcc_lo
	v_add_co_u32 v4, vcc_lo, s31, v4
	v_add_co_ci_u32_e32 v5, vcc_lo, s33, v5, vcc_lo
	global_load_b64 v[11:12], v[11:12], off
	global_load_b64 v[4:5], v[4:5], off
	s_waitcnt vmcnt(0)
	v_lshlrev_b32_e32 v13, 16, v4
	v_and_b32_e32 v14, 0xffff0000, v11
	v_alignbit_b32 v15, v5, v4, 16
	v_and_b32_e32 v4, 0xffff0000, v4
	v_lshlrev_b32_e32 v1, 16, v11
	v_alignbit_b32 v11, v12, v11, 16
	v_and_b32_e32 v12, 0xffff0000, v12
	s_delay_alu instid0(VALU_DEP_3) | instskip(NEXT) | instid1(VALU_DEP_1)
	v_dual_add_f32 v4, v14, v4 :: v_dual_add_f32 v1, v1, v13
	v_dual_fmac_f32 v6, v1, v1 :: v_dual_and_b32 v13, 0xffff0000, v15
	s_delay_alu instid0(VALU_DEP_4) | instskip(SKIP_1) | instid1(VALU_DEP_2)
	v_and_b32_e32 v11, 0xffff0000, v11
	v_add3_u32 v1, v10, v7, v3
	v_dual_fmac_f32 v6, v4, v4 :: v_dual_add_f32 v11, v11, v13
	v_and_b32_e32 v5, 0xffff0000, v5
	s_delay_alu instid0(VALU_DEP_3) | instskip(NEXT) | instid1(VALU_DEP_2)
	v_cmp_le_u32_e32 vcc_lo, s12, v1
	v_dual_fmac_f32 v6, v11, v11 :: v_dual_add_f32 v3, v12, v5
	s_or_not1_b32 s37, vcc_lo, exec_lo
	s_delay_alu instid0(VALU_DEP_1)
	v_fmac_f32_e32 v6, v3, v3
	s_branch .LBB71_2
.LBB71_9:
	s_or_b32 exec_lo, exec_lo, s3
.LBB71_10:
	s_delay_alu instid0(SALU_CYCLE_1) | instskip(SKIP_3) | instid1(VALU_DEP_2)
	s_or_b32 exec_lo, exec_lo, s13
	v_mbcnt_lo_u32_b32 v1, -1, 0
	s_load_b32 s3, s[22:23], 0xc
	v_and_b32_e32 v7, 0x3e0, v0
	v_cmp_ne_u32_e32 vcc_lo, 31, v1
	v_add_nc_u32_e32 v3, 1, v1
	v_add_co_ci_u32_e32 v2, vcc_lo, 0, v1, vcc_lo
	v_cmp_gt_u32_e32 vcc_lo, 30, v1
	s_delay_alu instid0(VALU_DEP_2)
	v_lshlrev_b32_e32 v2, 2, v2
	v_cndmask_b32_e64 v5, 0, 1, vcc_lo
	ds_bpermute_b32 v4, v2, v6
	s_waitcnt lgkmcnt(0)
	s_and_b32 s34, s3, 0xffff
	v_lshlrev_b32_e32 v5, 1, v5
	v_sub_nc_u32_e64 v12, s34, v7 clamp
	s_mov_b32 s3, exec_lo
	s_delay_alu instid0(VALU_DEP_1) | instskip(SKIP_2) | instid1(VALU_DEP_2)
	v_cmp_lt_u32_e32 vcc_lo, v3, v12
	v_add_f32_e32 v7, v6, v4
	v_add_lshl_u32 v4, v5, v1, 2
	v_cndmask_b32_e32 v7, v6, v7, vcc_lo
	v_cmp_gt_u32_e32 vcc_lo, 28, v1
	v_cndmask_b32_e64 v5, 0, 1, vcc_lo
	s_delay_alu instid0(VALU_DEP_1) | instskip(SKIP_2) | instid1(VALU_DEP_1)
	v_lshlrev_b32_e32 v8, 2, v5
	ds_bpermute_b32 v6, v4, v7
	v_add_nc_u32_e32 v5, 2, v1
	v_cmp_lt_u32_e32 vcc_lo, v5, v12
	s_waitcnt lgkmcnt(0)
	v_add_f32_e32 v9, v7, v6
	v_add_lshl_u32 v6, v8, v1, 2
	s_delay_alu instid0(VALU_DEP_2) | instskip(SKIP_3) | instid1(VALU_DEP_1)
	v_cndmask_b32_e32 v9, v7, v9, vcc_lo
	v_cmp_gt_u32_e32 vcc_lo, 24, v1
	ds_bpermute_b32 v8, v6, v9
	v_cndmask_b32_e64 v7, 0, 1, vcc_lo
	v_lshlrev_b32_e32 v10, 3, v7
	v_add_nc_u32_e32 v7, 4, v1
	s_delay_alu instid0(VALU_DEP_1) | instskip(SKIP_3) | instid1(VALU_DEP_2)
	v_cmp_lt_u32_e32 vcc_lo, v7, v12
	s_waitcnt lgkmcnt(0)
	v_add_f32_e32 v11, v9, v8
	v_add_lshl_u32 v8, v10, v1, 2
	v_cndmask_b32_e32 v11, v9, v11, vcc_lo
	v_cmp_gt_u32_e32 vcc_lo, 16, v1
	ds_bpermute_b32 v10, v8, v11
	v_cndmask_b32_e64 v9, 0, 1, vcc_lo
	s_delay_alu instid0(VALU_DEP_1) | instskip(SKIP_1) | instid1(VALU_DEP_1)
	v_lshlrev_b32_e32 v13, 4, v9
	v_add_nc_u32_e32 v9, 8, v1
	v_cmp_lt_u32_e32 vcc_lo, v9, v12
	s_waitcnt lgkmcnt(0)
	v_add_f32_e32 v14, v11, v10
	v_add_lshl_u32 v10, v13, v1, 2
	s_delay_alu instid0(VALU_DEP_2)
	v_cndmask_b32_e32 v13, v11, v14, vcc_lo
	v_add_nc_u32_e32 v11, 16, v1
	ds_bpermute_b32 v14, v10, v13
	v_cmp_lt_u32_e32 vcc_lo, v11, v12
	s_waitcnt lgkmcnt(0)
	v_add_f32_e32 v14, v13, v14
	s_delay_alu instid0(VALU_DEP_1)
	v_cndmask_b32_e32 v12, v13, v14, vcc_lo
	v_cmpx_eq_u32_e32 0, v1
	s_cbranch_execz .LBB71_12
; %bb.11:
	v_lshrrev_b32_e32 v13, 3, v0
	s_delay_alu instid0(VALU_DEP_1)
	v_and_b32_e32 v13, 0x7c, v13
	ds_store_b32 v13, v12 offset:4096
.LBB71_12:
	s_or_b32 exec_lo, exec_lo, s3
	s_delay_alu instid0(SALU_CYCLE_1)
	s_mov_b32 s3, exec_lo
	s_waitcnt lgkmcnt(0)
	s_barrier
	buffer_gl0_inv
	v_cmpx_gt_u32_e32 32, v0
	s_cbranch_execz .LBB71_14
; %bb.13:
	v_lshlrev_b32_e32 v1, 2, v1
	s_add_i32 s13, s34, 31
	s_delay_alu instid0(SALU_CYCLE_1) | instskip(NEXT) | instid1(SALU_CYCLE_1)
	s_lshr_b32 s13, s13, 5
	v_cmp_gt_u32_e32 vcc_lo, s13, v3
	ds_load_b32 v1, v1 offset:4096
	s_waitcnt lgkmcnt(0)
	ds_bpermute_b32 v2, v2, v1
	s_waitcnt lgkmcnt(0)
	v_add_f32_e32 v2, v1, v2
	s_delay_alu instid0(VALU_DEP_1) | instskip(SKIP_4) | instid1(VALU_DEP_1)
	v_cndmask_b32_e32 v1, v1, v2, vcc_lo
	v_cmp_gt_u32_e32 vcc_lo, s13, v5
	ds_bpermute_b32 v2, v4, v1
	s_waitcnt lgkmcnt(0)
	v_add_f32_e32 v2, v1, v2
	v_cndmask_b32_e32 v1, v1, v2, vcc_lo
	v_cmp_gt_u32_e32 vcc_lo, s13, v7
	ds_bpermute_b32 v2, v6, v1
	s_waitcnt lgkmcnt(0)
	v_add_f32_e32 v2, v1, v2
	s_delay_alu instid0(VALU_DEP_1) | instskip(SKIP_4) | instid1(VALU_DEP_1)
	v_cndmask_b32_e32 v1, v1, v2, vcc_lo
	v_cmp_gt_u32_e32 vcc_lo, s13, v9
	ds_bpermute_b32 v2, v8, v1
	s_waitcnt lgkmcnt(0)
	v_add_f32_e32 v2, v1, v2
	v_cndmask_b32_e32 v1, v1, v2, vcc_lo
	v_cmp_gt_u32_e32 vcc_lo, s13, v11
	ds_bpermute_b32 v2, v10, v1
	s_waitcnt lgkmcnt(0)
	v_add_f32_e32 v2, v1, v2
	s_delay_alu instid0(VALU_DEP_1)
	v_cndmask_b32_e32 v12, v1, v2, vcc_lo
.LBB71_14:
	s_or_b32 exec_lo, exec_lo, s3
	s_delay_alu instid0(SALU_CYCLE_1)
	s_mov_b32 s3, exec_lo
	v_cmpx_eq_u32_e32 0, v0
	s_cbranch_execz .LBB71_16
; %bb.15:
	v_cvt_f32_i32_e32 v1, s20
	s_delay_alu instid0(VALU_DEP_1) | instskip(SKIP_1) | instid1(VALU_DEP_2)
	v_div_scale_f32 v2, null, v1, v1, v12
	v_div_scale_f32 v5, vcc_lo, v12, v1, v12
	v_rcp_f32_e32 v3, v2
	s_waitcnt_depctr 0xfff
	v_fma_f32 v4, -v2, v3, 1.0
	s_delay_alu instid0(VALU_DEP_1) | instskip(NEXT) | instid1(VALU_DEP_1)
	v_fmac_f32_e32 v3, v4, v3
	v_mul_f32_e32 v4, v5, v3
	s_delay_alu instid0(VALU_DEP_1) | instskip(NEXT) | instid1(VALU_DEP_1)
	v_fma_f32 v6, -v2, v4, v5
	v_fmac_f32_e32 v4, v6, v3
	s_delay_alu instid0(VALU_DEP_1) | instskip(NEXT) | instid1(VALU_DEP_1)
	v_fma_f32 v2, -v2, v4, v5
	v_div_fmas_f32 v2, v2, v3, v4
	s_delay_alu instid0(VALU_DEP_1) | instskip(NEXT) | instid1(VALU_DEP_1)
	v_div_fixup_f32 v1, v2, v1, v12
	v_add_f32_e32 v1, s16, v1
	s_delay_alu instid0(VALU_DEP_1) | instskip(SKIP_1) | instid1(VALU_DEP_2)
	v_mul_f32_e32 v2, 0x4b800000, v1
	v_cmp_gt_f32_e32 vcc_lo, 0x800000, v1
	v_cndmask_b32_e32 v1, v1, v2, vcc_lo
	s_delay_alu instid0(VALU_DEP_1) | instskip(SKIP_2) | instid1(VALU_DEP_1)
	v_rsq_f32_e32 v1, v1
	s_waitcnt_depctr 0xfff
	v_mul_f32_e32 v2, 0x45800000, v1
	v_dual_cndmask_b32 v1, v1, v2 :: v_dual_mov_b32 v2, 0
	ds_store_b32 v2, v1 offset:4224
.LBB71_16:
	s_or_b32 exec_lo, exec_lo, s3
	s_ashr_i32 s3, s20, 31
	s_waitcnt lgkmcnt(0)
	s_lshr_b32 s3, s3, 25
	s_barrier
	s_add_i32 s3, s20, s3
	buffer_gl0_inv
	s_ashr_i32 s16, s3, 7
	s_ashr_i32 s3, s3, 31
	s_abs_i32 s13, s16
	s_delay_alu instid0(SALU_CYCLE_1) | instskip(SKIP_1) | instid1(VALU_DEP_1)
	v_cvt_f32_u32_e32 v1, s13
	s_sub_i32 s22, 0, s13
	v_rcp_iflag_f32_e32 v1, v1
	s_waitcnt_depctr 0xfff
	v_mul_f32_e32 v1, 0x4f7ffffe, v1
	s_delay_alu instid0(VALU_DEP_1) | instskip(NEXT) | instid1(VALU_DEP_1)
	v_cvt_u32_f32_e32 v1, v1
	v_readfirstlane_b32 s17, v1
	s_delay_alu instid0(VALU_DEP_1) | instskip(NEXT) | instid1(SALU_CYCLE_1)
	s_mul_i32 s22, s22, s17
	s_mul_hi_u32 s22, s17, s22
	s_delay_alu instid0(SALU_CYCLE_1) | instskip(NEXT) | instid1(SALU_CYCLE_1)
	s_add_i32 s17, s17, s22
	s_mul_hi_u32 s17, s34, s17
	s_delay_alu instid0(SALU_CYCLE_1) | instskip(SKIP_2) | instid1(SALU_CYCLE_1)
	s_mul_i32 s22, s17, s13
	s_add_i32 s23, s17, 1
	s_sub_i32 s22, s34, s22
	s_sub_i32 s35, s22, s13
	s_cmp_ge_u32 s22, s13
	s_cselect_b32 s17, s23, s17
	s_cselect_b32 s22, s35, s22
	s_add_i32 s23, s17, 1
	s_cmp_ge_u32 s22, s13
	s_cselect_b32 s13, s23, s17
	s_delay_alu instid0(SALU_CYCLE_1) | instskip(NEXT) | instid1(SALU_CYCLE_1)
	s_xor_b32 s13, s13, s3
	s_sub_i32 s22, s13, s3
	s_delay_alu instid0(SALU_CYCLE_1) | instskip(SKIP_3) | instid1(VALU_DEP_1)
	s_abs_i32 s3, s22
	s_ashr_i32 s23, s22, 31
	v_cvt_f32_u32_e32 v1, s3
	s_sub_i32 s13, 0, s3
	v_rcp_iflag_f32_e32 v1, v1
	s_waitcnt_depctr 0xfff
	v_mul_f32_e32 v1, 0x4f7ffffe, v1
	s_delay_alu instid0(VALU_DEP_1) | instskip(NEXT) | instid1(VALU_DEP_1)
	v_cvt_u32_f32_e32 v1, v1
	v_mul_lo_u32 v2, s13, v1
	s_ashr_i32 s13, s12, 31
	s_delay_alu instid0(VALU_DEP_1) | instskip(NEXT) | instid1(VALU_DEP_1)
	v_mul_hi_u32 v2, v1, v2
	v_add_nc_u32_e32 v1, v1, v2
	s_delay_alu instid0(VALU_DEP_1) | instskip(NEXT) | instid1(VALU_DEP_1)
	v_mul_hi_u32 v1, v0, v1
	v_mul_lo_u32 v2, v1, s3
	v_add_nc_u32_e32 v3, 1, v1
	s_delay_alu instid0(VALU_DEP_2) | instskip(NEXT) | instid1(VALU_DEP_1)
	v_sub_nc_u32_e32 v2, v0, v2
	v_subrev_nc_u32_e32 v4, s3, v2
	v_cmp_le_u32_e32 vcc_lo, s3, v2
	s_delay_alu instid0(VALU_DEP_2) | instskip(NEXT) | instid1(VALU_DEP_1)
	v_dual_cndmask_b32 v1, v1, v3 :: v_dual_cndmask_b32 v2, v2, v4
	v_dual_mov_b32 v4, 0 :: v_dual_add_nc_u32 v3, 1, v1
	s_delay_alu instid0(VALU_DEP_2) | instskip(SKIP_2) | instid1(VALU_DEP_1)
	v_cmp_le_u32_e32 vcc_lo, s3, v2
	ds_load_b32 v28, v4 offset:4224
	v_cndmask_b32_e32 v1, v1, v3, vcc_lo
	v_xor_b32_e32 v1, s23, v1
	s_delay_alu instid0(VALU_DEP_1) | instskip(NEXT) | instid1(VALU_DEP_1)
	v_subrev_nc_u32_e32 v1, s23, v1
	v_ashrrev_i32_e32 v2, 31, v1
	v_mul_lo_u32 v3, v1, s22
	s_delay_alu instid0(VALU_DEP_2) | instskip(NEXT) | instid1(VALU_DEP_2)
	v_lshlrev_b64 v[7:8], 5, v[1:2]
	v_sub_nc_u32_e32 v3, v0, v3
	s_delay_alu instid0(VALU_DEP_2) | instskip(NEXT) | instid1(VALU_DEP_3)
	v_add_co_u32 v5, vcc_lo, v7, 32
	v_add_co_ci_u32_e32 v6, vcc_lo, 0, v8, vcc_lo
	s_delay_alu instid0(VALU_DEP_1) | instskip(SKIP_4) | instid1(VALU_DEP_3)
	v_cmp_gt_i64_e32 vcc_lo, s[12:13], v[5:6]
	v_cndmask_b32_e32 v6, s13, v6, vcc_lo
	v_cndmask_b32_e32 v5, s12, v5, vcc_lo
	v_add_co_u32 v7, vcc_lo, v7, v3
	v_add_co_ci_u32_e32 v8, vcc_lo, 0, v8, vcc_lo
	v_ashrrev_i32_e32 v10, 31, v5
	v_mov_b32_e32 v9, v5
	s_mov_b32 s13, exec_lo
	s_delay_alu instid0(VALU_DEP_1)
	v_cmpx_lt_i64_e64 v[7:8], v[9:10]
	s_cbranch_execz .LBB71_26
; %bb.17:
	v_lshlrev_b64 v[13:14], 8, v[1:2]
	v_lshlrev_b64 v[11:12], 3, v[3:4]
	s_mul_i32 s3, s22, 24
	s_mul_hi_i32 s17, s22, 24
	s_add_u32 s35, s8, s3
	s_delay_alu instid0(VALU_DEP_2) | instskip(SKIP_2) | instid1(VALU_DEP_2)
	v_add_co_u32 v4, vcc_lo, s24, v13
	v_add_co_ci_u32_e32 v15, vcc_lo, s25, v14, vcc_lo
	s_addc_u32 s24, s9, s17
	v_add_co_u32 v17, vcc_lo, s35, v4
	s_lshl_b64 s[36:37], s[22:23], 4
	s_delay_alu instid0(VALU_DEP_2)
	v_add_co_ci_u32_e32 v18, vcc_lo, s24, v15, vcc_lo
	s_lshl_b64 s[24:25], s[22:23], 5
	s_add_u32 s35, s8, s36
	s_addc_u32 s40, s9, s37
	s_lshl_b64 s[38:39], s[22:23], 3
	v_add_co_u32 v19, vcc_lo, s35, v4
	s_add_u32 s35, s8, s38
	v_add_co_ci_u32_e32 v20, vcc_lo, s40, v15, vcc_lo
	s_addc_u32 s40, s9, s39
	v_add_co_u32 v21, vcc_lo, s35, v4
	v_add_co_ci_u32_e32 v22, vcc_lo, s40, v15, vcc_lo
	v_add_co_u32 v23, vcc_lo, s8, v4
	s_add_u32 s8, s10, s3
	v_add_co_ci_u32_e32 v24, vcc_lo, s9, v15, vcc_lo
	s_addc_u32 s9, s11, s17
	v_add_co_u32 v25, vcc_lo, s8, v13
	s_add_u32 s8, s10, s36
	v_add_co_ci_u32_e32 v26, vcc_lo, s9, v14, vcc_lo
	s_addc_u32 s9, s11, s37
	;; [unrolled: 4-line block ×3, first 2 shown]
	v_add_co_u32 v30, vcc_lo, s8, v13
	v_add_co_ci_u32_e32 v31, vcc_lo, s9, v14, vcc_lo
	v_add_co_u32 v32, vcc_lo, s10, v13
	v_add_co_ci_u32_e32 v33, vcc_lo, s11, v14, vcc_lo
	;; [unrolled: 2-line block ×3, first 2 shown]
	s_add_u32 s3, s26, s3
	s_addc_u32 s8, s27, s17
	s_delay_alu instid0(VALU_DEP_2)
	v_add_co_u32 v34, vcc_lo, s3, v4
	s_add_u32 s3, s26, s36
	v_add_co_ci_u32_e32 v35, vcc_lo, s8, v13, vcc_lo
	s_addc_u32 s8, s27, s37
	v_add_co_u32 v36, vcc_lo, s3, v4
	s_add_u32 s3, s26, s38
	v_add_co_ci_u32_e32 v37, vcc_lo, s8, v13, vcc_lo
	s_addc_u32 s8, s27, s39
	v_add_co_u32 v38, vcc_lo, s3, v4
	v_add_co_ci_u32_e32 v39, vcc_lo, s8, v13, vcc_lo
	v_add_co_u32 v40, vcc_lo, s26, v4
	v_add_co_ci_u32_e32 v41, vcc_lo, s27, v13, vcc_lo
	v_mov_b32_e32 v14, v8
	v_dual_mov_b32 v4, 0 :: v_dual_mov_b32 v13, v7
	s_mul_hi_i32 s17, s22, 3
	s_mul_i32 s26, s22, 3
	s_lshl_b64 s[8:9], s[22:23], 1
	s_mov_b32 s27, 0
                                        ; implicit-def: $sgpr28
	s_branch .LBB71_21
.LBB71_18:                              ;   in Loop: Header=BB71_21 Depth=1
	s_or_b32 exec_lo, exec_lo, s36
	s_delay_alu instid0(SALU_CYCLE_1)
	s_or_not1_b32 s3, s3, exec_lo
.LBB71_19:                              ;   in Loop: Header=BB71_21 Depth=1
	s_or_b32 exec_lo, exec_lo, s35
	s_delay_alu instid0(SALU_CYCLE_1) | instskip(SKIP_1) | instid1(SALU_CYCLE_1)
	s_and_not1_b32 s28, s28, exec_lo
	s_and_b32 s3, s3, exec_lo
	s_or_b32 s28, s28, s3
.LBB71_20:                              ;   in Loop: Header=BB71_21 Depth=1
	s_or_b32 exec_lo, exec_lo, s29
	s_delay_alu instid0(SALU_CYCLE_1) | instskip(NEXT) | instid1(SALU_CYCLE_1)
	s_and_b32 s3, exec_lo, s28
	s_or_b32 s27, s3, s27
	s_delay_alu instid0(SALU_CYCLE_1)
	s_and_not1_b32 exec_lo, exec_lo, s27
	s_cbranch_execz .LBB71_25
.LBB71_21:                              ; =>This Inner Loop Header: Depth=1
	v_add_co_u32 v15, vcc_lo, v23, v11
	v_add_co_ci_u32_e32 v16, vcc_lo, v24, v12, vcc_lo
	v_add_co_u32 v42, vcc_lo, v32, v11
	v_add_co_ci_u32_e32 v43, vcc_lo, v33, v12, vcc_lo
	;; [unrolled: 2-line block ×3, first 2 shown]
	global_load_b64 v[15:16], v[15:16], off
	global_load_b64 v[42:43], v[42:43], off
	;; [unrolled: 1-line block ×3, first 2 shown]
	s_or_b32 s28, s28, exec_lo
	s_mov_b32 s29, exec_lo
	s_waitcnt vmcnt(2)
	v_lshlrev_b32_e32 v48, 16, v15
	s_waitcnt vmcnt(0)
	v_and_b32_e32 v50, 0xffff0000, v44
	v_lshlrev_b32_e32 v49, 16, v44
	v_alignbit_b32 v44, v45, v44, 16
	s_delay_alu instid0(VALU_DEP_1) | instskip(SKIP_2) | instid1(VALU_DEP_1)
	v_and_b32_e32 v44, 0xffff0000, v44
	v_and_b32_e32 v46, 0xffff0000, v15
	v_alignbit_b32 v15, v16, v15, 16
	v_and_b32_e32 v15, 0xffff0000, v15
	s_delay_alu instid0(VALU_DEP_1) | instskip(SKIP_2) | instid1(VALU_DEP_2)
	v_dual_add_f32 v15, v15, v44 :: v_dual_add_f32 v46, v46, v50
	v_dual_add_f32 v48, v48, v49 :: v_dual_and_b32 v47, 0xffff0000, v42
	s_waitcnt lgkmcnt(0)
	v_dual_mul_f32 v15, v28, v15 :: v_dual_and_b32 v16, 0xffff0000, v16
	s_delay_alu instid0(VALU_DEP_3) | instskip(NEXT) | instid1(VALU_DEP_3)
	v_dual_mul_f32 v46, v28, v46 :: v_dual_and_b32 v45, 0xffff0000, v45
	v_mul_f32_e32 v48, v28, v48
	s_delay_alu instid0(VALU_DEP_3) | instskip(NEXT) | instid1(VALU_DEP_3)
	v_bfe_u32 v51, v15, 16, 1
	v_dual_add_f32 v16, v16, v45 :: v_dual_lshlrev_b32 v45, 16, v42
	s_delay_alu instid0(VALU_DEP_3) | instskip(SKIP_1) | instid1(VALU_DEP_3)
	v_bfe_u32 v44, v48, 16, 1
	v_alignbit_b32 v42, v43, v42, 16
	v_dual_mul_f32 v16, v28, v16 :: v_dual_and_b32 v43, 0xffff0000, v43
	v_bfe_u32 v49, v46, 16, 1
	s_delay_alu instid0(VALU_DEP_4)
	v_add3_u32 v44, v48, v44, 0x7fff
	v_cmp_o_f32_e32 vcc_lo, v48, v48
	v_and_b32_e32 v42, 0xffff0000, v42
	v_bfe_u32 v50, v16, 16, 1
	v_add3_u32 v49, v46, v49, 0x7fff
	v_and_b32_e32 v44, 0xffff0000, v44
	v_add3_u32 v51, v15, v51, 0x7fff
	s_delay_alu instid0(VALU_DEP_4) | instskip(NEXT) | instid1(VALU_DEP_4)
	v_add3_u32 v50, v16, v50, 0x7fff
	v_and_b32_e32 v49, 0xffff0000, v49
	s_delay_alu instid0(VALU_DEP_4)
	v_cndmask_b32_e32 v44, 0x7fc00000, v44, vcc_lo
	v_cmp_o_f32_e32 vcc_lo, v46, v46
	v_and_b32_e32 v48, 0xffff0000, v51
	v_and_b32_e32 v50, 0xffff0000, v50
	v_cndmask_b32_e32 v46, 0x7fc00000, v49, vcc_lo
	v_cmp_o_f32_e32 vcc_lo, v16, v16
	s_delay_alu instid0(VALU_DEP_3) | instskip(SKIP_1) | instid1(VALU_DEP_4)
	v_cndmask_b32_e32 v16, 0x7fc00000, v50, vcc_lo
	v_cmp_o_f32_e32 vcc_lo, v15, v15
	v_dual_mul_f32 v44, v44, v45 :: v_dual_mul_f32 v45, v46, v47
	s_delay_alu instid0(VALU_DEP_3) | instskip(SKIP_1) | instid1(VALU_DEP_3)
	v_mul_f32_e32 v43, v16, v43
	v_cndmask_b32_e32 v15, 0x7fc00000, v48, vcc_lo
	v_bfe_u32 v46, v44, 16, 1
	s_delay_alu instid0(VALU_DEP_4) | instskip(SKIP_1) | instid1(VALU_DEP_4)
	v_bfe_u32 v16, v45, 16, 1
	v_cmp_o_f32_e32 vcc_lo, v44, v44
	v_mul_f32_e32 v42, v15, v42
	s_delay_alu instid0(VALU_DEP_4) | instskip(NEXT) | instid1(VALU_DEP_4)
	v_add3_u32 v15, v44, v46, 0x7fff
	v_add3_u32 v16, v45, v16, 0x7fff
	v_bfe_u32 v46, v43, 16, 1
	s_delay_alu instid0(VALU_DEP_4) | instskip(NEXT) | instid1(VALU_DEP_4)
	v_bfe_u32 v47, v42, 16, 1
	v_and_b32_e32 v15, 0xffff0000, v15
	s_delay_alu instid0(VALU_DEP_4) | instskip(NEXT) | instid1(VALU_DEP_4)
	v_and_b32_e32 v16, 0xffff0000, v16
	v_add3_u32 v46, v43, v46, 0x7fff
	s_delay_alu instid0(VALU_DEP_4) | instskip(NEXT) | instid1(VALU_DEP_4)
	v_add3_u32 v47, v42, v47, 0x7fff
	v_cndmask_b32_e64 v44, 0x7fc00000, |v15|, vcc_lo
	v_cmp_o_f32_e32 vcc_lo, v45, v45
	s_delay_alu instid0(VALU_DEP_4) | instskip(NEXT) | instid1(VALU_DEP_4)
	v_and_b32_e32 v46, 0xffff0000, v46
	v_and_b32_e32 v47, 0xffff0000, v47
	v_cndmask_b32_e64 v45, 0x7fc00000, |v16|, vcc_lo
	v_add_co_u32 v15, vcc_lo, v13, s22
	v_add_co_ci_u32_e32 v16, vcc_lo, s23, v14, vcc_lo
	v_cmp_o_f32_e32 vcc_lo, v42, v42
	s_delay_alu instid0(VALU_DEP_4) | instskip(SKIP_3) | instid1(VALU_DEP_1)
	v_max3_f32 v4, v4, v44, v45
	v_cndmask_b32_e64 v42, 0x7fc00000, |v47|, vcc_lo
	v_cmp_o_f32_e32 vcc_lo, v43, v43
	v_cndmask_b32_e64 v43, 0x7fc00000, |v46|, vcc_lo
	v_max3_f32 v4, v4, v42, v43
	v_cmpx_lt_i64_e64 v[15:16], v[9:10]
	s_cbranch_execz .LBB71_20
; %bb.22:                               ;   in Loop: Header=BB71_21 Depth=1
	v_add_co_u32 v42, vcc_lo, v21, v11
	v_add_co_ci_u32_e32 v43, vcc_lo, v22, v12, vcc_lo
	v_add_co_u32 v44, vcc_lo, v30, v11
	v_add_co_ci_u32_e32 v45, vcc_lo, v31, v12, vcc_lo
	v_add_co_u32 v46, vcc_lo, v38, v11
	v_add_co_ci_u32_e32 v47, vcc_lo, v39, v12, vcc_lo
	global_load_b64 v[42:43], v[42:43], off
	global_load_b64 v[44:45], v[44:45], off
	;; [unrolled: 1-line block ×3, first 2 shown]
	s_mov_b32 s3, -1
	s_mov_b32 s35, exec_lo
	s_waitcnt vmcnt(2)
	v_lshlrev_b32_e32 v50, 16, v42
	s_waitcnt vmcnt(0)
	v_lshlrev_b32_e32 v51, 16, v46
	v_and_b32_e32 v52, 0xffff0000, v46
	v_alignbit_b32 v46, v47, v46, 16
	v_and_b32_e32 v47, 0xffff0000, v47
	v_and_b32_e32 v48, 0xffff0000, v42
	v_alignbit_b32 v42, v43, v42, 16
	v_and_b32_e32 v43, 0xffff0000, v43
	s_delay_alu instid0(VALU_DEP_1) | instskip(NEXT) | instid1(VALU_DEP_4)
	v_dual_add_f32 v43, v43, v47 :: v_dual_and_b32 v46, 0xffff0000, v46
	v_add_f32_e32 v48, v48, v52
	v_lshlrev_b32_e32 v47, 16, v44
	s_delay_alu instid0(VALU_DEP_3) | instskip(NEXT) | instid1(VALU_DEP_3)
	v_mul_f32_e32 v43, v28, v43
	v_mul_f32_e32 v48, v28, v48
	v_dual_add_f32 v50, v50, v51 :: v_dual_and_b32 v49, 0xffff0000, v44
	v_alignbit_b32 v44, v45, v44, 16
	v_and_b32_e32 v45, 0xffff0000, v45
	v_and_b32_e32 v42, 0xffff0000, v42
	v_bfe_u32 v51, v48, 16, 1
	v_mul_f32_e32 v50, v28, v50
	v_bfe_u32 v52, v43, 16, 1
	v_and_b32_e32 v44, 0xffff0000, v44
	v_add_f32_e32 v42, v42, v46
	v_add3_u32 v51, v48, v51, 0x7fff
	v_bfe_u32 v46, v50, 16, 1
	v_cmp_o_f32_e32 vcc_lo, v50, v50
	v_add3_u32 v52, v43, v52, 0x7fff
	s_delay_alu instid0(VALU_DEP_4) | instskip(NEXT) | instid1(VALU_DEP_4)
	v_dual_mul_f32 v42, v28, v42 :: v_dual_and_b32 v51, 0xffff0000, v51
	v_add3_u32 v46, v50, v46, 0x7fff
	s_delay_alu instid0(VALU_DEP_3) | instskip(NEXT) | instid1(VALU_DEP_3)
	v_and_b32_e32 v52, 0xffff0000, v52
	v_bfe_u32 v53, v42, 16, 1
	s_delay_alu instid0(VALU_DEP_3) | instskip(NEXT) | instid1(VALU_DEP_2)
	v_and_b32_e32 v46, 0xffff0000, v46
	v_add3_u32 v53, v42, v53, 0x7fff
	s_delay_alu instid0(VALU_DEP_2) | instskip(SKIP_1) | instid1(VALU_DEP_3)
	v_cndmask_b32_e32 v46, 0x7fc00000, v46, vcc_lo
	v_cmp_o_f32_e32 vcc_lo, v48, v48
	v_and_b32_e32 v50, 0xffff0000, v53
	s_delay_alu instid0(VALU_DEP_3) | instskip(SKIP_2) | instid1(VALU_DEP_2)
	v_mul_f32_e32 v46, v46, v47
	v_cndmask_b32_e32 v48, 0x7fc00000, v51, vcc_lo
	v_cmp_o_f32_e32 vcc_lo, v43, v43
	v_mul_f32_e32 v47, v48, v49
	v_cndmask_b32_e32 v43, 0x7fc00000, v52, vcc_lo
	v_cmp_o_f32_e32 vcc_lo, v42, v42
	v_bfe_u32 v48, v46, 16, 1
	s_delay_alu instid0(VALU_DEP_3) | instskip(SKIP_2) | instid1(VALU_DEP_2)
	v_dual_mul_f32 v45, v43, v45 :: v_dual_cndmask_b32 v42, 0x7fc00000, v50
	v_bfe_u32 v43, v47, 16, 1
	v_cmp_o_f32_e32 vcc_lo, v46, v46
	v_add3_u32 v43, v47, v43, 0x7fff
	s_delay_alu instid0(VALU_DEP_4) | instskip(SKIP_2) | instid1(VALU_DEP_4)
	v_mul_f32_e32 v44, v42, v44
	v_add3_u32 v42, v46, v48, 0x7fff
	v_bfe_u32 v48, v45, 16, 1
	v_and_b32_e32 v43, 0xffff0000, v43
	s_delay_alu instid0(VALU_DEP_4) | instskip(NEXT) | instid1(VALU_DEP_4)
	v_bfe_u32 v49, v44, 16, 1
	v_and_b32_e32 v42, 0xffff0000, v42
	s_delay_alu instid0(VALU_DEP_4) | instskip(NEXT) | instid1(VALU_DEP_3)
	v_add3_u32 v48, v45, v48, 0x7fff
	v_add3_u32 v49, v44, v49, 0x7fff
	s_delay_alu instid0(VALU_DEP_3) | instskip(SKIP_1) | instid1(VALU_DEP_4)
	v_cndmask_b32_e64 v46, 0x7fc00000, |v42|, vcc_lo
	v_cmp_o_f32_e32 vcc_lo, v47, v47
	v_and_b32_e32 v48, 0xffff0000, v48
	s_delay_alu instid0(VALU_DEP_4) | instskip(SKIP_4) | instid1(VALU_DEP_4)
	v_and_b32_e32 v49, 0xffff0000, v49
	v_cndmask_b32_e64 v47, 0x7fc00000, |v43|, vcc_lo
	v_add_co_u32 v42, vcc_lo, s8, v13
	v_add_co_ci_u32_e32 v43, vcc_lo, s9, v14, vcc_lo
	v_cmp_o_f32_e32 vcc_lo, v44, v44
	v_max3_f32 v4, v4, v46, v47
	v_cndmask_b32_e64 v44, 0x7fc00000, |v49|, vcc_lo
	v_cmp_o_f32_e32 vcc_lo, v45, v45
	v_cndmask_b32_e64 v45, 0x7fc00000, |v48|, vcc_lo
	s_delay_alu instid0(VALU_DEP_1)
	v_max3_f32 v4, v4, v44, v45
	v_cmpx_lt_i64_e64 v[42:43], v[9:10]
	s_cbranch_execz .LBB71_19
; %bb.23:                               ;   in Loop: Header=BB71_21 Depth=1
	v_add_co_u32 v42, vcc_lo, v19, v11
	v_add_co_ci_u32_e32 v43, vcc_lo, v20, v12, vcc_lo
	v_add_co_u32 v44, vcc_lo, v27, v11
	v_add_co_ci_u32_e32 v45, vcc_lo, v29, v12, vcc_lo
	;; [unrolled: 2-line block ×3, first 2 shown]
	global_load_b64 v[42:43], v[42:43], off
	global_load_b64 v[44:45], v[44:45], off
	;; [unrolled: 1-line block ×3, first 2 shown]
	s_waitcnt vmcnt(2)
	v_lshlrev_b32_e32 v50, 16, v42
	s_waitcnt vmcnt(0)
	v_lshlrev_b32_e32 v51, 16, v46
	v_and_b32_e32 v52, 0xffff0000, v46
	v_alignbit_b32 v46, v47, v46, 16
	v_and_b32_e32 v47, 0xffff0000, v47
	v_and_b32_e32 v48, 0xffff0000, v42
	v_alignbit_b32 v42, v43, v42, 16
	v_and_b32_e32 v43, 0xffff0000, v43
	s_delay_alu instid0(VALU_DEP_1) | instskip(NEXT) | instid1(VALU_DEP_4)
	v_dual_add_f32 v43, v43, v47 :: v_dual_and_b32 v46, 0xffff0000, v46
	v_add_f32_e32 v48, v48, v52
	v_lshlrev_b32_e32 v47, 16, v44
	s_delay_alu instid0(VALU_DEP_3) | instskip(NEXT) | instid1(VALU_DEP_3)
	v_mul_f32_e32 v43, v28, v43
	v_mul_f32_e32 v48, v28, v48
	v_dual_add_f32 v50, v50, v51 :: v_dual_and_b32 v49, 0xffff0000, v44
	v_alignbit_b32 v44, v45, v44, 16
	v_and_b32_e32 v45, 0xffff0000, v45
	v_and_b32_e32 v42, 0xffff0000, v42
	v_bfe_u32 v51, v48, 16, 1
	v_mul_f32_e32 v50, v28, v50
	v_bfe_u32 v52, v43, 16, 1
	v_and_b32_e32 v44, 0xffff0000, v44
	v_add_f32_e32 v42, v42, v46
	v_add3_u32 v51, v48, v51, 0x7fff
	v_bfe_u32 v46, v50, 16, 1
	v_cmp_o_f32_e32 vcc_lo, v50, v50
	v_add3_u32 v52, v43, v52, 0x7fff
	s_delay_alu instid0(VALU_DEP_4) | instskip(NEXT) | instid1(VALU_DEP_4)
	v_dual_mul_f32 v42, v28, v42 :: v_dual_and_b32 v51, 0xffff0000, v51
	v_add3_u32 v46, v50, v46, 0x7fff
	s_delay_alu instid0(VALU_DEP_3) | instskip(NEXT) | instid1(VALU_DEP_3)
	v_and_b32_e32 v52, 0xffff0000, v52
	v_bfe_u32 v53, v42, 16, 1
	s_delay_alu instid0(VALU_DEP_3) | instskip(NEXT) | instid1(VALU_DEP_2)
	v_and_b32_e32 v46, 0xffff0000, v46
	v_add3_u32 v53, v42, v53, 0x7fff
	s_delay_alu instid0(VALU_DEP_2) | instskip(SKIP_1) | instid1(VALU_DEP_3)
	v_cndmask_b32_e32 v46, 0x7fc00000, v46, vcc_lo
	v_cmp_o_f32_e32 vcc_lo, v48, v48
	v_and_b32_e32 v50, 0xffff0000, v53
	s_delay_alu instid0(VALU_DEP_3) | instskip(SKIP_2) | instid1(VALU_DEP_2)
	v_mul_f32_e32 v46, v46, v47
	v_cndmask_b32_e32 v48, 0x7fc00000, v51, vcc_lo
	v_cmp_o_f32_e32 vcc_lo, v43, v43
	v_mul_f32_e32 v47, v48, v49
	v_cndmask_b32_e32 v43, 0x7fc00000, v52, vcc_lo
	v_cmp_o_f32_e32 vcc_lo, v42, v42
	v_bfe_u32 v48, v46, 16, 1
	s_delay_alu instid0(VALU_DEP_3) | instskip(SKIP_2) | instid1(VALU_DEP_2)
	v_dual_mul_f32 v43, v43, v45 :: v_dual_cndmask_b32 v42, 0x7fc00000, v50
	v_bfe_u32 v45, v47, 16, 1
	v_cmp_o_f32_e32 vcc_lo, v46, v46
	v_add3_u32 v45, v47, v45, 0x7fff
	s_delay_alu instid0(VALU_DEP_4) | instskip(SKIP_2) | instid1(VALU_DEP_4)
	v_mul_f32_e32 v42, v42, v44
	v_add3_u32 v44, v46, v48, 0x7fff
	v_bfe_u32 v48, v43, 16, 1
	v_and_b32_e32 v45, 0xffff0000, v45
	s_delay_alu instid0(VALU_DEP_4) | instskip(NEXT) | instid1(VALU_DEP_4)
	v_bfe_u32 v49, v42, 16, 1
	v_and_b32_e32 v44, 0xffff0000, v44
	s_delay_alu instid0(VALU_DEP_4) | instskip(NEXT) | instid1(VALU_DEP_3)
	v_add3_u32 v48, v43, v48, 0x7fff
	v_add3_u32 v49, v42, v49, 0x7fff
	s_delay_alu instid0(VALU_DEP_3) | instskip(SKIP_1) | instid1(VALU_DEP_4)
	v_cndmask_b32_e64 v44, 0x7fc00000, |v44|, vcc_lo
	v_cmp_o_f32_e32 vcc_lo, v47, v47
	v_and_b32_e32 v47, 0xffff0000, v48
	s_delay_alu instid0(VALU_DEP_4) | instskip(SKIP_4) | instid1(VALU_DEP_4)
	v_and_b32_e32 v46, 0xffff0000, v49
	v_cndmask_b32_e64 v45, 0x7fc00000, |v45|, vcc_lo
	v_add_co_u32 v13, vcc_lo, s26, v13
	v_add_co_ci_u32_e32 v14, vcc_lo, s17, v14, vcc_lo
	v_cmp_o_f32_e32 vcc_lo, v42, v42
	v_max3_f32 v4, v4, v44, v45
	v_cndmask_b32_e64 v42, 0x7fc00000, |v46|, vcc_lo
	v_cmp_o_f32_e32 vcc_lo, v43, v43
	v_cndmask_b32_e64 v43, 0x7fc00000, |v47|, vcc_lo
	v_cmp_lt_i64_e32 vcc_lo, v[13:14], v[9:10]
                                        ; implicit-def: $vgpr13_vgpr14
	s_delay_alu instid0(VALU_DEP_2) | instskip(SKIP_1) | instid1(SALU_CYCLE_1)
	v_max3_f32 v4, v4, v42, v43
	s_and_saveexec_b32 s36, vcc_lo
	s_xor_b32 s36, exec_lo, s36
	s_cbranch_execz .LBB71_18
; %bb.24:                               ;   in Loop: Header=BB71_21 Depth=1
	v_add_co_u32 v13, vcc_lo, v17, v11
	v_add_co_ci_u32_e32 v14, vcc_lo, v18, v12, vcc_lo
	v_add_co_u32 v42, vcc_lo, v25, v11
	v_add_co_ci_u32_e32 v43, vcc_lo, v26, v12, vcc_lo
	;; [unrolled: 2-line block ×3, first 2 shown]
	global_load_b64 v[13:14], v[13:14], off
	global_load_b64 v[42:43], v[42:43], off
	;; [unrolled: 1-line block ×3, first 2 shown]
	v_add_co_u32 v17, vcc_lo, v17, s24
	v_add_co_ci_u32_e32 v18, vcc_lo, s25, v18, vcc_lo
	v_add_co_u32 v19, vcc_lo, v19, s24
	v_add_co_ci_u32_e32 v20, vcc_lo, s25, v20, vcc_lo
	;; [unrolled: 2-line block ×10, first 2 shown]
	s_add_u32 s3, s22, s22
	s_addc_u32 s37, s23, s23
	s_add_u32 s3, s3, s22
	s_addc_u32 s37, s37, s23
	s_waitcnt vmcnt(2)
	v_lshlrev_b32_e32 v48, 16, v13
	s_waitcnt vmcnt(0)
	v_and_b32_e32 v50, 0xffff0000, v44
	v_lshlrev_b32_e32 v49, 16, v44
	v_alignbit_b32 v44, v45, v44, 16
	s_delay_alu instid0(VALU_DEP_1) | instskip(SKIP_2) | instid1(VALU_DEP_1)
	v_and_b32_e32 v44, 0xffff0000, v44
	v_and_b32_e32 v46, 0xffff0000, v13
	v_alignbit_b32 v13, v14, v13, 16
	v_and_b32_e32 v13, 0xffff0000, v13
	s_delay_alu instid0(VALU_DEP_1) | instskip(SKIP_1) | instid1(VALU_DEP_2)
	v_dual_add_f32 v13, v13, v44 :: v_dual_add_f32 v46, v46, v50
	v_dual_add_f32 v48, v48, v49 :: v_dual_and_b32 v47, 0xffff0000, v42
	v_dual_mul_f32 v13, v28, v13 :: v_dual_and_b32 v14, 0xffff0000, v14
	s_delay_alu instid0(VALU_DEP_3) | instskip(NEXT) | instid1(VALU_DEP_3)
	v_dual_mul_f32 v46, v28, v46 :: v_dual_and_b32 v45, 0xffff0000, v45
	v_mul_f32_e32 v48, v28, v48
	s_delay_alu instid0(VALU_DEP_3) | instskip(NEXT) | instid1(VALU_DEP_3)
	v_bfe_u32 v51, v13, 16, 1
	v_dual_add_f32 v14, v14, v45 :: v_dual_lshlrev_b32 v45, 16, v42
	s_delay_alu instid0(VALU_DEP_3) | instskip(SKIP_2) | instid1(VALU_DEP_4)
	v_bfe_u32 v44, v48, 16, 1
	v_bfe_u32 v49, v46, 16, 1
	v_alignbit_b32 v42, v43, v42, 16
	v_dual_mul_f32 v14, v28, v14 :: v_dual_and_b32 v43, 0xffff0000, v43
	s_delay_alu instid0(VALU_DEP_4) | instskip(NEXT) | instid1(VALU_DEP_4)
	v_add3_u32 v44, v48, v44, 0x7fff
	v_add3_u32 v49, v46, v49, 0x7fff
	v_cmp_o_f32_e32 vcc_lo, v48, v48
	s_delay_alu instid0(VALU_DEP_4)
	v_bfe_u32 v50, v14, 16, 1
	v_and_b32_e32 v42, 0xffff0000, v42
	v_and_b32_e32 v44, 0xffff0000, v44
	v_and_b32_e32 v49, 0xffff0000, v49
	v_add3_u32 v51, v13, v51, 0x7fff
	v_add3_u32 v50, v14, v50, 0x7fff
	s_delay_alu instid0(VALU_DEP_4) | instskip(SKIP_1) | instid1(VALU_DEP_4)
	v_cndmask_b32_e32 v44, 0x7fc00000, v44, vcc_lo
	v_cmp_o_f32_e32 vcc_lo, v46, v46
	v_and_b32_e32 v48, 0xffff0000, v51
	s_delay_alu instid0(VALU_DEP_4) | instskip(SKIP_2) | instid1(VALU_DEP_3)
	v_and_b32_e32 v50, 0xffff0000, v50
	v_cndmask_b32_e32 v46, 0x7fc00000, v49, vcc_lo
	v_cmp_o_f32_e32 vcc_lo, v14, v14
	v_cndmask_b32_e32 v14, 0x7fc00000, v50, vcc_lo
	v_cmp_o_f32_e32 vcc_lo, v13, v13
	s_delay_alu instid0(VALU_DEP_4) | instskip(NEXT) | instid1(VALU_DEP_3)
	v_dual_mul_f32 v44, v44, v45 :: v_dual_mul_f32 v45, v46, v47
	v_mul_f32_e32 v43, v14, v43
	v_cndmask_b32_e32 v13, 0x7fc00000, v48, vcc_lo
	s_delay_alu instid0(VALU_DEP_3) | instskip(NEXT) | instid1(VALU_DEP_4)
	v_bfe_u32 v14, v44, 16, 1
	v_bfe_u32 v46, v45, 16, 1
	v_cmp_o_f32_e32 vcc_lo, v44, v44
	s_delay_alu instid0(VALU_DEP_4) | instskip(NEXT) | instid1(VALU_DEP_4)
	v_mul_f32_e32 v42, v13, v42
	v_add3_u32 v14, v44, v14, 0x7fff
	v_bfe_u32 v13, v43, 16, 1
	v_add3_u32 v46, v45, v46, 0x7fff
	s_delay_alu instid0(VALU_DEP_4) | instskip(NEXT) | instid1(VALU_DEP_4)
	v_bfe_u32 v47, v42, 16, 1
	v_and_b32_e32 v14, 0xffff0000, v14
	s_delay_alu instid0(VALU_DEP_4) | instskip(NEXT) | instid1(VALU_DEP_4)
	v_add3_u32 v13, v43, v13, 0x7fff
	v_and_b32_e32 v46, 0xffff0000, v46
	s_delay_alu instid0(VALU_DEP_4) | instskip(NEXT) | instid1(VALU_DEP_4)
	v_add3_u32 v47, v42, v47, 0x7fff
	v_cndmask_b32_e64 v44, 0x7fc00000, |v14|, vcc_lo
	v_cmp_o_f32_e32 vcc_lo, v45, v45
	v_and_b32_e32 v48, 0xffff0000, v13
	v_cndmask_b32_e64 v45, 0x7fc00000, |v46|, vcc_lo
	v_add_co_u32 v13, vcc_lo, s3, v15
	v_add_co_ci_u32_e32 v14, vcc_lo, s37, v16, vcc_lo
	v_cmp_o_f32_e32 vcc_lo, v43, v43
	v_and_b32_e32 v15, 0xffff0000, v47
	v_max3_f32 v4, v4, v44, v45
	v_add_co_u32 v40, s3, v40, s24
	v_cndmask_b32_e64 v16, 0x7fc00000, |v48|, vcc_lo
	v_cmp_o_f32_e32 vcc_lo, v42, v42
	v_add_co_ci_u32_e64 v41, s3, s25, v41, s3
	v_cndmask_b32_e64 v15, 0x7fc00000, |v15|, vcc_lo
	v_add_co_u32 v38, vcc_lo, v38, s24
	v_add_co_ci_u32_e32 v39, vcc_lo, s25, v39, vcc_lo
	v_cmp_ge_i64_e32 vcc_lo, v[13:14], v[9:10]
	s_delay_alu instid0(VALU_DEP_4)
	v_max3_f32 v4, v4, v15, v16
	s_or_not1_b32 s3, vcc_lo, exec_lo
	s_branch .LBB71_18
.LBB71_25:
	s_or_b32 exec_lo, exec_lo, s27
.LBB71_26:
	s_delay_alu instid0(SALU_CYCLE_1)
	s_or_b32 exec_lo, exec_lo, s13
	s_lshr_b32 s13, s34, 5
	s_ashr_i32 s17, s16, 31
	v_cvt_f32_u32_e32 v9, s13
	s_sub_i32 s8, 0, s13
	s_add_i32 s9, s16, s13
	v_lshlrev_b32_e32 v29, 2, v0
	s_add_i32 s9, s9, -1
	v_rcp_iflag_f32_e32 v9, v9
	s_abs_i32 s24, s9
	s_ashr_i32 s9, s9, 31
	ds_store_b32 v29, v4
	s_waitcnt lgkmcnt(0)
	s_barrier
	buffer_gl0_inv
	v_mul_f32_e32 v9, 0x4f7ffffe, v9
	s_delay_alu instid0(VALU_DEP_1) | instskip(NEXT) | instid1(VALU_DEP_1)
	v_cvt_u32_f32_e32 v9, v9
	v_readfirstlane_b32 s3, v9
	s_delay_alu instid0(VALU_DEP_1) | instskip(NEXT) | instid1(SALU_CYCLE_1)
	s_mul_i32 s8, s8, s3
	s_mul_hi_u32 s8, s3, s8
	s_delay_alu instid0(SALU_CYCLE_1) | instskip(NEXT) | instid1(SALU_CYCLE_1)
	s_add_i32 s3, s3, s8
	s_mul_hi_u32 s3, s24, s3
	s_delay_alu instid0(SALU_CYCLE_1) | instskip(NEXT) | instid1(SALU_CYCLE_1)
	s_mul_i32 s8, s3, s13
	s_sub_i32 s8, s24, s8
	s_add_i32 s24, s3, 1
	s_sub_i32 s25, s8, s13
	s_cmp_ge_u32 s8, s13
	s_cselect_b32 s3, s24, s3
	s_cselect_b32 s8, s25, s8
	s_add_i32 s24, s3, 1
	s_cmp_ge_u32 s8, s13
	s_cselect_b32 s3, s24, s3
	s_delay_alu instid0(SALU_CYCLE_1) | instskip(NEXT) | instid1(SALU_CYCLE_1)
	s_xor_b32 s3, s3, s9
	s_sub_i32 s8, s3, s9
	s_delay_alu instid0(SALU_CYCLE_1) | instskip(NEXT) | instid1(SALU_CYCLE_1)
	s_ashr_i32 s9, s8, 31
	v_cmp_lt_i64_e64 s3, s[8:9], 1
	s_delay_alu instid0(VALU_DEP_1)
	s_and_b32 vcc_lo, exec_lo, s3
	s_cbranch_vccnz .LBB71_46
; %bb.27:
	v_lshrrev_b32_e32 v9, 5, v0
	v_and_b32_e32 v4, 31, v0
	s_mov_b64 s[24:25], 0
	s_mov_b64 s[26:27], src_shared_base
	s_delay_alu instid0(VALU_DEP_2) | instskip(NEXT) | instid1(VALU_DEP_2)
	v_mul_lo_u32 v19, s22, v9
	v_add_co_u32 v11, s3, v4, 16
	s_delay_alu instid0(VALU_DEP_1) | instskip(SKIP_1) | instid1(VALU_DEP_1)
	v_add_co_ci_u32_e64 v12, null, 0, 0, s3
	v_add_co_u32 v13, s3, v4, 8
	v_add_co_ci_u32_e64 v14, null, 0, 0, s3
	v_add_co_u32 v15, s3, v4, 4
	v_dual_mov_b32 v10, 0 :: v_dual_lshlrev_b32 v21, 2, v19
	v_lshlrev_b32_e32 v22, 2, v4
	v_add_co_ci_u32_e64 v16, null, 0, 0, s3
	v_add_co_u32 v17, s3, v4, 2
	s_delay_alu instid0(VALU_DEP_1) | instskip(SKIP_1) | instid1(VALU_DEP_1)
	v_add_co_ci_u32_e64 v18, null, 0, 0, s3
	v_add_co_u32 v19, s3, v4, 1
	v_add_co_ci_u32_e64 v20, null, 0, 0, s3
	v_add3_u32 v30, v21, v22, 0x80
	s_mul_i32 s3, s22, s13
	s_delay_alu instid0(SALU_CYCLE_1)
	s_lshl_b32 s28, s3, 2
	s_branch .LBB71_30
.LBB71_28:                              ;   in Loop: Header=BB71_30 Depth=1
	s_or_b32 exec_lo, exec_lo, s3
	v_mov_b32_e32 v22, s27
	flat_load_b32 v21, v[21:22] glc dlc
	s_waitcnt vmcnt(0)
.LBB71_29:                              ;   in Loop: Header=BB71_30 Depth=1
	s_or_b32 exec_lo, exec_lo, s26
	s_add_u32 s24, s24, 1
	v_add_nc_u32_e32 v30, s28, v30
	s_addc_u32 s25, s25, 0
	s_delay_alu instid0(SALU_CYCLE_1)
	s_cmp_eq_u64 s[24:25], s[8:9]
	s_cbranch_scc1 .LBB71_46
.LBB71_30:                              ; =>This Loop Header: Depth=1
                                        ;     Child Loop BB71_33 Depth 2
	s_waitcnt lgkmcnt(0)
	v_mad_u64_u32 v[21:22], null, s24, s13, v[9:10]
	s_mov_b32 s26, exec_lo
	s_delay_alu instid0(VALU_DEP_1) | instskip(NEXT) | instid1(VALU_DEP_1)
	v_mad_u64_u32 v[23:24], null, s25, s13, v[22:23]
	v_mov_b32_e32 v22, v23
	s_delay_alu instid0(VALU_DEP_1)
	v_cmpx_gt_i64_e64 s[16:17], v[21:22]
	s_cbranch_execz .LBB71_29
; %bb.31:                               ;   in Loop: Header=BB71_30 Depth=1
	v_mul_lo_u32 v24, v22, s22
	v_mul_lo_u32 v25, v21, s23
	v_mad_u64_u32 v[22:23], null, v21, s22, 0
	s_delay_alu instid0(VALU_DEP_1) | instskip(NEXT) | instid1(VALU_DEP_2)
	v_add3_u32 v23, v23, v25, v24
	v_add_co_u32 v24, vcc_lo, v22, s22
	v_add_co_u32 v31, s3, v22, v4
	s_delay_alu instid0(VALU_DEP_3) | instskip(SKIP_2) | instid1(VALU_DEP_2)
	v_add_co_ci_u32_e32 v25, vcc_lo, s23, v23, vcc_lo
	v_add_co_ci_u32_e64 v21, s3, 0, v23, s3
	s_mov_b32 s3, exec_lo
	v_cmp_gt_i64_e32 vcc_lo, s[20:21], v[24:25]
	v_cndmask_b32_e32 v25, s21, v25, vcc_lo
	v_cndmask_b32_e32 v24, s20, v24, vcc_lo
	v_add_co_u32 v26, vcc_lo, v31, 32
	v_add_co_ci_u32_e32 v27, vcc_lo, 0, v21, vcc_lo
	v_lshlrev_b32_e32 v21, 2, v31
	s_delay_alu instid0(VALU_DEP_2)
	v_cmpx_lt_i64_e64 v[26:27], v[24:25]
	s_cbranch_execz .LBB71_34
; %bb.32:                               ;   in Loop: Header=BB71_30 Depth=1
	ds_load_b32 v33, v21
	v_mov_b32_e32 v32, v30
	s_mov_b32 s29, 0
.LBB71_33:                              ;   Parent Loop BB71_30 Depth=1
                                        ; =>  This Inner Loop Header: Depth=2
	ds_load_b32 v34, v32
	v_add_co_u32 v26, vcc_lo, v26, 32
	v_add_co_ci_u32_e32 v27, vcc_lo, 0, v27, vcc_lo
	s_waitcnt lgkmcnt(1)
	v_dual_max_f32 v33, v33, v33 :: v_dual_add_nc_u32 v32, 0x80, v32
	s_delay_alu instid0(VALU_DEP_2) | instskip(SKIP_3) | instid1(VALU_DEP_1)
	v_cmp_ge_i64_e32 vcc_lo, v[26:27], v[24:25]
	s_or_b32 s29, vcc_lo, s29
	s_waitcnt lgkmcnt(0)
	v_max_f32_e32 v34, v34, v34
	v_max_f32_e32 v33, v33, v34
	ds_store_b32 v21, v33
	s_and_not1_b32 exec_lo, exec_lo, s29
	s_cbranch_execnz .LBB71_33
.LBB71_34:                              ;   in Loop: Header=BB71_30 Depth=1
	s_or_b32 exec_lo, exec_lo, s3
	v_sub_co_u32 v22, vcc_lo, v24, v22
	v_sub_co_ci_u32_e32 v23, vcc_lo, v25, v23, vcc_lo
	s_mov_b32 s3, exec_lo
	s_delay_alu instid0(VALU_DEP_1) | instskip(SKIP_1) | instid1(VALU_DEP_1)
	v_cmp_gt_i64_e32 vcc_lo, 32, v[22:23]
	v_dual_cndmask_b32 v24, 0, v23 :: v_dual_cndmask_b32 v23, 32, v22
	v_cmpx_lt_i64_e64 v[11:12], v[23:24]
	s_cbranch_execz .LBB71_36
; %bb.35:                               ;   in Loop: Header=BB71_30 Depth=1
	v_dual_mov_b32 v22, s27 :: v_dual_add_nc_u32 v25, 64, v21
	v_mov_b32_e32 v26, s27
	flat_load_b32 v27, v[21:22] glc dlc
	s_waitcnt vmcnt(0)
	flat_load_b32 v25, v[25:26] glc dlc
	s_waitcnt vmcnt(0) lgkmcnt(0)
	v_dual_max_f32 v26, v27, v27 :: v_dual_max_f32 v25, v25, v25
	s_delay_alu instid0(VALU_DEP_1)
	v_max_f32_e32 v25, v26, v25
	flat_store_b32 v[21:22], v25 dlc
	s_waitcnt_vscnt null, 0x0
.LBB71_36:                              ;   in Loop: Header=BB71_30 Depth=1
	s_or_b32 exec_lo, exec_lo, s3
	s_delay_alu instid0(SALU_CYCLE_1)
	s_mov_b32 s3, exec_lo
	v_cmpx_lt_i64_e64 v[13:14], v[23:24]
	s_cbranch_execz .LBB71_38
; %bb.37:                               ;   in Loop: Header=BB71_30 Depth=1
	v_dual_mov_b32 v22, s27 :: v_dual_add_nc_u32 v25, 32, v21
	v_mov_b32_e32 v26, s27
	flat_load_b32 v27, v[21:22] glc dlc
	s_waitcnt vmcnt(0)
	flat_load_b32 v25, v[25:26] glc dlc
	s_waitcnt vmcnt(0) lgkmcnt(0)
	v_dual_max_f32 v26, v27, v27 :: v_dual_max_f32 v25, v25, v25
	s_delay_alu instid0(VALU_DEP_1)
	v_max_f32_e32 v25, v26, v25
	flat_store_b32 v[21:22], v25 dlc
	s_waitcnt_vscnt null, 0x0
.LBB71_38:                              ;   in Loop: Header=BB71_30 Depth=1
	s_or_b32 exec_lo, exec_lo, s3
	s_delay_alu instid0(SALU_CYCLE_1)
	s_mov_b32 s3, exec_lo
	v_cmpx_ge_i64_e64 v[15:16], v[23:24]
	s_xor_b32 s3, exec_lo, s3
; %bb.39:                               ;   in Loop: Header=BB71_30 Depth=1
                                        ; implicit-def: $vgpr21
; %bb.40:                               ;   in Loop: Header=BB71_30 Depth=1
	s_delay_alu instid0(SALU_CYCLE_1)
	s_and_not1_saveexec_b32 s3, s3
	s_cbranch_execz .LBB71_42
; %bb.41:                               ;   in Loop: Header=BB71_30 Depth=1
	v_dual_mov_b32 v22, s27 :: v_dual_add_nc_u32 v25, 16, v21
	v_mov_b32_e32 v26, s27
	flat_load_b32 v27, v[21:22] glc dlc
	s_waitcnt vmcnt(0)
	flat_load_b32 v25, v[25:26] glc dlc
	s_waitcnt vmcnt(0) lgkmcnt(0)
	v_dual_max_f32 v26, v27, v27 :: v_dual_max_f32 v25, v25, v25
	s_delay_alu instid0(VALU_DEP_1)
	v_max_f32_e32 v25, v26, v25
	flat_store_b32 v[21:22], v25 dlc
	s_waitcnt_vscnt null, 0x0
.LBB71_42:                              ;   in Loop: Header=BB71_30 Depth=1
	s_or_b32 exec_lo, exec_lo, s3
	v_lshlrev_b32_e32 v21, 2, v31
	s_mov_b32 s3, exec_lo
	v_cmpx_lt_i64_e64 v[17:18], v[23:24]
	s_cbranch_execz .LBB71_44
; %bb.43:                               ;   in Loop: Header=BB71_30 Depth=1
	s_delay_alu instid0(VALU_DEP_2)
	v_dual_mov_b32 v22, s27 :: v_dual_add_nc_u32 v25, 8, v21
	v_mov_b32_e32 v26, s27
	flat_load_b32 v27, v[21:22] glc dlc
	s_waitcnt vmcnt(0)
	flat_load_b32 v25, v[25:26] glc dlc
	s_waitcnt vmcnt(0) lgkmcnt(0)
	v_dual_max_f32 v26, v27, v27 :: v_dual_max_f32 v25, v25, v25
	s_delay_alu instid0(VALU_DEP_1)
	v_max_f32_e32 v25, v26, v25
	flat_store_b32 v[21:22], v25 dlc
	s_waitcnt_vscnt null, 0x0
.LBB71_44:                              ;   in Loop: Header=BB71_30 Depth=1
	s_or_b32 exec_lo, exec_lo, s3
	s_delay_alu instid0(SALU_CYCLE_1)
	s_mov_b32 s3, exec_lo
	v_cmpx_lt_i64_e64 v[19:20], v[23:24]
	s_cbranch_execz .LBB71_28
; %bb.45:                               ;   in Loop: Header=BB71_30 Depth=1
	v_dual_mov_b32 v22, s27 :: v_dual_add_nc_u32 v23, 4, v21
	v_mov_b32_e32 v24, s27
	flat_load_b32 v25, v[21:22] glc dlc
	s_waitcnt vmcnt(0)
	flat_load_b32 v23, v[23:24] glc dlc
	s_waitcnt vmcnt(0) lgkmcnt(0)
	v_dual_max_f32 v24, v25, v25 :: v_dual_max_f32 v23, v23, v23
	s_delay_alu instid0(VALU_DEP_1)
	v_max_f32_e32 v23, v24, v23
	flat_store_b32 v[21:22], v23 dlc
	s_waitcnt_vscnt null, 0x0
	s_branch .LBB71_28
.LBB71_46:
	v_cmp_lt_i64_e32 vcc_lo, v[7:8], v[5:6]
	v_cmp_eq_u32_e64 s3, 0, v3
	s_mul_i32 s13, s17, s15
	s_mul_hi_u32 s17, s16, s15
	s_mul_i32 s8, s16, s15
	s_waitcnt lgkmcnt(0)
	s_and_b32 s9, s3, vcc_lo
	s_barrier
	buffer_gl0_inv
	s_and_saveexec_b32 s3, s9
	s_cbranch_execz .LBB71_50
; %bb.47:
	s_load_b64 s[0:1], s[0:1], 0x20
	ds_load_b32 v3, v29
	s_waitcnt lgkmcnt(0)
	s_cmp_eq_u64 s[0:1], 0
	s_cbranch_scc1 .LBB71_49
; %bb.48:
	s_load_b32 s0, s[0:1], 0x0
	v_max_f32_e32 v3, v3, v3
	s_waitcnt lgkmcnt(0)
	v_max_f32_e64 v4, s0, s0
	s_delay_alu instid0(VALU_DEP_1)
	v_min_f32_e32 v3, v3, v4
.LBB71_49:
	s_delay_alu instid0(VALU_DEP_1) | instskip(SKIP_2) | instid1(VALU_DEP_2)
	v_div_scale_f32 v4, null, 0x42fe0000, 0x42fe0000, v3
	v_div_scale_f32 v7, vcc_lo, v3, 0x42fe0000, v3
	s_add_i32 s9, s17, s13
	v_rcp_f32_e32 v5, v4
	v_lshlrev_b64 v[1:2], 2, v[1:2]
	s_lshl_b64 s[0:1], s[8:9], 2
	s_delay_alu instid0(SALU_CYCLE_1) | instskip(SKIP_3) | instid1(VALU_DEP_1)
	s_add_u32 s0, s6, s0
	s_addc_u32 s1, s7, s1
	s_waitcnt_depctr 0xfff
	v_fma_f32 v6, -v4, v5, 1.0
	v_fmac_f32_e32 v5, v6, v5
	s_delay_alu instid0(VALU_DEP_1) | instskip(NEXT) | instid1(VALU_DEP_1)
	v_mul_f32_e32 v6, v7, v5
	v_fma_f32 v8, -v4, v6, v7
	s_delay_alu instid0(VALU_DEP_1) | instskip(NEXT) | instid1(VALU_DEP_1)
	v_fmac_f32_e32 v6, v8, v5
	v_fma_f32 v4, -v4, v6, v7
	s_delay_alu instid0(VALU_DEP_1) | instskip(SKIP_2) | instid1(VALU_DEP_3)
	v_div_fmas_f32 v4, v4, v5, v6
	v_add_co_u32 v1, vcc_lo, s0, v1
	v_add_co_ci_u32_e32 v2, vcc_lo, s1, v2, vcc_lo
	v_div_fixup_f32 v3, v4, 0x42fe0000, v3
	s_delay_alu instid0(VALU_DEP_1)
	v_max_f32_e32 v3, 0x34000000, v3
	global_store_b32 v[1:2], v3, off
.LBB71_50:
	s_or_b32 exec_lo, exec_lo, s3
	s_waitcnt_vscnt null, 0x0
	s_barrier
	buffer_gl0_inv
	s_and_saveexec_b32 s0, s2
	s_cbranch_execz .LBB71_59
; %bb.51:
	s_add_u32 s1, s4, s18
	s_addc_u32 s4, s5, s19
	s_add_i32 s9, s17, s13
	v_mov_b32_e32 v1, 0
	s_lshl_b64 s[2:3], s[8:9], 2
	s_mul_i32 s5, s34, 3
	s_add_u32 s2, s6, s2
	s_addc_u32 s3, s7, s3
	s_lshl_b32 s6, s34, 1
	s_mov_b32 s7, 0
	s_add_i32 s8, s34, s34
                                        ; implicit-def: $sgpr9
	s_branch .LBB71_55
.LBB71_52:                              ;   in Loop: Header=BB71_55 Depth=1
	s_or_b32 exec_lo, exec_lo, s16
	s_delay_alu instid0(SALU_CYCLE_1)
	s_or_not1_b32 s0, s0, exec_lo
.LBB71_53:                              ;   in Loop: Header=BB71_55 Depth=1
	s_or_b32 exec_lo, exec_lo, s15
	s_delay_alu instid0(SALU_CYCLE_1) | instskip(SKIP_1) | instid1(SALU_CYCLE_1)
	s_and_not1_b32 s9, s9, exec_lo
	s_and_b32 s0, s0, exec_lo
	s_or_b32 s9, s9, s0
.LBB71_54:                              ;   in Loop: Header=BB71_55 Depth=1
	s_or_b32 exec_lo, exec_lo, s13
	s_delay_alu instid0(SALU_CYCLE_1) | instskip(NEXT) | instid1(SALU_CYCLE_1)
	s_and_b32 s0, exec_lo, s9
	s_or_b32 s7, s0, s7
	s_delay_alu instid0(SALU_CYCLE_1)
	s_and_not1_b32 exec_lo, exec_lo, s7
	s_cbranch_execz .LBB71_59
.LBB71_55:                              ; =>This Inner Loop Header: Depth=1
	v_lshlrev_b64 v[2:3], 3, v[0:1]
	v_lshrrev_b32_e32 v4, 3, v0
	v_lshlrev_b64 v[10:11], 2, v[0:1]
	s_or_b32 s9, s9, exec_lo
	s_mov_b32 s13, exec_lo
	s_delay_alu instid0(VALU_DEP_2)
	v_and_b32_e32 v8, 0x7fffffc, v4
	v_add_co_u32 v4, vcc_lo, s14, v2
	v_add_co_ci_u32_e32 v5, vcc_lo, s30, v3, vcc_lo
	v_add_co_u32 v6, vcc_lo, s10, v2
	v_add_co_ci_u32_e32 v7, vcc_lo, s11, v3, vcc_lo
	global_load_b64 v[4:5], v[4:5], off
	global_load_b32 v12, v8, s[2:3]
	v_add_co_u32 v8, vcc_lo, s31, v2
	v_add_co_ci_u32_e32 v9, vcc_lo, s33, v3, vcc_lo
	global_load_b64 v[2:3], v[6:7], off
	global_load_b64 v[6:7], v[8:9], off
	s_waitcnt vmcnt(3)
	v_lshlrev_b32_e32 v17, 16, v4
	s_waitcnt vmcnt(2)
	v_div_scale_f32 v13, null, v12, v12, 1.0
	v_div_scale_f32 v14, vcc_lo, 1.0, v12, 1.0
	s_delay_alu instid0(VALU_DEP_2)
	v_rcp_f32_e32 v21, v13
	s_waitcnt vmcnt(0)
	v_and_b32_e32 v18, 0xffff0000, v6
	v_lshlrev_b32_e32 v19, 16, v6
	v_alignbit_b32 v6, v7, v6, 16
	v_and_b32_e32 v7, 0xffff0000, v7
	s_delay_alu instid0(VALU_DEP_2)
	v_and_b32_e32 v6, 0xffff0000, v6
	v_and_b32_e32 v15, 0xffff0000, v4
	v_alignbit_b32 v4, v5, v4, 16
	v_and_b32_e32 v5, 0xffff0000, v5
	v_and_b32_e32 v16, 0xffff0000, v2
	v_fma_f32 v24, -v13, v21, 1.0
	s_delay_alu instid0(VALU_DEP_3) | instskip(SKIP_2) | instid1(VALU_DEP_4)
	v_dual_add_f32 v5, v5, v7 :: v_dual_and_b32 v4, 0xffff0000, v4
	v_lshlrev_b32_e32 v20, 16, v2
	v_alignbit_b32 v2, v3, v2, 16
	v_fmac_f32_e32 v21, v24, v21
	s_delay_alu instid0(VALU_DEP_4)
	v_add_f32_e32 v4, v4, v6
	v_mul_f32_e32 v23, v28, v5
	v_add_f32_e32 v15, v15, v18
	v_bfe_u32 v18, v5, 16, 1
	v_and_b32_e32 v2, 0xffff0000, v2
	v_bfe_u32 v25, v4, 16, 1
	v_mul_f32_e32 v29, v28, v4
	v_mul_f32_e32 v22, v28, v15
	v_add_f32_e32 v17, v17, v19
	v_add3_u32 v18, v5, v18, 0x7fff
	v_bfe_u32 v7, v15, 16, 1
	v_add3_u32 v24, v4, v25, 0x7fff
	v_bfe_u32 v27, v22, 16, 1
	s_delay_alu instid0(VALU_DEP_4) | instskip(SKIP_3) | instid1(VALU_DEP_4)
	v_dual_mul_f32 v19, v28, v17 :: v_dual_and_b32 v18, 0xffff0000, v18
	v_mul_f32_e32 v31, v14, v21
	v_cmp_o_f32_e64 s0, v5, v5
	v_add3_u32 v7, v15, v7, 0x7fff
	v_bfe_u32 v26, v19, 16, 1
	v_bfe_u32 v30, v23, 16, 1
	;; [unrolled: 1-line block ×3, first 2 shown]
	v_cndmask_b32_e64 v5, 0x7fc00000, v18, s0
	v_cmp_o_f32_e64 s0, v15, v15
	v_add3_u32 v25, v19, v26, 0x7fff
	v_add3_u32 v26, v22, v27, 0x7fff
	v_bfe_u32 v27, v29, 16, 1
	v_add3_u32 v30, v23, v30, 0x7fff
	v_add3_u32 v6, v17, v6, 0x7fff
	v_and_b32_e32 v15, 0xffff0000, v25
	v_lshrrev_b32_e32 v24, 16, v24
	v_add3_u32 v25, v29, v27, 0x7fff
	v_fma_f32 v27, -v13, v31, v14
	v_and_b32_e32 v18, 0xffff0000, v26
	v_lshrrev_b32_e32 v6, 16, v6
	s_delay_alu instid0(VALU_DEP_3) | instskip(NEXT) | instid1(VALU_DEP_1)
	v_fmac_f32_e32 v31, v27, v21
	v_fma_f32 v13, -v13, v31, v14
	s_delay_alu instid0(VALU_DEP_1) | instskip(NEXT) | instid1(VALU_DEP_1)
	v_div_fmas_f32 v13, v13, v21, v31
	v_div_fixup_f32 v12, v13, v12, 1.0
	v_and_b32_e32 v7, 0xffff0000, v7
	s_delay_alu instid0(VALU_DEP_1) | instskip(SKIP_2) | instid1(VALU_DEP_2)
	v_cndmask_b32_e64 v7, 0x7fc00000, v7, s0
	v_cmp_o_f32_e64 s0, v19, v19
	v_and_b32_e32 v19, 0xffff0000, v25
	v_cndmask_b32_e64 v15, 0x7fc00000, v15, s0
	v_cmp_o_f32_e64 s0, v22, v22
	s_delay_alu instid0(VALU_DEP_2) | instskip(NEXT) | instid1(VALU_DEP_2)
	v_dual_mul_f32 v15, v15, v20 :: v_dual_and_b32 v26, 0xffff0000, v30
	v_cndmask_b32_e64 v18, 0x7fc00000, v18, s0
	v_cmp_o_f32_e64 s0, v23, v23
	s_delay_alu instid0(VALU_DEP_3) | instskip(NEXT) | instid1(VALU_DEP_3)
	v_bfe_u32 v14, v15, 16, 1
	v_mul_f32_e32 v16, v18, v16
	s_delay_alu instid0(VALU_DEP_3) | instskip(SKIP_4) | instid1(VALU_DEP_4)
	v_cndmask_b32_e64 v22, 0x7fc00000, v26, s0
	v_cmp_o_f32_e64 s0, v29, v29
	v_cmp_o_f32_e32 vcc_lo, v15, v15
	v_add3_u32 v14, v15, v14, 0x7fff
	v_bfe_u32 v18, v16, 16, 1
	v_cndmask_b32_e64 v19, 0x7fc00000, v19, s0
	s_delay_alu instid0(VALU_DEP_3) | instskip(NEXT) | instid1(VALU_DEP_3)
	v_and_b32_e32 v13, 0xffff0000, v14
	v_add3_u32 v18, v16, v18, 0x7fff
	s_delay_alu instid0(VALU_DEP_2) | instskip(NEXT) | instid1(VALU_DEP_2)
	v_dual_mul_f32 v2, v19, v2 :: v_dual_cndmask_b32 v13, 0x7fc00000, v13
	v_and_b32_e32 v14, 0xffff0000, v18
	s_delay_alu instid0(VALU_DEP_2) | instskip(SKIP_1) | instid1(VALU_DEP_4)
	v_bfe_u32 v20, v2, 16, 1
	v_cmp_o_f32_e32 vcc_lo, v2, v2
	v_mul_f32_e32 v13, v12, v13
	s_delay_alu instid0(VALU_DEP_3) | instskip(NEXT) | instid1(VALU_DEP_1)
	v_add3_u32 v20, v2, v20, 0x7fff
	v_and_b32_e32 v18, 0xffff0000, v20
	s_delay_alu instid0(VALU_DEP_1) | instskip(SKIP_2) | instid1(VALU_DEP_2)
	v_cndmask_b32_e32 v2, 0x7fc00000, v18, vcc_lo
	v_and_b32_e32 v3, 0xffff0000, v3
	v_cmp_o_f32_e32 vcc_lo, v16, v16
	v_dual_mul_f32 v2, v12, v2 :: v_dual_mul_f32 v3, v22, v3
	v_cndmask_b32_e32 v14, 0x7fc00000, v14, vcc_lo
	s_delay_alu instid0(VALU_DEP_2) | instskip(NEXT) | instid1(VALU_DEP_3)
	v_rndne_f32_e32 v2, v2
	v_bfe_u32 v19, v3, 16, 1
	v_cmp_o_f32_e32 vcc_lo, v3, v3
	s_delay_alu instid0(VALU_DEP_4) | instskip(NEXT) | instid1(VALU_DEP_3)
	v_mul_f32_e32 v14, v12, v14
	v_add3_u32 v19, v3, v19, 0x7fff
	s_delay_alu instid0(VALU_DEP_1) | instskip(NEXT) | instid1(VALU_DEP_1)
	v_and_b32_e32 v19, 0xffff0000, v19
	v_cndmask_b32_e32 v3, 0x7fc00000, v19, vcc_lo
	v_cmp_o_f32_e32 vcc_lo, v17, v17
	s_delay_alu instid0(VALU_DEP_2) | instskip(SKIP_3) | instid1(VALU_DEP_4)
	v_dual_mul_f32 v3, v12, v3 :: v_dual_cndmask_b32 v6, 0x7fc0, v6
	v_cmp_o_f32_e32 vcc_lo, v4, v4
	v_rndne_f32_e32 v12, v13
	v_rndne_f32_e32 v13, v14
	;; [unrolled: 1-line block ×3, first 2 shown]
	v_or_b32_e32 v6, v6, v7
	v_cndmask_b32_e32 v4, 0x7fc0, v24, vcc_lo
	v_cmp_nlt_f32_e32 vcc_lo, 0x42fe0000, v2
	s_delay_alu instid0(VALU_DEP_2)
	v_or3_b32 v4, 0, v4, v5
	v_cndmask_b32_e32 v14, 0x42fe0000, v2, vcc_lo
	v_cmp_nlt_f32_e32 vcc_lo, 0x42fe0000, v12
	v_cndmask_b32_e32 v15, 0x42fe0000, v12, vcc_lo
	v_cmp_nlt_f32_e32 vcc_lo, 0x42fe0000, v13
	v_cndmask_b32_e32 v16, 0x42fe0000, v13, vcc_lo
	v_cmp_ngt_f32_e32 vcc_lo, 0xc3000000, v2
	v_cndmask_b32_e32 v2, 0xc3000000, v14, vcc_lo
	v_cmp_nlt_f32_e32 vcc_lo, 0x42fe0000, v3
	s_delay_alu instid0(VALU_DEP_2) | instskip(SKIP_2) | instid1(VALU_DEP_3)
	v_cvt_i32_f32_e32 v2, v2
	v_cndmask_b32_e32 v14, 0x42fe0000, v3, vcc_lo
	v_cmp_ngt_f32_e32 vcc_lo, 0xc3000000, v13
	v_and_b32_e32 v2, 0xff, v2
	v_cndmask_b32_e32 v13, 0xc3000000, v16, vcc_lo
	v_cmp_ngt_f32_e32 vcc_lo, 0xc3000000, v12
	s_delay_alu instid0(VALU_DEP_3) | instskip(NEXT) | instid1(VALU_DEP_3)
	v_lshlrev_b32_e32 v2, 16, v2
	v_cvt_i32_f32_e32 v13, v13
	v_cndmask_b32_e32 v12, 0xc3000000, v15, vcc_lo
	v_cmp_ngt_f32_e32 vcc_lo, 0xc3000000, v3
	s_delay_alu instid0(VALU_DEP_3) | instskip(NEXT) | instid1(VALU_DEP_3)
	v_and_b32_e32 v13, 0xff, v13
	v_cvt_i32_f32_e32 v7, v12
	v_cndmask_b32_e32 v3, 0xc3000000, v14, vcc_lo
	v_add_co_u32 v5, vcc_lo, s1, v10
	s_delay_alu instid0(VALU_DEP_4) | instskip(NEXT) | instid1(VALU_DEP_4)
	v_lshlrev_b32_e32 v13, 8, v13
	v_and_b32_e32 v7, 0xff, v7
	s_delay_alu instid0(VALU_DEP_4) | instskip(SKIP_2) | instid1(VALU_DEP_3)
	v_cvt_i32_f32_e32 v12, v3
	v_or3_b32 v3, v6, 0, 0
	v_add_co_ci_u32_e32 v6, vcc_lo, s4, v11, vcc_lo
	v_lshl_or_b32 v12, v12, 24, v2
	v_add_nc_u32_e32 v2, s34, v0
	global_store_b64 v[8:9], v[3:4], off
	v_or3_b32 v7, v12, v13, v7
	global_store_b32 v[5:6], v7, off
	v_cmpx_gt_u32_e64 s12, v2
	s_cbranch_execz .LBB71_54
; %bb.56:                               ;   in Loop: Header=BB71_55 Depth=1
	v_lshrrev_b32_e32 v4, 3, v2
	v_mov_b32_e32 v3, v1
	s_mov_b32 s15, exec_lo
	s_delay_alu instid0(VALU_DEP_2) | instskip(NEXT) | instid1(VALU_DEP_2)
	v_and_b32_e32 v6, 0x7fffffc, v4
	v_lshlrev_b64 v[4:5], 3, v[2:3]
	v_lshlrev_b64 v[12:13], 2, v[2:3]
	global_load_b32 v14, v6, s[2:3]
	v_add_co_u32 v6, vcc_lo, s14, v4
	v_add_co_ci_u32_e32 v7, vcc_lo, s30, v5, vcc_lo
	v_add_co_u32 v8, vcc_lo, s10, v4
	v_add_co_ci_u32_e32 v9, vcc_lo, s11, v5, vcc_lo
	;; [unrolled: 2-line block ×3, first 2 shown]
	global_load_b64 v[6:7], v[6:7], off
	global_load_b64 v[8:9], v[8:9], off
	;; [unrolled: 1-line block ×3, first 2 shown]
	s_waitcnt vmcnt(3)
	v_div_scale_f32 v15, null, v14, v14, 1.0
	v_div_scale_f32 v3, vcc_lo, 1.0, v14, 1.0
	s_delay_alu instid0(VALU_DEP_2)
	v_rcp_f32_e32 v16, v15
	s_waitcnt vmcnt(2)
	v_and_b32_e32 v17, 0xffff0000, v6
	v_lshlrev_b32_e32 v19, 16, v6
	v_alignbit_b32 v6, v7, v6, 16
	s_waitcnt vmcnt(0)
	v_and_b32_e32 v20, 0xffff0000, v10
	v_lshlrev_b32_e32 v21, 16, v10
	v_alignbit_b32 v10, v11, v10, 16
	v_and_b32_e32 v11, 0xffff0000, v11
	v_and_b32_e32 v6, 0xffff0000, v6
	s_delay_alu instid0(VALU_DEP_3) | instskip(NEXT) | instid1(VALU_DEP_1)
	v_and_b32_e32 v10, 0xffff0000, v10
	v_dual_add_f32 v6, v6, v10 :: v_dual_and_b32 v7, 0xffff0000, v7
	s_delay_alu instid0(VALU_DEP_1) | instskip(SKIP_1) | instid1(VALU_DEP_3)
	v_add_f32_e32 v7, v7, v11
	v_fma_f32 v11, -v15, v16, 1.0
	v_mul_f32_e32 v29, v28, v6
	s_delay_alu instid0(VALU_DEP_3) | instskip(NEXT) | instid1(VALU_DEP_3)
	v_cmp_o_f32_e64 s0, v7, v7
	v_fmac_f32_e32 v16, v11, v16
	v_add_f32_e32 v17, v17, v20
	v_mul_f32_e32 v25, v28, v7
	v_bfe_u32 v32, v29, 16, 1
	s_delay_alu instid0(VALU_DEP_3) | instskip(SKIP_3) | instid1(VALU_DEP_4)
	v_mul_f32_e32 v24, v28, v17
	v_dual_add_f32 v19, v19, v21 :: v_dual_and_b32 v18, 0xffff0000, v8
	v_lshlrev_b32_e32 v22, 16, v8
	v_bfe_u32 v21, v7, 16, 1
	v_bfe_u32 v27, v24, 16, 1
	v_bfe_u32 v20, v17, 16, 1
	v_mul_f32_e32 v23, v28, v19
	v_alignbit_b32 v8, v9, v8, 16
	v_add3_u32 v21, v7, v21, 0x7fff
	v_add3_u32 v27, v24, v27, 0x7fff
	v_mul_f32_e32 v31, v3, v16
	v_bfe_u32 v26, v23, 16, 1
	v_add3_u32 v11, v17, v20, 0x7fff
	v_and_b32_e32 v21, 0xffff0000, v21
	v_and_b32_e32 v8, 0xffff0000, v8
	v_bfe_u32 v30, v25, 16, 1
	v_add3_u32 v26, v23, v26, 0x7fff
	v_bfe_u32 v10, v19, 16, 1
	v_cndmask_b32_e64 v7, 0x7fc00000, v21, s0
	v_cmp_o_f32_e64 s0, v17, v17
	v_add3_u32 v30, v25, v30, 0x7fff
	v_and_b32_e32 v17, 0xffff0000, v26
	v_and_b32_e32 v26, 0xffff0000, v27
	v_fma_f32 v33, -v15, v31, v3
	v_add3_u32 v21, v29, v32, 0x7fff
	v_and_b32_e32 v27, 0xffff0000, v30
	v_add3_u32 v10, v19, v10, 0x7fff
	v_bfe_u32 v20, v6, 16, 1
	v_fmac_f32_e32 v31, v33, v16
	v_and_b32_e32 v21, 0xffff0000, v21
	s_delay_alu instid0(VALU_DEP_4) | instskip(NEXT) | instid1(VALU_DEP_4)
	v_lshrrev_b32_e32 v10, 16, v10
	v_add3_u32 v20, v6, v20, 0x7fff
	s_delay_alu instid0(VALU_DEP_4) | instskip(NEXT) | instid1(VALU_DEP_2)
	v_fma_f32 v3, -v15, v31, v3
	v_lshrrev_b32_e32 v20, 16, v20
	s_delay_alu instid0(VALU_DEP_2) | instskip(NEXT) | instid1(VALU_DEP_1)
	v_div_fmas_f32 v3, v3, v16, v31
	v_div_fixup_f32 v3, v3, v14, 1.0
	v_and_b32_e32 v11, 0xffff0000, v11
	s_delay_alu instid0(VALU_DEP_1) | instskip(SKIP_1) | instid1(VALU_DEP_1)
	v_cndmask_b32_e64 v11, 0x7fc00000, v11, s0
	v_cmp_o_f32_e64 s0, v23, v23
	v_cndmask_b32_e64 v17, 0x7fc00000, v17, s0
	v_cmp_o_f32_e64 s0, v24, v24
	s_delay_alu instid0(VALU_DEP_1) | instskip(SKIP_1) | instid1(VALU_DEP_2)
	v_cndmask_b32_e64 v23, 0x7fc00000, v26, s0
	v_cmp_o_f32_e64 s0, v25, v25
	v_mul_f32_e32 v18, v23, v18
	s_delay_alu instid0(VALU_DEP_2) | instskip(SKIP_1) | instid1(VALU_DEP_1)
	v_cndmask_b32_e64 v24, 0x7fc00000, v27, s0
	v_cmp_o_f32_e64 s0, v29, v29
	v_cndmask_b32_e64 v21, 0x7fc00000, v21, s0
	v_and_b32_e32 v9, 0xffff0000, v9
	s_mov_b32 s0, -1
	s_delay_alu instid0(VALU_DEP_2) | instskip(SKIP_1) | instid1(VALU_DEP_2)
	v_mul_f32_e32 v8, v21, v8
	v_bfe_u32 v21, v18, 16, 1
	v_bfe_u32 v23, v8, 16, 1
	s_delay_alu instid0(VALU_DEP_2) | instskip(NEXT) | instid1(VALU_DEP_2)
	v_add3_u32 v16, v18, v21, 0x7fff
	v_add3_u32 v21, v8, v23, 0x7fff
	v_mul_f32_e32 v17, v17, v22
	s_delay_alu instid0(VALU_DEP_1) | instskip(NEXT) | instid1(VALU_DEP_1)
	v_bfe_u32 v15, v17, 16, 1
	v_add3_u32 v15, v17, v15, 0x7fff
	s_delay_alu instid0(VALU_DEP_1) | instskip(SKIP_3) | instid1(VALU_DEP_4)
	v_and_b32_e32 v14, 0xffff0000, v15
	v_and_b32_e32 v15, 0xffff0000, v16
	v_and_b32_e32 v16, 0xffff0000, v21
	v_cmp_o_f32_e32 vcc_lo, v17, v17
	v_dual_mul_f32 v9, v24, v9 :: v_dual_cndmask_b32 v14, 0x7fc00000, v14
	s_delay_alu instid0(VALU_DEP_1) | instskip(SKIP_1) | instid1(VALU_DEP_3)
	v_bfe_u32 v22, v9, 16, 1
	v_cmp_o_f32_e32 vcc_lo, v8, v8
	v_mul_f32_e32 v14, v3, v14
	s_delay_alu instid0(VALU_DEP_3) | instskip(SKIP_2) | instid1(VALU_DEP_2)
	v_add3_u32 v22, v9, v22, 0x7fff
	v_cndmask_b32_e32 v8, 0x7fc00000, v16, vcc_lo
	v_cmp_o_f32_e32 vcc_lo, v18, v18
	v_dual_mul_f32 v8, v3, v8 :: v_dual_and_b32 v21, 0xffff0000, v22
	v_cndmask_b32_e32 v15, 0x7fc00000, v15, vcc_lo
	v_cmp_o_f32_e32 vcc_lo, v9, v9
	s_delay_alu instid0(VALU_DEP_3) | instskip(NEXT) | instid1(VALU_DEP_3)
	v_rndne_f32_e32 v8, v8
	v_mul_f32_e32 v15, v3, v15
	v_cndmask_b32_e32 v9, 0x7fc00000, v21, vcc_lo
	v_cmp_o_f32_e32 vcc_lo, v19, v19
	v_cndmask_b32_e32 v10, 0x7fc0, v10, vcc_lo
	v_cmp_o_f32_e32 vcc_lo, v6, v6
	s_delay_alu instid0(VALU_DEP_4)
	v_mul_f32_e32 v3, v3, v9
	v_rndne_f32_e32 v9, v14
	v_rndne_f32_e32 v14, v15
	v_or_b32_e32 v10, v10, v11
	v_cndmask_b32_e32 v6, 0x7fc0, v20, vcc_lo
	v_cmp_nlt_f32_e32 vcc_lo, 0x42fe0000, v8
	v_rndne_f32_e32 v3, v3
	s_delay_alu instid0(VALU_DEP_3)
	v_or3_b32 v7, 0, v6, v7
	v_cndmask_b32_e32 v15, 0x42fe0000, v8, vcc_lo
	v_cmp_nlt_f32_e32 vcc_lo, 0x42fe0000, v9
	v_or3_b32 v6, v10, 0, 0
	v_cndmask_b32_e32 v16, 0x42fe0000, v9, vcc_lo
	v_cmp_nlt_f32_e32 vcc_lo, 0x42fe0000, v14
	global_store_b64 v[4:5], v[6:7], off
	v_cndmask_b32_e32 v17, 0x42fe0000, v14, vcc_lo
	v_cmp_ngt_f32_e32 vcc_lo, 0xc3000000, v8
	v_cndmask_b32_e32 v8, 0xc3000000, v15, vcc_lo
	v_cmp_nlt_f32_e32 vcc_lo, 0x42fe0000, v3
	s_delay_alu instid0(VALU_DEP_2) | instskip(SKIP_2) | instid1(VALU_DEP_3)
	v_cvt_i32_f32_e32 v8, v8
	v_cndmask_b32_e32 v15, 0x42fe0000, v3, vcc_lo
	v_cmp_ngt_f32_e32 vcc_lo, 0xc3000000, v14
	v_and_b32_e32 v8, 0xff, v8
	v_cndmask_b32_e32 v14, 0xc3000000, v17, vcc_lo
	v_cmp_ngt_f32_e32 vcc_lo, 0xc3000000, v9
	s_delay_alu instid0(VALU_DEP_3) | instskip(NEXT) | instid1(VALU_DEP_3)
	v_lshlrev_b32_e32 v8, 16, v8
	v_cvt_i32_f32_e32 v14, v14
	s_delay_alu instid0(VALU_DEP_1) | instskip(NEXT) | instid1(VALU_DEP_1)
	v_and_b32_e32 v11, 0xff, v14
	v_lshlrev_b32_e32 v11, 8, v11
	v_cndmask_b32_e32 v9, 0xc3000000, v16, vcc_lo
	v_cmp_ngt_f32_e32 vcc_lo, 0xc3000000, v3
	s_delay_alu instid0(VALU_DEP_2) | instskip(SKIP_1) | instid1(VALU_DEP_2)
	v_cvt_i32_f32_e32 v9, v9
	v_cndmask_b32_e32 v3, 0xc3000000, v15, vcc_lo
	v_and_b32_e32 v10, 0xff, v9
	s_delay_alu instid0(VALU_DEP_2) | instskip(NEXT) | instid1(VALU_DEP_1)
	v_cvt_i32_f32_e32 v3, v3
	v_lshl_or_b32 v14, v3, 24, v8
	v_add_co_u32 v8, vcc_lo, s1, v12
	v_add_nc_u32_e32 v3, s6, v0
	v_add_co_ci_u32_e32 v9, vcc_lo, s4, v13, vcc_lo
	s_delay_alu instid0(VALU_DEP_4)
	v_or3_b32 v10, v14, v11, v10
	global_store_b32 v[8:9], v10, off
	v_cmpx_gt_u32_e64 s12, v3
	s_cbranch_execz .LBB71_53
; %bb.57:                               ;   in Loop: Header=BB71_55 Depth=1
	v_lshrrev_b32_e32 v5, 3, v3
	v_mov_b32_e32 v4, v1
	v_add_nc_u32_e32 v0, s5, v0
	s_mov_b32 s16, exec_lo
	s_delay_alu instid0(VALU_DEP_3) | instskip(NEXT) | instid1(VALU_DEP_3)
	v_and_b32_e32 v7, 0x7fffffc, v5
	v_lshlrev_b64 v[5:6], 3, v[3:4]
	v_lshlrev_b64 v[3:4], 2, v[3:4]
	global_load_b32 v13, v7, s[2:3]
	v_add_co_u32 v7, vcc_lo, s14, v5
	v_add_co_ci_u32_e32 v8, vcc_lo, s30, v6, vcc_lo
	v_add_co_u32 v9, vcc_lo, s10, v5
	v_add_co_ci_u32_e32 v10, vcc_lo, s11, v6, vcc_lo
	;; [unrolled: 2-line block ×3, first 2 shown]
	global_load_b64 v[7:8], v[7:8], off
	global_load_b64 v[9:10], v[9:10], off
	;; [unrolled: 1-line block ×3, first 2 shown]
	s_waitcnt vmcnt(3)
	v_div_scale_f32 v14, null, v13, v13, 1.0
	v_div_scale_f32 v15, vcc_lo, 1.0, v13, 1.0
	s_delay_alu instid0(VALU_DEP_2)
	v_rcp_f32_e32 v16, v14
	s_waitcnt vmcnt(2)
	v_lshlrev_b32_e32 v19, 16, v7
	s_waitcnt vmcnt(0)
	v_and_b32_e32 v20, 0xffff0000, v11
	v_lshlrev_b32_e32 v21, 16, v11
	v_alignbit_b32 v11, v12, v11, 16
	s_delay_alu instid0(VALU_DEP_1) | instskip(SKIP_4) | instid1(VALU_DEP_2)
	v_and_b32_e32 v11, 0xffff0000, v11
	v_and_b32_e32 v12, 0xffff0000, v12
	;; [unrolled: 1-line block ×3, first 2 shown]
	v_alignbit_b32 v7, v8, v7, 16
	v_and_b32_e32 v8, 0xffff0000, v8
	v_and_b32_e32 v7, 0xffff0000, v7
	s_delay_alu instid0(VALU_DEP_1) | instskip(SKIP_1) | instid1(VALU_DEP_2)
	v_dual_add_f32 v7, v7, v11 :: v_dual_add_f32 v8, v8, v12
	v_fma_f32 v12, -v14, v16, 1.0
	v_mul_f32_e32 v29, v28, v7
	s_delay_alu instid0(VALU_DEP_3) | instskip(SKIP_1) | instid1(VALU_DEP_4)
	v_dual_mul_f32 v25, v28, v8 :: v_dual_and_b32 v18, 0xffff0000, v9
	v_add_f32_e32 v17, v17, v20
	v_fmac_f32_e32 v16, v12, v16
	v_cmp_o_f32_e64 s0, v8, v8
	s_delay_alu instid0(VALU_DEP_4)
	v_bfe_u32 v30, v25, 16, 1
	v_bfe_u32 v32, v29, 16, 1
	v_mul_f32_e32 v24, v28, v17
	v_add_f32_e32 v19, v19, v21
	v_bfe_u32 v21, v8, 16, 1
	v_lshlrev_b32_e32 v22, 16, v9
	v_bfe_u32 v20, v17, 16, 1
	v_bfe_u32 v27, v24, 16, 1
	v_mul_f32_e32 v23, v28, v19
	v_add3_u32 v21, v8, v21, 0x7fff
	v_alignbit_b32 v9, v10, v9, 16
	v_add3_u32 v12, v17, v20, 0x7fff
	v_add3_u32 v27, v24, v27, 0x7fff
	v_bfe_u32 v26, v23, 16, 1
	v_and_b32_e32 v21, 0xffff0000, v21
	v_mul_f32_e32 v31, v15, v16
	v_and_b32_e32 v12, 0xffff0000, v12
	v_and_b32_e32 v10, 0xffff0000, v10
	v_add3_u32 v26, v23, v26, 0x7fff
	v_cndmask_b32_e64 v8, 0x7fc00000, v21, s0
	v_cmp_o_f32_e64 s0, v17, v17
	v_add3_u32 v30, v25, v30, 0x7fff
	v_add3_u32 v21, v29, v32, 0x7fff
	v_and_b32_e32 v17, 0xffff0000, v26
	v_and_b32_e32 v26, 0xffff0000, v27
	v_cndmask_b32_e64 v12, 0x7fc00000, v12, s0
	v_cmp_o_f32_e64 s0, v23, v23
	v_fma_f32 v33, -v14, v31, v15
	v_and_b32_e32 v27, 0xffff0000, v30
	v_and_b32_e32 v21, 0xffff0000, v21
	v_bfe_u32 v11, v19, 16, 1
	v_cndmask_b32_e64 v17, 0x7fc00000, v17, s0
	v_fmac_f32_e32 v31, v33, v16
	v_cmp_o_f32_e64 s0, v24, v24
	v_bfe_u32 v20, v7, 16, 1
	v_add3_u32 v11, v19, v11, 0x7fff
	v_mul_f32_e32 v17, v17, v22
	v_fma_f32 v14, -v14, v31, v15
	v_cndmask_b32_e64 v23, 0x7fc00000, v26, s0
	v_cmp_o_f32_e64 s0, v25, v25
	v_lshrrev_b32_e32 v11, 16, v11
	v_bfe_u32 v15, v17, 16, 1
	v_div_fmas_f32 v14, v14, v16, v31
	v_cmp_o_f32_e32 vcc_lo, v17, v17
	v_cndmask_b32_e64 v24, 0x7fc00000, v27, s0
	v_cmp_o_f32_e64 s0, v29, v29
	v_add3_u32 v15, v17, v15, 0x7fff
	v_div_fixup_f32 v13, v14, v13, 1.0
	v_mul_f32_e32 v18, v23, v18
	v_mul_f32_e32 v10, v24, v10
	v_cndmask_b32_e64 v21, 0x7fc00000, v21, s0
	v_and_b32_e32 v14, 0xffff0000, v15
	v_add3_u32 v20, v7, v20, 0x7fff
	s_mov_b32 s0, -1
	v_bfe_u32 v22, v10, 16, 1
	s_delay_alu instid0(VALU_DEP_3) | instskip(SKIP_2) | instid1(VALU_DEP_4)
	v_cndmask_b32_e32 v14, 0x7fc00000, v14, vcc_lo
	v_and_b32_e32 v9, 0xffff0000, v9
	v_lshrrev_b32_e32 v20, 16, v20
	v_add3_u32 v22, v10, v22, 0x7fff
	s_delay_alu instid0(VALU_DEP_4) | instskip(NEXT) | instid1(VALU_DEP_4)
	v_mul_f32_e32 v14, v13, v14
	v_mul_f32_e32 v9, v21, v9
	v_bfe_u32 v21, v18, 16, 1
	s_delay_alu instid0(VALU_DEP_2) | instskip(NEXT) | instid1(VALU_DEP_2)
	v_bfe_u32 v23, v9, 16, 1
	v_add3_u32 v16, v18, v21, 0x7fff
	v_cmp_o_f32_e32 vcc_lo, v9, v9
	s_delay_alu instid0(VALU_DEP_3) | instskip(NEXT) | instid1(VALU_DEP_3)
	v_add3_u32 v21, v9, v23, 0x7fff
	v_and_b32_e32 v15, 0xffff0000, v16
	s_delay_alu instid0(VALU_DEP_2) | instskip(SKIP_1) | instid1(VALU_DEP_2)
	v_and_b32_e32 v16, 0xffff0000, v21
	v_and_b32_e32 v21, 0xffff0000, v22
	v_cndmask_b32_e32 v9, 0x7fc00000, v16, vcc_lo
	v_cmp_o_f32_e32 vcc_lo, v18, v18
	s_delay_alu instid0(VALU_DEP_2) | instskip(SKIP_2) | instid1(VALU_DEP_3)
	v_mul_f32_e32 v9, v13, v9
	v_cndmask_b32_e32 v15, 0x7fc00000, v15, vcc_lo
	v_cmp_o_f32_e32 vcc_lo, v10, v10
	v_rndne_f32_e32 v9, v9
	s_delay_alu instid0(VALU_DEP_3) | instskip(SKIP_1) | instid1(VALU_DEP_2)
	v_dual_mul_f32 v15, v13, v15 :: v_dual_cndmask_b32 v10, 0x7fc00000, v21
	v_cmp_o_f32_e32 vcc_lo, v19, v19
	v_dual_mul_f32 v10, v13, v10 :: v_dual_cndmask_b32 v11, 0x7fc0, v11
	v_cmp_o_f32_e32 vcc_lo, v7, v7
	v_rndne_f32_e32 v13, v14
	v_rndne_f32_e32 v14, v15
	s_delay_alu instid0(VALU_DEP_4) | instskip(SKIP_3) | instid1(VALU_DEP_2)
	v_rndne_f32_e32 v10, v10
	v_or_b32_e32 v11, v11, v12
	v_cndmask_b32_e32 v7, 0x7fc0, v20, vcc_lo
	v_cmp_nlt_f32_e32 vcc_lo, 0x42fe0000, v9
	v_or3_b32 v8, 0, v7, v8
	v_cndmask_b32_e32 v15, 0x42fe0000, v9, vcc_lo
	v_cmp_nlt_f32_e32 vcc_lo, 0x42fe0000, v13
	v_or3_b32 v7, v11, 0, 0
	v_cndmask_b32_e32 v16, 0x42fe0000, v13, vcc_lo
	v_cmp_nlt_f32_e32 vcc_lo, 0x42fe0000, v14
	global_store_b64 v[5:6], v[7:8], off
	v_cndmask_b32_e32 v17, 0x42fe0000, v14, vcc_lo
	v_cmp_ngt_f32_e32 vcc_lo, 0xc3000000, v9
	v_cndmask_b32_e32 v9, 0xc3000000, v15, vcc_lo
	v_cmp_nlt_f32_e32 vcc_lo, 0x42fe0000, v10
	s_delay_alu instid0(VALU_DEP_2) | instskip(SKIP_2) | instid1(VALU_DEP_3)
	v_cvt_i32_f32_e32 v9, v9
	v_cndmask_b32_e32 v15, 0x42fe0000, v10, vcc_lo
	v_cmp_ngt_f32_e32 vcc_lo, 0xc3000000, v14
	v_and_b32_e32 v9, 0xff, v9
	v_cndmask_b32_e32 v14, 0xc3000000, v17, vcc_lo
	v_cmp_ngt_f32_e32 vcc_lo, 0xc3000000, v13
	s_delay_alu instid0(VALU_DEP_3) | instskip(NEXT) | instid1(VALU_DEP_3)
	v_lshlrev_b32_e32 v9, 16, v9
	v_cvt_i32_f32_e32 v14, v14
	v_cndmask_b32_e32 v13, 0xc3000000, v16, vcc_lo
	v_cmp_ngt_f32_e32 vcc_lo, 0xc3000000, v10
	s_delay_alu instid0(VALU_DEP_2) | instskip(SKIP_3) | instid1(VALU_DEP_4)
	v_cvt_i32_f32_e32 v12, v13
	v_cndmask_b32_e32 v10, 0xc3000000, v15, vcc_lo
	v_and_b32_e32 v13, 0xff, v14
	v_add_co_u32 v3, vcc_lo, s1, v3
	v_and_b32_e32 v11, 0xff, v12
	s_delay_alu instid0(VALU_DEP_4) | instskip(NEXT) | instid1(VALU_DEP_4)
	v_cvt_i32_f32_e32 v10, v10
	v_lshlrev_b32_e32 v12, 8, v13
	v_add_co_ci_u32_e32 v4, vcc_lo, s4, v4, vcc_lo
	s_delay_alu instid0(VALU_DEP_3) | instskip(NEXT) | instid1(VALU_DEP_1)
	v_lshl_or_b32 v9, v10, 24, v9
	v_or3_b32 v9, v9, v12, v11
	global_store_b32 v[3:4], v9, off
	v_cmpx_gt_u32_e64 s12, v0
	s_cbranch_execz .LBB71_52
; %bb.58:                               ;   in Loop: Header=BB71_55 Depth=1
	v_lshlrev_b64 v[3:4], 3, v[0:1]
	v_lshrrev_b32_e32 v5, 3, v0
	v_lshlrev_b64 v[11:12], 2, v[0:1]
	v_add3_u32 v0, s8, s34, v2
	s_delay_alu instid0(VALU_DEP_3)
	v_and_b32_e32 v9, 0x7fffffc, v5
	v_add_co_u32 v5, vcc_lo, s14, v3
	v_add_co_ci_u32_e32 v6, vcc_lo, s30, v4, vcc_lo
	v_add_co_u32 v7, vcc_lo, s10, v3
	v_add_co_ci_u32_e32 v8, vcc_lo, s11, v4, vcc_lo
	;; [unrolled: 2-line block ×3, first 2 shown]
	global_load_b64 v[5:6], v[5:6], off
	global_load_b32 v13, v9, s[2:3]
	global_load_b64 v[7:8], v[7:8], off
	global_load_b64 v[9:10], v[3:4], off
	s_waitcnt vmcnt(2)
	v_div_scale_f32 v2, null, v13, v13, 1.0
	s_waitcnt vmcnt(0)
	v_and_b32_e32 v18, 0xffff0000, v9
	v_and_b32_e32 v16, 0xffff0000, v7
	;; [unrolled: 1-line block ×3, first 2 shown]
	v_lshlrev_b32_e32 v20, 16, v7
	v_alignbit_b32 v7, v8, v7, 16
	v_and_b32_e32 v8, 0xffff0000, v8
	v_lshlrev_b32_e32 v19, 16, v9
	v_alignbit_b32 v9, v10, v9, 16
	v_add_f32_e32 v15, v15, v18
	v_lshlrev_b32_e32 v17, 16, v5
	v_alignbit_b32 v5, v6, v5, 16
	v_rcp_f32_e32 v21, v2
	s_delay_alu instid0(VALU_DEP_3) | instskip(NEXT) | instid1(VALU_DEP_3)
	v_dual_mul_f32 v22, v28, v15 :: v_dual_and_b32 v9, 0xffff0000, v9
	v_dual_add_f32 v17, v17, v19 :: v_dual_and_b32 v6, 0xffff0000, v6
	s_delay_alu instid0(VALU_DEP_3) | instskip(SKIP_2) | instid1(VALU_DEP_4)
	v_and_b32_e32 v5, 0xffff0000, v5
	v_and_b32_e32 v10, 0xffff0000, v10
	v_div_scale_f32 v14, vcc_lo, 1.0, v13, 1.0
	v_mul_f32_e32 v19, v28, v17
	s_delay_alu instid0(VALU_DEP_3) | instskip(SKIP_1) | instid1(TRANS32_DEP_1)
	v_dual_add_f32 v5, v5, v9 :: v_dual_add_f32 v6, v6, v10
	v_bfe_u32 v10, v15, 16, 1
	v_fma_f32 v24, -v2, v21, 1.0
	s_delay_alu instid0(VALU_DEP_4) | instskip(NEXT) | instid1(VALU_DEP_4)
	v_bfe_u32 v26, v19, 16, 1
	v_bfe_u32 v25, v5, 16, 1
	;; [unrolled: 1-line block ×3, first 2 shown]
	v_add3_u32 v10, v15, v10, 0x7fff
	v_fmac_f32_e32 v21, v24, v21
	v_cmp_o_f32_e64 s0, v6, v6
	v_mul_f32_e32 v23, v28, v6
	v_add3_u32 v18, v6, v18, 0x7fff
	v_and_b32_e32 v10, 0xffff0000, v10
	v_bfe_u32 v27, v22, 16, 1
	v_mul_f32_e32 v29, v28, v5
	v_add3_u32 v24, v5, v25, 0x7fff
	v_dual_mul_f32 v31, v14, v21 :: v_dual_and_b32 v18, 0xffff0000, v18
	v_add3_u32 v25, v19, v26, 0x7fff
	v_bfe_u32 v30, v23, 16, 1
	v_add3_u32 v26, v22, v27, 0x7fff
	s_delay_alu instid0(VALU_DEP_4)
	v_cndmask_b32_e64 v6, 0x7fc00000, v18, s0
	v_cmp_o_f32_e64 s0, v15, v15
	v_bfe_u32 v27, v29, 16, 1
	v_and_b32_e32 v15, 0xffff0000, v25
	v_add3_u32 v30, v23, v30, 0x7fff
	v_and_b32_e32 v7, 0xffff0000, v7
	v_cndmask_b32_e64 v10, 0x7fc00000, v10, s0
	v_cmp_o_f32_e64 s0, v19, v19
	v_add3_u32 v25, v29, v27, 0x7fff
	v_fma_f32 v27, -v2, v31, v14
	v_and_b32_e32 v18, 0xffff0000, v26
	v_bfe_u32 v9, v17, 16, 1
	v_cndmask_b32_e64 v15, 0x7fc00000, v15, s0
	v_cmp_o_f32_e64 s0, v22, v22
	v_dual_fmac_f32 v31, v27, v21 :: v_dual_and_b32 v26, 0xffff0000, v30
	v_and_b32_e32 v19, 0xffff0000, v25
	s_delay_alu instid0(VALU_DEP_4) | instskip(NEXT) | instid1(VALU_DEP_4)
	v_mul_f32_e32 v15, v15, v20
	v_cndmask_b32_e64 v18, 0x7fc00000, v18, s0
	v_cmp_o_f32_e64 s0, v23, v23
	v_fma_f32 v2, -v2, v31, v14
	v_add3_u32 v9, v17, v9, 0x7fff
	v_bfe_u32 v14, v15, 16, 1
	v_mul_f32_e32 v16, v18, v16
	v_cndmask_b32_e64 v22, 0x7fc00000, v26, s0
	v_cmp_o_f32_e64 s0, v29, v29
	v_div_fmas_f32 v2, v2, v21, v31
	v_add3_u32 v14, v15, v14, 0x7fff
	v_bfe_u32 v18, v16, 16, 1
	v_mul_f32_e32 v8, v22, v8
	v_cndmask_b32_e64 v19, 0x7fc00000, v19, s0
	v_div_fixup_f32 v2, v2, v13, 1.0
	v_and_b32_e32 v13, 0xffff0000, v14
	v_add3_u32 v18, v16, v18, 0x7fff
	v_cmp_o_f32_e32 vcc_lo, v15, v15
	v_mul_f32_e32 v7, v19, v7
	v_bfe_u32 v19, v8, 16, 1
	v_lshrrev_b32_e32 v9, 16, v9
	v_and_b32_e32 v14, 0xffff0000, v18
	v_cndmask_b32_e32 v13, 0x7fc00000, v13, vcc_lo
	v_bfe_u32 v20, v7, 16, 1
	v_cmp_o_f32_e32 vcc_lo, v7, v7
	v_add3_u32 v19, v8, v19, 0x7fff
	v_lshrrev_b32_e32 v24, 16, v24
	v_mul_f32_e32 v13, v2, v13
	v_add3_u32 v20, v7, v20, 0x7fff
	s_delay_alu instid0(VALU_DEP_4) | instskip(NEXT) | instid1(VALU_DEP_2)
	v_and_b32_e32 v19, 0xffff0000, v19
	v_and_b32_e32 v18, 0xffff0000, v20
	s_delay_alu instid0(VALU_DEP_1) | instskip(SKIP_1) | instid1(VALU_DEP_2)
	v_cndmask_b32_e32 v7, 0x7fc00000, v18, vcc_lo
	v_cmp_o_f32_e32 vcc_lo, v16, v16
	v_dual_mul_f32 v7, v2, v7 :: v_dual_cndmask_b32 v14, 0x7fc00000, v14
	v_cmp_o_f32_e32 vcc_lo, v8, v8
	s_delay_alu instid0(VALU_DEP_2) | instskip(NEXT) | instid1(VALU_DEP_3)
	v_rndne_f32_e32 v7, v7
	v_mul_f32_e32 v14, v2, v14
	v_cndmask_b32_e32 v8, 0x7fc00000, v19, vcc_lo
	v_cmp_o_f32_e32 vcc_lo, v17, v17
	s_delay_alu instid0(VALU_DEP_2) | instskip(SKIP_3) | instid1(VALU_DEP_4)
	v_dual_mul_f32 v2, v2, v8 :: v_dual_cndmask_b32 v9, 0x7fc0, v9
	v_cmp_o_f32_e32 vcc_lo, v5, v5
	v_rndne_f32_e32 v8, v13
	v_rndne_f32_e32 v13, v14
	;; [unrolled: 1-line block ×3, first 2 shown]
	v_or_b32_e32 v9, v9, v10
	v_cndmask_b32_e32 v5, 0x7fc0, v24, vcc_lo
	v_cmp_nlt_f32_e32 vcc_lo, 0x42fe0000, v7
	s_delay_alu instid0(VALU_DEP_2)
	v_or3_b32 v6, 0, v5, v6
	v_cndmask_b32_e32 v14, 0x42fe0000, v7, vcc_lo
	v_cmp_nlt_f32_e32 vcc_lo, 0x42fe0000, v8
	v_or3_b32 v5, v9, 0, 0
	v_cndmask_b32_e32 v15, 0x42fe0000, v8, vcc_lo
	v_cmp_nlt_f32_e32 vcc_lo, 0x42fe0000, v13
	global_store_b64 v[3:4], v[5:6], off
	v_cndmask_b32_e32 v16, 0x42fe0000, v13, vcc_lo
	v_cmp_ngt_f32_e32 vcc_lo, 0xc3000000, v7
	v_cndmask_b32_e32 v7, 0xc3000000, v14, vcc_lo
	v_cmp_nlt_f32_e32 vcc_lo, 0x42fe0000, v2
	s_delay_alu instid0(VALU_DEP_2) | instskip(SKIP_2) | instid1(VALU_DEP_3)
	v_cvt_i32_f32_e32 v7, v7
	v_cndmask_b32_e32 v14, 0x42fe0000, v2, vcc_lo
	v_cmp_ngt_f32_e32 vcc_lo, 0xc3000000, v13
	v_and_b32_e32 v7, 0xff, v7
	s_delay_alu instid0(VALU_DEP_1) | instskip(SKIP_2) | instid1(VALU_DEP_2)
	v_lshlrev_b32_e32 v7, 16, v7
	v_cndmask_b32_e32 v13, 0xc3000000, v16, vcc_lo
	v_cmp_ngt_f32_e32 vcc_lo, 0xc3000000, v8
	v_cvt_i32_f32_e32 v13, v13
	v_cndmask_b32_e32 v8, 0xc3000000, v15, vcc_lo
	v_cmp_ngt_f32_e32 vcc_lo, 0xc3000000, v2
	s_delay_alu instid0(VALU_DEP_3) | instskip(NEXT) | instid1(VALU_DEP_3)
	v_and_b32_e32 v10, 0xff, v13
	v_cvt_i32_f32_e32 v8, v8
	v_cndmask_b32_e32 v2, 0xc3000000, v14, vcc_lo
	s_delay_alu instid0(VALU_DEP_3) | instskip(NEXT) | instid1(VALU_DEP_3)
	v_lshlrev_b32_e32 v10, 8, v10
	v_and_b32_e32 v9, 0xff, v8
	s_delay_alu instid0(VALU_DEP_3) | instskip(NEXT) | instid1(VALU_DEP_1)
	v_cvt_i32_f32_e32 v2, v2
	v_lshl_or_b32 v2, v2, 24, v7
	v_add_co_u32 v7, vcc_lo, s1, v11
	v_add_co_ci_u32_e32 v8, vcc_lo, s4, v12, vcc_lo
	v_cmp_le_u32_e32 vcc_lo, s12, v0
	s_delay_alu instid0(VALU_DEP_4)
	v_or3_b32 v2, v2, v10, v9
	s_or_not1_b32 s0, vcc_lo, exec_lo
	global_store_b32 v[7:8], v2, off
	s_branch .LBB71_52
.LBB71_59:
	s_nop 0
	s_sendmsg sendmsg(MSG_DEALLOC_VGPRS)
	s_endpgm
	.section	.rodata,"a",@progbits
	.p2align	6, 0x0
	.amdhsa_kernel _ZN4vllm31rms_norm_per_block_quant_kernelIN3c108BFloat16EaLb1ELb0ELi128EEEvPT0_PfPKT_S8_PKffiiPS6_l
		.amdhsa_group_segment_fixed_size 4228
		.amdhsa_private_segment_fixed_size 0
		.amdhsa_kernarg_size 328
		.amdhsa_user_sgpr_count 15
		.amdhsa_user_sgpr_dispatch_ptr 0
		.amdhsa_user_sgpr_queue_ptr 0
		.amdhsa_user_sgpr_kernarg_segment_ptr 1
		.amdhsa_user_sgpr_dispatch_id 0
		.amdhsa_user_sgpr_private_segment_size 0
		.amdhsa_wavefront_size32 1
		.amdhsa_uses_dynamic_stack 0
		.amdhsa_enable_private_segment 0
		.amdhsa_system_sgpr_workgroup_id_x 1
		.amdhsa_system_sgpr_workgroup_id_y 0
		.amdhsa_system_sgpr_workgroup_id_z 0
		.amdhsa_system_sgpr_workgroup_info 0
		.amdhsa_system_vgpr_workitem_id 0
		.amdhsa_next_free_vgpr 54
		.amdhsa_next_free_sgpr 41
		.amdhsa_reserve_vcc 1
		.amdhsa_float_round_mode_32 0
		.amdhsa_float_round_mode_16_64 0
		.amdhsa_float_denorm_mode_32 3
		.amdhsa_float_denorm_mode_16_64 3
		.amdhsa_dx10_clamp 1
		.amdhsa_ieee_mode 1
		.amdhsa_fp16_overflow 0
		.amdhsa_workgroup_processor_mode 1
		.amdhsa_memory_ordered 1
		.amdhsa_forward_progress 0
		.amdhsa_shared_vgpr_count 0
		.amdhsa_exception_fp_ieee_invalid_op 0
		.amdhsa_exception_fp_denorm_src 0
		.amdhsa_exception_fp_ieee_div_zero 0
		.amdhsa_exception_fp_ieee_overflow 0
		.amdhsa_exception_fp_ieee_underflow 0
		.amdhsa_exception_fp_ieee_inexact 0
		.amdhsa_exception_int_div_zero 0
	.end_amdhsa_kernel
	.section	.text._ZN4vllm31rms_norm_per_block_quant_kernelIN3c108BFloat16EaLb1ELb0ELi128EEEvPT0_PfPKT_S8_PKffiiPS6_l,"axG",@progbits,_ZN4vllm31rms_norm_per_block_quant_kernelIN3c108BFloat16EaLb1ELb0ELi128EEEvPT0_PfPKT_S8_PKffiiPS6_l,comdat
.Lfunc_end71:
	.size	_ZN4vllm31rms_norm_per_block_quant_kernelIN3c108BFloat16EaLb1ELb0ELi128EEEvPT0_PfPKT_S8_PKffiiPS6_l, .Lfunc_end71-_ZN4vllm31rms_norm_per_block_quant_kernelIN3c108BFloat16EaLb1ELb0ELi128EEEvPT0_PfPKT_S8_PKffiiPS6_l
                                        ; -- End function
	.section	.AMDGPU.csdata,"",@progbits
; Kernel info:
; codeLenInByte = 12040
; NumSgprs: 43
; NumVgprs: 54
; ScratchSize: 0
; MemoryBound: 0
; FloatMode: 240
; IeeeMode: 1
; LDSByteSize: 4228 bytes/workgroup (compile time only)
; SGPRBlocks: 5
; VGPRBlocks: 6
; NumSGPRsForWavesPerEU: 43
; NumVGPRsForWavesPerEU: 54
; Occupancy: 16
; WaveLimiterHint : 0
; COMPUTE_PGM_RSRC2:SCRATCH_EN: 0
; COMPUTE_PGM_RSRC2:USER_SGPR: 15
; COMPUTE_PGM_RSRC2:TRAP_HANDLER: 0
; COMPUTE_PGM_RSRC2:TGID_X_EN: 1
; COMPUTE_PGM_RSRC2:TGID_Y_EN: 0
; COMPUTE_PGM_RSRC2:TGID_Z_EN: 0
; COMPUTE_PGM_RSRC2:TIDIG_COMP_CNT: 0
	.section	.text._ZN4vllm31rms_norm_per_block_quant_kernelIN3c108BFloat16ENS1_13Float8_e4m3fnELb0ELb1ELi128EEEvPT0_PfPKT_S9_PKffiiPS7_l,"axG",@progbits,_ZN4vllm31rms_norm_per_block_quant_kernelIN3c108BFloat16ENS1_13Float8_e4m3fnELb0ELb1ELi128EEEvPT0_PfPKT_S9_PKffiiPS7_l,comdat
	.protected	_ZN4vllm31rms_norm_per_block_quant_kernelIN3c108BFloat16ENS1_13Float8_e4m3fnELb0ELb1ELi128EEEvPT0_PfPKT_S9_PKffiiPS7_l ; -- Begin function _ZN4vllm31rms_norm_per_block_quant_kernelIN3c108BFloat16ENS1_13Float8_e4m3fnELb0ELb1ELi128EEEvPT0_PfPKT_S9_PKffiiPS7_l
	.globl	_ZN4vllm31rms_norm_per_block_quant_kernelIN3c108BFloat16ENS1_13Float8_e4m3fnELb0ELb1ELi128EEEvPT0_PfPKT_S9_PKffiiPS7_l
	.p2align	8
	.type	_ZN4vllm31rms_norm_per_block_quant_kernelIN3c108BFloat16ENS1_13Float8_e4m3fnELb0ELb1ELi128EEEvPT0_PfPKT_S9_PKffiiPS7_l,@function
_ZN4vllm31rms_norm_per_block_quant_kernelIN3c108BFloat16ENS1_13Float8_e4m3fnELb0ELb1ELi128EEEvPT0_PfPKT_S9_PKffiiPS7_l: ; @_ZN4vllm31rms_norm_per_block_quant_kernelIN3c108BFloat16ENS1_13Float8_e4m3fnELb0ELb1ELi128EEEvPT0_PfPKT_S9_PKffiiPS7_l
; %bb.0:
	s_mov_b32 s16, s15
	s_clause 0x2
	s_load_b128 s[12:15], s[0:1], 0x28
	s_load_b256 s[4:11], s[0:1], 0x0
	s_load_b32 s29, s[0:1], 0x48
	v_mov_b32_e32 v6, 0
	s_mov_b32 s17, 0
	s_waitcnt lgkmcnt(0)
	s_ashr_i32 s2, s14, 31
	s_mul_hi_u32 s3, s14, s16
	s_mul_i32 s15, s2, s16
	s_mul_i32 s2, s14, s16
	s_add_i32 s3, s3, s15
	s_mov_b32 s18, s13
	s_lshl_b64 s[22:23], s[2:3], 1
	s_delay_alu instid0(SALU_CYCLE_1)
	s_add_u32 s26, s8, s22
	s_addc_u32 s27, s9, s23
	s_ashr_i32 s14, s13, 2
	s_add_u32 s20, s0, 0x48
	v_cmp_gt_u32_e64 s2, s14, v0
	s_addc_u32 s21, s1, 0
	s_delay_alu instid0(VALU_DEP_1)
	s_and_saveexec_b32 s3, s2
	s_cbranch_execz .LBB72_10
; %bb.1:
	s_cmp_lt_u32 s16, s29
	v_mov_b32_e32 v2, 0
	s_cselect_b32 s15, 12, 18
                                        ; implicit-def: $sgpr19
	v_mov_b32_e32 v1, v0
	s_add_u32 s24, s20, s15
	s_addc_u32 s25, s21, 0
	s_mov_b32 s15, s17
	global_load_u16 v7, v2, s[24:25]
	s_waitcnt vmcnt(0)
	v_lshlrev_b32_e32 v9, 1, v7
	v_mul_lo_u32 v8, v7, 3
	v_add_nc_u32_e32 v10, v7, v7
	v_mov_b32_e32 v6, v2
	s_branch .LBB72_5
.LBB72_2:                               ;   in Loop: Header=BB72_5 Depth=1
	s_or_b32 exec_lo, exec_lo, s28
	s_delay_alu instid0(SALU_CYCLE_1)
	s_or_not1_b32 s28, s30, exec_lo
.LBB72_3:                               ;   in Loop: Header=BB72_5 Depth=1
	s_or_b32 exec_lo, exec_lo, s25
	s_delay_alu instid0(SALU_CYCLE_1) | instskip(SKIP_1) | instid1(SALU_CYCLE_1)
	s_and_not1_b32 s19, s19, exec_lo
	s_and_b32 s25, s28, exec_lo
	s_or_b32 s19, s19, s25
.LBB72_4:                               ;   in Loop: Header=BB72_5 Depth=1
	s_or_b32 exec_lo, exec_lo, s24
	s_delay_alu instid0(SALU_CYCLE_1) | instskip(NEXT) | instid1(SALU_CYCLE_1)
	s_and_b32 s24, exec_lo, s19
	s_or_b32 s15, s24, s15
	s_delay_alu instid0(SALU_CYCLE_1)
	s_and_not1_b32 exec_lo, exec_lo, s15
	s_cbranch_execz .LBB72_9
.LBB72_5:                               ; =>This Inner Loop Header: Depth=1
	v_lshlrev_b64 v[3:4], 3, v[1:2]
	s_or_b32 s19, s19, exec_lo
	s_mov_b32 s24, exec_lo
	s_delay_alu instid0(VALU_DEP_1) | instskip(NEXT) | instid1(VALU_DEP_2)
	v_add_co_u32 v3, vcc_lo, s26, v3
	v_add_co_ci_u32_e32 v4, vcc_lo, s27, v4, vcc_lo
	global_load_b64 v[3:4], v[3:4], off
	s_waitcnt vmcnt(0)
	v_lshlrev_b32_e32 v5, 16, v3
	v_and_b32_e32 v11, 0xffff0000, v3
	v_alignbit_b32 v3, v4, v3, 16
	v_and_b32_e32 v4, 0xffff0000, v4
	s_delay_alu instid0(VALU_DEP_2) | instskip(NEXT) | instid1(VALU_DEP_1)
	v_dual_fmac_f32 v6, v5, v5 :: v_dual_and_b32 v3, 0xffff0000, v3
	v_fmac_f32_e32 v6, v11, v11
	s_delay_alu instid0(VALU_DEP_1) | instskip(NEXT) | instid1(VALU_DEP_1)
	v_fmac_f32_e32 v6, v3, v3
	v_dual_fmac_f32 v6, v4, v4 :: v_dual_add_nc_u32 v3, v1, v7
	s_delay_alu instid0(VALU_DEP_1)
	v_cmpx_gt_u32_e64 s14, v3
	s_cbranch_execz .LBB72_4
; %bb.6:                                ;   in Loop: Header=BB72_5 Depth=1
	v_mov_b32_e32 v4, v2
	s_mov_b32 s28, -1
	s_mov_b32 s25, exec_lo
	s_delay_alu instid0(VALU_DEP_1) | instskip(NEXT) | instid1(VALU_DEP_1)
	v_lshlrev_b64 v[4:5], 3, v[3:4]
	v_add_co_u32 v4, vcc_lo, s26, v4
	s_delay_alu instid0(VALU_DEP_2)
	v_add_co_ci_u32_e32 v5, vcc_lo, s27, v5, vcc_lo
	global_load_b64 v[4:5], v[4:5], off
	s_waitcnt vmcnt(0)
	v_lshlrev_b32_e32 v11, 16, v4
	v_and_b32_e32 v12, 0xffff0000, v4
	v_alignbit_b32 v4, v5, v4, 16
	s_delay_alu instid0(VALU_DEP_3) | instskip(NEXT) | instid1(VALU_DEP_2)
	v_dual_fmac_f32 v6, v11, v11 :: v_dual_and_b32 v5, 0xffff0000, v5
	v_and_b32_e32 v4, 0xffff0000, v4
	s_delay_alu instid0(VALU_DEP_2) | instskip(NEXT) | instid1(VALU_DEP_1)
	v_fmac_f32_e32 v6, v12, v12
	v_fmac_f32_e32 v6, v4, v4
	v_add_nc_u32_e32 v4, v9, v1
	s_delay_alu instid0(VALU_DEP_2) | instskip(NEXT) | instid1(VALU_DEP_2)
	v_fmac_f32_e32 v6, v5, v5
	v_cmpx_gt_u32_e64 s14, v4
	s_cbranch_execz .LBB72_3
; %bb.7:                                ;   in Loop: Header=BB72_5 Depth=1
	v_mov_b32_e32 v5, v2
	v_add_nc_u32_e32 v1, v8, v1
	s_mov_b32 s30, -1
	s_mov_b32 s28, exec_lo
	s_delay_alu instid0(VALU_DEP_2) | instskip(NEXT) | instid1(VALU_DEP_1)
	v_lshlrev_b64 v[4:5], 3, v[4:5]
	v_add_co_u32 v4, vcc_lo, s26, v4
	s_delay_alu instid0(VALU_DEP_2)
	v_add_co_ci_u32_e32 v5, vcc_lo, s27, v5, vcc_lo
	global_load_b64 v[4:5], v[4:5], off
	s_waitcnt vmcnt(0)
	v_and_b32_e32 v12, 0xffff0000, v4
	v_lshlrev_b32_e32 v11, 16, v4
	v_alignbit_b32 v4, v5, v4, 16
	s_delay_alu instid0(VALU_DEP_2) | instskip(NEXT) | instid1(VALU_DEP_2)
	v_dual_fmac_f32 v6, v11, v11 :: v_dual_and_b32 v5, 0xffff0000, v5
	v_and_b32_e32 v4, 0xffff0000, v4
	s_delay_alu instid0(VALU_DEP_2) | instskip(NEXT) | instid1(VALU_DEP_1)
	v_fmac_f32_e32 v6, v12, v12
	v_fmac_f32_e32 v6, v4, v4
	s_delay_alu instid0(VALU_DEP_1)
	v_fmac_f32_e32 v6, v5, v5
	v_cmpx_gt_u32_e64 s14, v1
	s_xor_b32 s28, exec_lo, s28
	s_cbranch_execz .LBB72_2
; %bb.8:                                ;   in Loop: Header=BB72_5 Depth=1
	v_lshlrev_b64 v[4:5], 3, v[1:2]
	s_delay_alu instid0(VALU_DEP_1) | instskip(NEXT) | instid1(VALU_DEP_2)
	v_add_co_u32 v4, vcc_lo, s26, v4
	v_add_co_ci_u32_e32 v5, vcc_lo, s27, v5, vcc_lo
	global_load_b64 v[4:5], v[4:5], off
	s_waitcnt vmcnt(0)
	v_and_b32_e32 v11, 0xffff0000, v4
	v_lshlrev_b32_e32 v1, 16, v4
	v_alignbit_b32 v4, v5, v4, 16
	s_delay_alu instid0(VALU_DEP_2) | instskip(NEXT) | instid1(VALU_DEP_2)
	v_fmac_f32_e32 v6, v1, v1
	v_and_b32_e32 v4, 0xffff0000, v4
	v_add3_u32 v1, v10, v7, v3
	s_delay_alu instid0(VALU_DEP_3) | instskip(NEXT) | instid1(VALU_DEP_2)
	v_dual_fmac_f32 v6, v11, v11 :: v_dual_and_b32 v3, 0xffff0000, v5
	v_cmp_le_u32_e32 vcc_lo, s14, v1
	s_delay_alu instid0(VALU_DEP_2) | instskip(SKIP_1) | instid1(VALU_DEP_1)
	v_fmac_f32_e32 v6, v4, v4
	s_or_not1_b32 s30, vcc_lo, exec_lo
	v_fmac_f32_e32 v6, v3, v3
	s_branch .LBB72_2
.LBB72_9:
	s_or_b32 exec_lo, exec_lo, s15
.LBB72_10:
	s_delay_alu instid0(SALU_CYCLE_1) | instskip(SKIP_4) | instid1(VALU_DEP_2)
	s_or_b32 exec_lo, exec_lo, s3
	v_mbcnt_lo_u32_b32 v1, -1, 0
	s_load_b32 s3, s[20:21], 0xc
	v_and_b32_e32 v7, 0x3e0, v0
	s_mov_b32 s15, exec_lo
	v_cmp_ne_u32_e32 vcc_lo, 31, v1
	v_add_nc_u32_e32 v3, 1, v1
	v_add_co_ci_u32_e32 v2, vcc_lo, 0, v1, vcc_lo
	v_cmp_gt_u32_e32 vcc_lo, 30, v1
	s_delay_alu instid0(VALU_DEP_2)
	v_lshlrev_b32_e32 v2, 2, v2
	v_cndmask_b32_e64 v5, 0, 1, vcc_lo
	ds_bpermute_b32 v4, v2, v6
	s_waitcnt lgkmcnt(0)
	s_and_b32 s3, s3, 0xffff
	v_lshlrev_b32_e32 v5, 1, v5
	v_sub_nc_u32_e64 v12, s3, v7 clamp
	s_delay_alu instid0(VALU_DEP_1) | instskip(SKIP_1) | instid1(VALU_DEP_4)
	v_cmp_lt_u32_e32 vcc_lo, v3, v12
	v_add_f32_e32 v7, v6, v4
	v_add_lshl_u32 v4, v5, v1, 2
	s_delay_alu instid0(VALU_DEP_2) | instskip(SKIP_2) | instid1(VALU_DEP_1)
	v_cndmask_b32_e32 v7, v6, v7, vcc_lo
	v_cmp_gt_u32_e32 vcc_lo, 28, v1
	v_cndmask_b32_e64 v5, 0, 1, vcc_lo
	v_lshlrev_b32_e32 v8, 2, v5
	ds_bpermute_b32 v6, v4, v7
	v_add_nc_u32_e32 v5, 2, v1
	s_delay_alu instid0(VALU_DEP_1) | instskip(SKIP_3) | instid1(VALU_DEP_2)
	v_cmp_lt_u32_e32 vcc_lo, v5, v12
	s_waitcnt lgkmcnt(0)
	v_add_f32_e32 v9, v7, v6
	v_add_lshl_u32 v6, v8, v1, 2
	v_cndmask_b32_e32 v9, v7, v9, vcc_lo
	v_cmp_gt_u32_e32 vcc_lo, 24, v1
	ds_bpermute_b32 v8, v6, v9
	v_cndmask_b32_e64 v7, 0, 1, vcc_lo
	s_delay_alu instid0(VALU_DEP_1) | instskip(SKIP_1) | instid1(VALU_DEP_1)
	v_lshlrev_b32_e32 v10, 3, v7
	v_add_nc_u32_e32 v7, 4, v1
	v_cmp_lt_u32_e32 vcc_lo, v7, v12
	s_waitcnt lgkmcnt(0)
	v_add_f32_e32 v11, v9, v8
	v_add_lshl_u32 v8, v10, v1, 2
	s_delay_alu instid0(VALU_DEP_2) | instskip(SKIP_3) | instid1(VALU_DEP_1)
	v_cndmask_b32_e32 v11, v9, v11, vcc_lo
	v_cmp_gt_u32_e32 vcc_lo, 16, v1
	ds_bpermute_b32 v10, v8, v11
	v_cndmask_b32_e64 v9, 0, 1, vcc_lo
	v_lshlrev_b32_e32 v13, 4, v9
	v_add_nc_u32_e32 v9, 8, v1
	s_delay_alu instid0(VALU_DEP_1) | instskip(SKIP_3) | instid1(VALU_DEP_2)
	v_cmp_lt_u32_e32 vcc_lo, v9, v12
	s_waitcnt lgkmcnt(0)
	v_add_f32_e32 v14, v11, v10
	v_add_lshl_u32 v10, v13, v1, 2
	v_cndmask_b32_e32 v13, v11, v14, vcc_lo
	v_add_nc_u32_e32 v11, 16, v1
	ds_bpermute_b32 v14, v10, v13
	v_cmp_lt_u32_e32 vcc_lo, v11, v12
	s_waitcnt lgkmcnt(0)
	v_add_f32_e32 v14, v13, v14
	s_delay_alu instid0(VALU_DEP_1)
	v_cndmask_b32_e32 v12, v13, v14, vcc_lo
	v_cmpx_eq_u32_e32 0, v1
	s_cbranch_execz .LBB72_12
; %bb.11:
	v_lshrrev_b32_e32 v13, 3, v0
	s_delay_alu instid0(VALU_DEP_1)
	v_and_b32_e32 v13, 0x7c, v13
	ds_store_b32 v13, v12 offset:4096
.LBB72_12:
	s_or_b32 exec_lo, exec_lo, s15
	s_delay_alu instid0(SALU_CYCLE_1)
	s_mov_b32 s15, exec_lo
	s_waitcnt lgkmcnt(0)
	s_barrier
	buffer_gl0_inv
	v_cmpx_gt_u32_e32 32, v0
	s_cbranch_execz .LBB72_14
; %bb.13:
	v_lshlrev_b32_e32 v1, 2, v1
	s_add_i32 s3, s3, 31
	s_delay_alu instid0(SALU_CYCLE_1) | instskip(NEXT) | instid1(SALU_CYCLE_1)
	s_lshr_b32 s3, s3, 5
	v_cmp_gt_u32_e32 vcc_lo, s3, v3
	ds_load_b32 v1, v1 offset:4096
	s_waitcnt lgkmcnt(0)
	ds_bpermute_b32 v2, v2, v1
	s_waitcnt lgkmcnt(0)
	v_add_f32_e32 v2, v1, v2
	s_delay_alu instid0(VALU_DEP_1) | instskip(SKIP_4) | instid1(VALU_DEP_1)
	v_cndmask_b32_e32 v1, v1, v2, vcc_lo
	v_cmp_gt_u32_e32 vcc_lo, s3, v5
	ds_bpermute_b32 v2, v4, v1
	s_waitcnt lgkmcnt(0)
	v_add_f32_e32 v2, v1, v2
	v_cndmask_b32_e32 v1, v1, v2, vcc_lo
	v_cmp_gt_u32_e32 vcc_lo, s3, v7
	ds_bpermute_b32 v2, v6, v1
	s_waitcnt lgkmcnt(0)
	v_add_f32_e32 v2, v1, v2
	s_delay_alu instid0(VALU_DEP_1) | instskip(SKIP_4) | instid1(VALU_DEP_1)
	v_cndmask_b32_e32 v1, v1, v2, vcc_lo
	v_cmp_gt_u32_e32 vcc_lo, s3, v9
	ds_bpermute_b32 v2, v8, v1
	s_waitcnt lgkmcnt(0)
	v_add_f32_e32 v2, v1, v2
	v_cndmask_b32_e32 v1, v1, v2, vcc_lo
	v_cmp_gt_u32_e32 vcc_lo, s3, v11
	ds_bpermute_b32 v2, v10, v1
	s_waitcnt lgkmcnt(0)
	v_add_f32_e32 v2, v1, v2
	s_delay_alu instid0(VALU_DEP_1)
	v_cndmask_b32_e32 v12, v1, v2, vcc_lo
.LBB72_14:
	s_or_b32 exec_lo, exec_lo, s15
	s_delay_alu instid0(SALU_CYCLE_1)
	s_mov_b32 s3, exec_lo
	v_cmpx_eq_u32_e32 0, v0
	s_cbranch_execz .LBB72_16
; %bb.15:
	v_cvt_f32_i32_e32 v1, s13
	s_delay_alu instid0(VALU_DEP_1) | instskip(SKIP_1) | instid1(VALU_DEP_2)
	v_div_scale_f32 v2, null, v1, v1, v12
	v_div_scale_f32 v5, vcc_lo, v12, v1, v12
	v_rcp_f32_e32 v3, v2
	s_waitcnt_depctr 0xfff
	v_fma_f32 v4, -v2, v3, 1.0
	s_delay_alu instid0(VALU_DEP_1) | instskip(NEXT) | instid1(VALU_DEP_1)
	v_fmac_f32_e32 v3, v4, v3
	v_mul_f32_e32 v4, v5, v3
	s_delay_alu instid0(VALU_DEP_1) | instskip(NEXT) | instid1(VALU_DEP_1)
	v_fma_f32 v6, -v2, v4, v5
	v_fmac_f32_e32 v4, v6, v3
	s_delay_alu instid0(VALU_DEP_1) | instskip(NEXT) | instid1(VALU_DEP_1)
	v_fma_f32 v2, -v2, v4, v5
	v_div_fmas_f32 v2, v2, v3, v4
	s_delay_alu instid0(VALU_DEP_1) | instskip(NEXT) | instid1(VALU_DEP_1)
	v_div_fixup_f32 v1, v2, v1, v12
	v_add_f32_e32 v1, s12, v1
	s_delay_alu instid0(VALU_DEP_1) | instskip(SKIP_1) | instid1(VALU_DEP_2)
	v_mul_f32_e32 v2, 0x4b800000, v1
	v_cmp_gt_f32_e32 vcc_lo, 0x800000, v1
	v_cndmask_b32_e32 v1, v1, v2, vcc_lo
	s_delay_alu instid0(VALU_DEP_1) | instskip(SKIP_2) | instid1(VALU_DEP_1)
	v_rsq_f32_e32 v1, v1
	s_waitcnt_depctr 0xfff
	v_mul_f32_e32 v2, 0x45800000, v1
	v_dual_cndmask_b32 v1, v1, v2 :: v_dual_mov_b32 v2, 0
	ds_store_b32 v2, v1 offset:4224
.LBB72_16:
	s_or_b32 exec_lo, exec_lo, s3
	s_ashr_i32 s19, s13, 31
	v_mov_b32_e32 v4, 0
	s_lshr_b32 s3, s19, 25
	s_waitcnt lgkmcnt(0)
	s_add_i32 s3, s13, s3
	s_barrier
	s_ashr_i32 s12, s3, 7
	s_cmp_lt_u32 s16, s29
	buffer_gl0_inv
	s_cselect_b32 s13, 12, 18
	ds_load_b32 v28, v4 offset:4224
	s_add_u32 s20, s20, s13
	s_addc_u32 s21, s21, 0
	s_abs_i32 s13, s12
	global_load_u16 v1, v4, s[20:21]
	v_cvt_f32_u32_e32 v2, s13
	s_sub_i32 s20, 0, s13
	s_ashr_i32 s3, s3, 31
	s_delay_alu instid0(VALU_DEP_1) | instskip(SKIP_2) | instid1(VALU_DEP_1)
	v_rcp_iflag_f32_e32 v2, v2
	s_waitcnt_depctr 0xfff
	v_mul_f32_e32 v2, 0x4f7ffffe, v2
	v_cvt_u32_f32_e32 v2, v2
	s_delay_alu instid0(VALU_DEP_1) | instskip(NEXT) | instid1(VALU_DEP_1)
	v_readfirstlane_b32 s15, v2
	s_mul_i32 s20, s20, s15
	s_delay_alu instid0(SALU_CYCLE_1) | instskip(NEXT) | instid1(SALU_CYCLE_1)
	s_mul_hi_u32 s20, s15, s20
	s_add_i32 s15, s15, s20
	s_waitcnt vmcnt(0)
	v_readfirstlane_b32 s28, v1
	s_delay_alu instid0(VALU_DEP_1) | instskip(NEXT) | instid1(SALU_CYCLE_1)
	s_mul_hi_u32 s15, s28, s15
	s_mul_i32 s20, s15, s13
	s_add_i32 s21, s15, 1
	s_sub_i32 s20, s28, s20
	s_delay_alu instid0(SALU_CYCLE_1)
	s_sub_i32 s24, s20, s13
	s_cmp_ge_u32 s20, s13
	s_cselect_b32 s15, s21, s15
	s_cselect_b32 s20, s24, s20
	s_add_i32 s21, s15, 1
	s_cmp_ge_u32 s20, s13
	s_cselect_b32 s13, s21, s15
	s_ashr_i32 s15, s14, 31
	s_xor_b32 s13, s13, s3
	s_delay_alu instid0(SALU_CYCLE_1) | instskip(NEXT) | instid1(SALU_CYCLE_1)
	s_sub_i32 s20, s13, s3
	s_abs_i32 s3, s20
	s_ashr_i32 s21, s20, 31
	v_cvt_f32_u32_e32 v1, s3
	s_sub_i32 s13, 0, s3
	s_delay_alu instid0(VALU_DEP_1) | instskip(SKIP_2) | instid1(VALU_DEP_1)
	v_rcp_iflag_f32_e32 v1, v1
	s_waitcnt_depctr 0xfff
	v_mul_f32_e32 v1, 0x4f7ffffe, v1
	v_cvt_u32_f32_e32 v1, v1
	s_delay_alu instid0(VALU_DEP_1) | instskip(SKIP_1) | instid1(VALU_DEP_1)
	v_mul_lo_u32 v2, s13, v1
	s_mov_b32 s13, exec_lo
	v_mul_hi_u32 v2, v1, v2
	s_delay_alu instid0(VALU_DEP_1) | instskip(NEXT) | instid1(VALU_DEP_1)
	v_add_nc_u32_e32 v1, v1, v2
	v_mul_hi_u32 v1, v0, v1
	s_delay_alu instid0(VALU_DEP_1) | instskip(SKIP_1) | instid1(VALU_DEP_2)
	v_mul_lo_u32 v2, v1, s3
	v_add_nc_u32_e32 v3, 1, v1
	v_sub_nc_u32_e32 v2, v0, v2
	s_delay_alu instid0(VALU_DEP_1) | instskip(SKIP_1) | instid1(VALU_DEP_2)
	v_subrev_nc_u32_e32 v5, s3, v2
	v_cmp_le_u32_e32 vcc_lo, s3, v2
	v_dual_cndmask_b32 v2, v2, v5 :: v_dual_cndmask_b32 v1, v1, v3
	s_delay_alu instid0(VALU_DEP_1) | instskip(NEXT) | instid1(VALU_DEP_2)
	v_cmp_le_u32_e32 vcc_lo, s3, v2
	v_add_nc_u32_e32 v3, 1, v1
	s_delay_alu instid0(VALU_DEP_1) | instskip(NEXT) | instid1(VALU_DEP_1)
	v_cndmask_b32_e32 v1, v1, v3, vcc_lo
	v_xor_b32_e32 v1, s21, v1
	s_delay_alu instid0(VALU_DEP_1) | instskip(NEXT) | instid1(VALU_DEP_1)
	v_subrev_nc_u32_e32 v1, s21, v1
	v_ashrrev_i32_e32 v2, 31, v1
	v_mul_lo_u32 v3, v1, s20
	s_delay_alu instid0(VALU_DEP_2) | instskip(NEXT) | instid1(VALU_DEP_2)
	v_lshlrev_b64 v[7:8], 5, v[1:2]
	v_sub_nc_u32_e32 v3, v0, v3
	s_delay_alu instid0(VALU_DEP_2) | instskip(NEXT) | instid1(VALU_DEP_3)
	v_add_co_u32 v5, vcc_lo, v7, 32
	v_add_co_ci_u32_e32 v6, vcc_lo, 0, v8, vcc_lo
	s_delay_alu instid0(VALU_DEP_1) | instskip(SKIP_4) | instid1(VALU_DEP_3)
	v_cmp_gt_i64_e32 vcc_lo, s[14:15], v[5:6]
	v_cndmask_b32_e32 v6, s15, v6, vcc_lo
	v_cndmask_b32_e32 v5, s14, v5, vcc_lo
	v_add_co_u32 v7, vcc_lo, v7, v3
	v_add_co_ci_u32_e32 v8, vcc_lo, 0, v8, vcc_lo
	v_ashrrev_i32_e32 v10, 31, v5
	v_mov_b32_e32 v9, v5
	s_delay_alu instid0(VALU_DEP_1)
	v_cmpx_lt_i64_e64 v[7:8], v[9:10]
	s_cbranch_execz .LBB72_26
; %bb.17:
	v_lshlrev_b64 v[13:14], 8, v[1:2]
	v_lshlrev_b64 v[11:12], 3, v[3:4]
	s_mul_i32 s3, s20, 24
	s_mul_hi_i32 s15, s20, 24
	s_add_u32 s24, s8, s3
	s_delay_alu instid0(VALU_DEP_2) | instskip(SKIP_2) | instid1(VALU_DEP_2)
	v_add_co_u32 v4, vcc_lo, s22, v13
	v_add_co_ci_u32_e32 v15, vcc_lo, s23, v14, vcc_lo
	s_addc_u32 s22, s9, s15
	v_add_co_u32 v17, vcc_lo, s24, v4
	s_lshl_b64 s[24:25], s[20:21], 4
	s_delay_alu instid0(VALU_DEP_2)
	v_add_co_ci_u32_e32 v18, vcc_lo, s22, v15, vcc_lo
	s_lshl_b64 s[22:23], s[20:21], 5
	s_add_u32 s33, s8, s24
	s_addc_u32 s34, s9, s25
	s_lshl_b64 s[30:31], s[20:21], 3
	v_add_co_u32 v19, vcc_lo, s33, v4
	s_add_u32 s33, s8, s30
	v_add_co_ci_u32_e32 v20, vcc_lo, s34, v15, vcc_lo
	s_addc_u32 s34, s9, s31
	v_add_co_u32 v21, vcc_lo, s33, v4
	v_add_co_ci_u32_e32 v22, vcc_lo, s34, v15, vcc_lo
	v_add_co_u32 v23, vcc_lo, s8, v4
	s_add_u32 s3, s10, s3
	v_add_co_ci_u32_e32 v24, vcc_lo, s9, v15, vcc_lo
	s_addc_u32 s8, s11, s15
	v_add_co_u32 v25, vcc_lo, s3, v13
	s_add_u32 s3, s10, s24
	v_add_co_ci_u32_e32 v26, vcc_lo, s8, v14, vcc_lo
	s_addc_u32 s8, s11, s25
	;; [unrolled: 4-line block ×3, first 2 shown]
	v_add_co_u32 v30, vcc_lo, s3, v13
	v_add_co_ci_u32_e32 v31, vcc_lo, s8, v14, vcc_lo
	v_add_co_u32 v32, vcc_lo, s10, v13
	v_add_co_ci_u32_e32 v33, vcc_lo, s11, v14, vcc_lo
	v_mov_b32_e32 v14, v8
	v_dual_mov_b32 v4, 0 :: v_dual_mov_b32 v13, v7
	s_mul_hi_i32 s15, s20, 3
	s_mul_i32 s24, s20, 3
	s_lshl_b64 s[8:9], s[20:21], 1
	s_mov_b32 s25, 0
                                        ; implicit-def: $sgpr30
	s_branch .LBB72_21
.LBB72_18:                              ;   in Loop: Header=BB72_21 Depth=1
	s_or_b32 exec_lo, exec_lo, s34
	s_delay_alu instid0(SALU_CYCLE_1)
	s_or_not1_b32 s3, s3, exec_lo
.LBB72_19:                              ;   in Loop: Header=BB72_21 Depth=1
	s_or_b32 exec_lo, exec_lo, s33
	s_delay_alu instid0(SALU_CYCLE_1) | instskip(SKIP_1) | instid1(SALU_CYCLE_1)
	s_and_not1_b32 s30, s30, exec_lo
	s_and_b32 s3, s3, exec_lo
	s_or_b32 s30, s30, s3
.LBB72_20:                              ;   in Loop: Header=BB72_21 Depth=1
	s_or_b32 exec_lo, exec_lo, s31
	s_delay_alu instid0(SALU_CYCLE_1) | instskip(NEXT) | instid1(SALU_CYCLE_1)
	s_and_b32 s3, exec_lo, s30
	s_or_b32 s25, s3, s25
	s_delay_alu instid0(SALU_CYCLE_1)
	s_and_not1_b32 exec_lo, exec_lo, s25
	s_cbranch_execz .LBB72_25
.LBB72_21:                              ; =>This Inner Loop Header: Depth=1
	v_add_co_u32 v15, vcc_lo, v23, v11
	v_add_co_ci_u32_e32 v16, vcc_lo, v24, v12, vcc_lo
	v_add_co_u32 v34, vcc_lo, v32, v11
	v_add_co_ci_u32_e32 v35, vcc_lo, v33, v12, vcc_lo
	s_or_b32 s30, s30, exec_lo
	global_load_b64 v[15:16], v[15:16], off
	global_load_b64 v[34:35], v[34:35], off
	s_mov_b32 s31, exec_lo
	s_waitcnt vmcnt(1)
	v_lshlrev_b32_e32 v37, 16, v15
	v_and_b32_e32 v36, 0xffff0000, v15
	v_alignbit_b32 v15, v16, v15, 16
	s_waitcnt vmcnt(0)
	v_lshlrev_b32_e32 v39, 16, v34
	s_waitcnt lgkmcnt(0)
	v_mul_f32_e32 v37, v28, v37
	v_mul_f32_e32 v36, v28, v36
	s_delay_alu instid0(VALU_DEP_2) | instskip(NEXT) | instid1(VALU_DEP_2)
	v_bfe_u32 v40, v37, 16, 1
	v_bfe_u32 v41, v36, 16, 1
	v_cmp_o_f32_e32 vcc_lo, v37, v37
	s_delay_alu instid0(VALU_DEP_3) | instskip(NEXT) | instid1(VALU_DEP_3)
	v_add3_u32 v40, v37, v40, 0x7fff
	v_add3_u32 v41, v36, v41, 0x7fff
	s_delay_alu instid0(VALU_DEP_2) | instskip(NEXT) | instid1(VALU_DEP_2)
	v_and_b32_e32 v40, 0xffff0000, v40
	v_and_b32_e32 v41, 0xffff0000, v41
	s_delay_alu instid0(VALU_DEP_2) | instskip(SKIP_2) | instid1(VALU_DEP_2)
	v_cndmask_b32_e32 v37, 0x7fc00000, v40, vcc_lo
	v_and_b32_e32 v16, 0xffff0000, v16
	v_cmp_o_f32_e32 vcc_lo, v36, v36
	v_dual_mul_f32 v37, v37, v39 :: v_dual_mul_f32 v16, v28, v16
	v_cndmask_b32_e32 v36, 0x7fc00000, v41, vcc_lo
	v_and_b32_e32 v15, 0xffff0000, v15
	v_and_b32_e32 v38, 0xffff0000, v34
	v_alignbit_b32 v34, v35, v34, 16
	v_bfe_u32 v42, v16, 16, 1
	v_cmp_o_f32_e32 vcc_lo, v16, v16
	v_mul_f32_e32 v15, v28, v15
	v_mul_f32_e32 v36, v36, v38
	v_bfe_u32 v38, v37, 16, 1
	v_add3_u32 v42, v16, v42, 0x7fff
	s_delay_alu instid0(VALU_DEP_4) | instskip(NEXT) | instid1(VALU_DEP_2)
	v_bfe_u32 v43, v15, 16, 1
	v_and_b32_e32 v42, 0xffff0000, v42
	s_delay_alu instid0(VALU_DEP_2) | instskip(NEXT) | instid1(VALU_DEP_2)
	v_add3_u32 v43, v15, v43, 0x7fff
	v_cndmask_b32_e32 v16, 0x7fc00000, v42, vcc_lo
	v_cmp_o_f32_e32 vcc_lo, v15, v15
	s_delay_alu instid0(VALU_DEP_3) | instskip(SKIP_1) | instid1(VALU_DEP_2)
	v_and_b32_e32 v40, 0xffff0000, v43
	v_and_b32_e32 v34, 0xffff0000, v34
	v_cndmask_b32_e32 v15, 0x7fc00000, v40, vcc_lo
	v_and_b32_e32 v35, 0xffff0000, v35
	v_cmp_o_f32_e32 vcc_lo, v37, v37
	s_delay_alu instid0(VALU_DEP_2) | instskip(SKIP_2) | instid1(VALU_DEP_3)
	v_dual_mul_f32 v34, v15, v34 :: v_dual_mul_f32 v35, v16, v35
	v_bfe_u32 v16, v36, 16, 1
	v_add3_u32 v15, v37, v38, 0x7fff
	v_bfe_u32 v39, v34, 16, 1
	s_delay_alu instid0(VALU_DEP_4) | instskip(NEXT) | instid1(VALU_DEP_4)
	v_bfe_u32 v38, v35, 16, 1
	v_add3_u32 v16, v36, v16, 0x7fff
	s_delay_alu instid0(VALU_DEP_4) | instskip(NEXT) | instid1(VALU_DEP_4)
	v_and_b32_e32 v15, 0xffff0000, v15
	v_add3_u32 v39, v34, v39, 0x7fff
	s_delay_alu instid0(VALU_DEP_4) | instskip(NEXT) | instid1(VALU_DEP_4)
	v_add3_u32 v38, v35, v38, 0x7fff
	v_and_b32_e32 v16, 0xffff0000, v16
	s_delay_alu instid0(VALU_DEP_4)
	v_cndmask_b32_e64 v37, 0x7fc00000, |v15|, vcc_lo
	v_cmp_o_f32_e32 vcc_lo, v36, v36
	v_and_b32_e32 v39, 0xffff0000, v39
	v_and_b32_e32 v38, 0xffff0000, v38
	v_cndmask_b32_e64 v36, 0x7fc00000, |v16|, vcc_lo
	v_add_co_u32 v15, vcc_lo, v13, s20
	v_add_co_ci_u32_e32 v16, vcc_lo, s21, v14, vcc_lo
	v_cmp_o_f32_e32 vcc_lo, v34, v34
	s_delay_alu instid0(VALU_DEP_4) | instskip(SKIP_3) | instid1(VALU_DEP_1)
	v_max3_f32 v4, v4, v37, v36
	v_cndmask_b32_e64 v34, 0x7fc00000, |v39|, vcc_lo
	v_cmp_o_f32_e32 vcc_lo, v35, v35
	v_cndmask_b32_e64 v35, 0x7fc00000, |v38|, vcc_lo
	v_max3_f32 v4, v4, v34, v35
	v_cmpx_lt_i64_e64 v[15:16], v[9:10]
	s_cbranch_execz .LBB72_20
; %bb.22:                               ;   in Loop: Header=BB72_21 Depth=1
	v_add_co_u32 v34, vcc_lo, v21, v11
	v_add_co_ci_u32_e32 v35, vcc_lo, v22, v12, vcc_lo
	v_add_co_u32 v36, vcc_lo, v30, v11
	v_add_co_ci_u32_e32 v37, vcc_lo, v31, v12, vcc_lo
	s_mov_b32 s3, -1
	global_load_b64 v[34:35], v[34:35], off
	global_load_b64 v[36:37], v[36:37], off
	s_mov_b32 s33, exec_lo
	s_waitcnt vmcnt(1)
	v_lshlrev_b32_e32 v39, 16, v34
	v_and_b32_e32 v38, 0xffff0000, v34
	v_alignbit_b32 v34, v35, v34, 16
	s_delay_alu instid0(VALU_DEP_3) | instskip(NEXT) | instid1(VALU_DEP_3)
	v_mul_f32_e32 v39, v28, v39
	v_dual_mul_f32 v38, v28, v38 :: v_dual_and_b32 v35, 0xffff0000, v35
	s_waitcnt vmcnt(0)
	v_and_b32_e32 v40, 0xffff0000, v36
	s_delay_alu instid0(VALU_DEP_3) | instskip(NEXT) | instid1(VALU_DEP_3)
	v_bfe_u32 v42, v39, 16, 1
	v_mul_f32_e32 v35, v28, v35
	v_cmp_o_f32_e32 vcc_lo, v39, v39
	v_bfe_u32 v43, v38, 16, 1
	s_delay_alu instid0(VALU_DEP_4) | instskip(NEXT) | instid1(VALU_DEP_4)
	v_add3_u32 v42, v39, v42, 0x7fff
	v_bfe_u32 v44, v35, 16, 1
	s_delay_alu instid0(VALU_DEP_3) | instskip(NEXT) | instid1(VALU_DEP_3)
	v_add3_u32 v43, v38, v43, 0x7fff
	v_and_b32_e32 v42, 0xffff0000, v42
	s_delay_alu instid0(VALU_DEP_3) | instskip(NEXT) | instid1(VALU_DEP_3)
	v_add3_u32 v44, v35, v44, 0x7fff
	v_and_b32_e32 v43, 0xffff0000, v43
	s_delay_alu instid0(VALU_DEP_3)
	v_cndmask_b32_e32 v39, 0x7fc00000, v42, vcc_lo
	v_and_b32_e32 v34, 0xffff0000, v34
	v_lshlrev_b32_e32 v41, 16, v36
	v_cmp_o_f32_e32 vcc_lo, v38, v38
	v_and_b32_e32 v44, 0xffff0000, v44
	v_alignbit_b32 v36, v37, v36, 16
	s_delay_alu instid0(VALU_DEP_4) | instskip(SKIP_3) | instid1(VALU_DEP_4)
	v_dual_mul_f32 v34, v28, v34 :: v_dual_mul_f32 v39, v39, v41
	v_cndmask_b32_e32 v38, 0x7fc00000, v43, vcc_lo
	v_cmp_o_f32_e32 vcc_lo, v35, v35
	v_and_b32_e32 v37, 0xffff0000, v37
	v_bfe_u32 v45, v34, 16, 1
	s_delay_alu instid0(VALU_DEP_4) | instskip(SKIP_2) | instid1(VALU_DEP_4)
	v_mul_f32_e32 v38, v38, v40
	v_cndmask_b32_e32 v35, 0x7fc00000, v44, vcc_lo
	v_cmp_o_f32_e32 vcc_lo, v34, v34
	v_add3_u32 v45, v34, v45, 0x7fff
	v_and_b32_e32 v36, 0xffff0000, v36
	v_bfe_u32 v40, v39, 16, 1
	v_mul_f32_e32 v37, v35, v37
	v_bfe_u32 v35, v38, 16, 1
	v_and_b32_e32 v42, 0xffff0000, v45
	s_delay_alu instid0(VALU_DEP_2) | instskip(NEXT) | instid1(VALU_DEP_2)
	v_add3_u32 v35, v38, v35, 0x7fff
	v_cndmask_b32_e32 v34, 0x7fc00000, v42, vcc_lo
	v_cmp_o_f32_e32 vcc_lo, v39, v39
	s_delay_alu instid0(VALU_DEP_2) | instskip(SKIP_2) | instid1(VALU_DEP_3)
	v_dual_mul_f32 v36, v34, v36 :: v_dual_and_b32 v35, 0xffff0000, v35
	v_add3_u32 v34, v39, v40, 0x7fff
	v_bfe_u32 v40, v37, 16, 1
	v_bfe_u32 v41, v36, 16, 1
	s_delay_alu instid0(VALU_DEP_3) | instskip(NEXT) | instid1(VALU_DEP_3)
	v_and_b32_e32 v34, 0xffff0000, v34
	v_add3_u32 v40, v37, v40, 0x7fff
	s_delay_alu instid0(VALU_DEP_3) | instskip(NEXT) | instid1(VALU_DEP_3)
	v_add3_u32 v41, v36, v41, 0x7fff
	v_cndmask_b32_e64 v39, 0x7fc00000, |v34|, vcc_lo
	v_cmp_o_f32_e32 vcc_lo, v38, v38
	s_delay_alu instid0(VALU_DEP_4) | instskip(NEXT) | instid1(VALU_DEP_4)
	v_and_b32_e32 v40, 0xffff0000, v40
	v_and_b32_e32 v41, 0xffff0000, v41
	v_cndmask_b32_e64 v38, 0x7fc00000, |v35|, vcc_lo
	v_add_co_u32 v34, vcc_lo, s8, v13
	v_add_co_ci_u32_e32 v35, vcc_lo, s9, v14, vcc_lo
	v_cmp_o_f32_e32 vcc_lo, v36, v36
	s_delay_alu instid0(VALU_DEP_4) | instskip(SKIP_3) | instid1(VALU_DEP_1)
	v_max3_f32 v4, v4, v39, v38
	v_cndmask_b32_e64 v36, 0x7fc00000, |v41|, vcc_lo
	v_cmp_o_f32_e32 vcc_lo, v37, v37
	v_cndmask_b32_e64 v37, 0x7fc00000, |v40|, vcc_lo
	v_max3_f32 v4, v4, v36, v37
	v_cmpx_lt_i64_e64 v[34:35], v[9:10]
	s_cbranch_execz .LBB72_19
; %bb.23:                               ;   in Loop: Header=BB72_21 Depth=1
	v_add_co_u32 v34, vcc_lo, v19, v11
	v_add_co_ci_u32_e32 v35, vcc_lo, v20, v12, vcc_lo
	v_add_co_u32 v36, vcc_lo, v27, v11
	v_add_co_ci_u32_e32 v37, vcc_lo, v29, v12, vcc_lo
	global_load_b64 v[34:35], v[34:35], off
	global_load_b64 v[36:37], v[36:37], off
	s_waitcnt vmcnt(1)
	v_lshlrev_b32_e32 v39, 16, v34
	v_and_b32_e32 v38, 0xffff0000, v34
	v_alignbit_b32 v34, v35, v34, 16
	s_delay_alu instid0(VALU_DEP_3) | instskip(NEXT) | instid1(VALU_DEP_3)
	v_mul_f32_e32 v39, v28, v39
	v_dual_mul_f32 v38, v28, v38 :: v_dual_and_b32 v35, 0xffff0000, v35
	s_waitcnt vmcnt(0)
	v_and_b32_e32 v40, 0xffff0000, v36
	s_delay_alu instid0(VALU_DEP_3) | instskip(NEXT) | instid1(VALU_DEP_3)
	v_bfe_u32 v42, v39, 16, 1
	v_mul_f32_e32 v35, v28, v35
	v_cmp_o_f32_e32 vcc_lo, v39, v39
	v_bfe_u32 v43, v38, 16, 1
	s_delay_alu instid0(VALU_DEP_4) | instskip(NEXT) | instid1(VALU_DEP_4)
	v_add3_u32 v42, v39, v42, 0x7fff
	v_bfe_u32 v44, v35, 16, 1
	s_delay_alu instid0(VALU_DEP_3) | instskip(NEXT) | instid1(VALU_DEP_3)
	v_add3_u32 v43, v38, v43, 0x7fff
	v_and_b32_e32 v42, 0xffff0000, v42
	s_delay_alu instid0(VALU_DEP_3) | instskip(NEXT) | instid1(VALU_DEP_3)
	v_add3_u32 v44, v35, v44, 0x7fff
	v_and_b32_e32 v43, 0xffff0000, v43
	s_delay_alu instid0(VALU_DEP_3)
	v_cndmask_b32_e32 v39, 0x7fc00000, v42, vcc_lo
	v_and_b32_e32 v34, 0xffff0000, v34
	v_lshlrev_b32_e32 v41, 16, v36
	v_cmp_o_f32_e32 vcc_lo, v38, v38
	v_and_b32_e32 v44, 0xffff0000, v44
	v_alignbit_b32 v36, v37, v36, 16
	s_delay_alu instid0(VALU_DEP_4) | instskip(SKIP_3) | instid1(VALU_DEP_4)
	v_dual_mul_f32 v34, v28, v34 :: v_dual_mul_f32 v39, v39, v41
	v_cndmask_b32_e32 v38, 0x7fc00000, v43, vcc_lo
	v_cmp_o_f32_e32 vcc_lo, v35, v35
	v_and_b32_e32 v37, 0xffff0000, v37
	v_bfe_u32 v45, v34, 16, 1
	s_delay_alu instid0(VALU_DEP_4) | instskip(SKIP_2) | instid1(VALU_DEP_4)
	v_mul_f32_e32 v38, v38, v40
	v_cndmask_b32_e32 v35, 0x7fc00000, v44, vcc_lo
	v_cmp_o_f32_e32 vcc_lo, v34, v34
	v_add3_u32 v45, v34, v45, 0x7fff
	v_and_b32_e32 v36, 0xffff0000, v36
	v_bfe_u32 v40, v39, 16, 1
	v_mul_f32_e32 v35, v35, v37
	v_bfe_u32 v37, v38, 16, 1
	v_and_b32_e32 v42, 0xffff0000, v45
	s_delay_alu instid0(VALU_DEP_2) | instskip(NEXT) | instid1(VALU_DEP_2)
	v_add3_u32 v37, v38, v37, 0x7fff
	v_cndmask_b32_e32 v34, 0x7fc00000, v42, vcc_lo
	v_cmp_o_f32_e32 vcc_lo, v39, v39
	s_delay_alu instid0(VALU_DEP_2) | instskip(SKIP_2) | instid1(VALU_DEP_3)
	v_dual_mul_f32 v34, v34, v36 :: v_dual_and_b32 v37, 0xffff0000, v37
	v_add3_u32 v36, v39, v40, 0x7fff
	v_bfe_u32 v40, v35, 16, 1
	v_bfe_u32 v41, v34, 16, 1
	s_delay_alu instid0(VALU_DEP_3) | instskip(NEXT) | instid1(VALU_DEP_3)
	v_and_b32_e32 v36, 0xffff0000, v36
	v_add3_u32 v40, v35, v40, 0x7fff
	s_delay_alu instid0(VALU_DEP_3) | instskip(NEXT) | instid1(VALU_DEP_3)
	v_add3_u32 v41, v34, v41, 0x7fff
	v_cndmask_b32_e64 v36, 0x7fc00000, |v36|, vcc_lo
	v_cmp_o_f32_e32 vcc_lo, v38, v38
	s_delay_alu instid0(VALU_DEP_4) | instskip(NEXT) | instid1(VALU_DEP_4)
	v_and_b32_e32 v39, 0xffff0000, v40
	v_and_b32_e32 v38, 0xffff0000, v41
	v_cndmask_b32_e64 v37, 0x7fc00000, |v37|, vcc_lo
	v_add_co_u32 v13, vcc_lo, s24, v13
	v_add_co_ci_u32_e32 v14, vcc_lo, s15, v14, vcc_lo
	v_cmp_o_f32_e32 vcc_lo, v34, v34
	s_delay_alu instid0(VALU_DEP_4) | instskip(SKIP_4) | instid1(VALU_DEP_2)
	v_max3_f32 v4, v4, v36, v37
	v_cndmask_b32_e64 v34, 0x7fc00000, |v38|, vcc_lo
	v_cmp_o_f32_e32 vcc_lo, v35, v35
	v_cndmask_b32_e64 v35, 0x7fc00000, |v39|, vcc_lo
	v_cmp_lt_i64_e32 vcc_lo, v[13:14], v[9:10]
                                        ; implicit-def: $vgpr13_vgpr14
	v_max3_f32 v4, v4, v34, v35
	s_and_saveexec_b32 s34, vcc_lo
	s_delay_alu instid0(SALU_CYCLE_1)
	s_xor_b32 s34, exec_lo, s34
	s_cbranch_execz .LBB72_18
; %bb.24:                               ;   in Loop: Header=BB72_21 Depth=1
	v_add_co_u32 v13, vcc_lo, v17, v11
	v_add_co_ci_u32_e32 v14, vcc_lo, v18, v12, vcc_lo
	v_add_co_u32 v34, vcc_lo, v25, v11
	v_add_co_ci_u32_e32 v35, vcc_lo, v26, v12, vcc_lo
	v_add_co_u32 v17, vcc_lo, v17, s22
	global_load_b64 v[13:14], v[13:14], off
	global_load_b64 v[34:35], v[34:35], off
	v_add_co_ci_u32_e32 v18, vcc_lo, s23, v18, vcc_lo
	v_add_co_u32 v19, vcc_lo, v19, s22
	v_add_co_ci_u32_e32 v20, vcc_lo, s23, v20, vcc_lo
	v_add_co_u32 v21, vcc_lo, v21, s22
	;; [unrolled: 2-line block ×5, first 2 shown]
	v_add_co_ci_u32_e32 v29, vcc_lo, s23, v29, vcc_lo
	s_add_u32 s3, s20, s20
	s_addc_u32 s35, s21, s21
	s_add_u32 s3, s3, s20
	s_addc_u32 s35, s35, s21
	s_waitcnt vmcnt(1)
	v_lshlrev_b32_e32 v37, 16, v13
	s_waitcnt vmcnt(0)
	v_and_b32_e32 v38, 0xffff0000, v34
	v_lshlrev_b32_e32 v39, 16, v34
	v_alignbit_b32 v34, v35, v34, 16
	v_mul_f32_e32 v37, v28, v37
	s_delay_alu instid0(VALU_DEP_1) | instskip(SKIP_1) | instid1(VALU_DEP_2)
	v_bfe_u32 v40, v37, 16, 1
	v_cmp_o_f32_e32 vcc_lo, v37, v37
	v_add3_u32 v40, v37, v40, 0x7fff
	s_delay_alu instid0(VALU_DEP_1) | instskip(NEXT) | instid1(VALU_DEP_1)
	v_and_b32_e32 v40, 0xffff0000, v40
	v_cndmask_b32_e32 v37, 0x7fc00000, v40, vcc_lo
	v_and_b32_e32 v36, 0xffff0000, v13
	v_alignbit_b32 v13, v14, v13, 16
	s_delay_alu instid0(VALU_DEP_2) | instskip(NEXT) | instid1(VALU_DEP_2)
	v_dual_mul_f32 v37, v37, v39 :: v_dual_mul_f32 v36, v28, v36
	v_and_b32_e32 v13, 0xffff0000, v13
	v_and_b32_e32 v14, 0xffff0000, v14
	s_delay_alu instid0(VALU_DEP_3) | instskip(NEXT) | instid1(VALU_DEP_3)
	v_bfe_u32 v41, v36, 16, 1
	v_mul_f32_e32 v13, v28, v13
	s_delay_alu instid0(VALU_DEP_3) | instskip(SKIP_1) | instid1(VALU_DEP_4)
	v_mul_f32_e32 v14, v28, v14
	v_cmp_o_f32_e32 vcc_lo, v36, v36
	v_add3_u32 v41, v36, v41, 0x7fff
	s_delay_alu instid0(VALU_DEP_4) | instskip(NEXT) | instid1(VALU_DEP_4)
	v_bfe_u32 v43, v13, 16, 1
	v_bfe_u32 v42, v14, 16, 1
	s_delay_alu instid0(VALU_DEP_3) | instskip(NEXT) | instid1(VALU_DEP_3)
	v_and_b32_e32 v41, 0xffff0000, v41
	v_add3_u32 v43, v13, v43, 0x7fff
	s_delay_alu instid0(VALU_DEP_3) | instskip(NEXT) | instid1(VALU_DEP_3)
	v_add3_u32 v42, v14, v42, 0x7fff
	v_cndmask_b32_e32 v36, 0x7fc00000, v41, vcc_lo
	v_cmp_o_f32_e32 vcc_lo, v14, v14
	s_delay_alu instid0(VALU_DEP_3) | instskip(SKIP_3) | instid1(VALU_DEP_4)
	v_and_b32_e32 v42, 0xffff0000, v42
	v_and_b32_e32 v35, 0xffff0000, v35
	;; [unrolled: 1-line block ×3, first 2 shown]
	v_mul_f32_e32 v36, v36, v38
	v_cndmask_b32_e32 v14, 0x7fc00000, v42, vcc_lo
	v_and_b32_e32 v34, 0xffff0000, v34
	v_cmp_o_f32_e32 vcc_lo, v13, v13
	s_delay_alu instid0(VALU_DEP_4) | instskip(NEXT) | instid1(VALU_DEP_4)
	v_bfe_u32 v38, v36, 16, 1
	v_mul_f32_e32 v35, v14, v35
	v_bfe_u32 v14, v37, 16, 1
	v_cndmask_b32_e32 v13, 0x7fc00000, v40, vcc_lo
	s_delay_alu instid0(VALU_DEP_4) | instskip(SKIP_1) | instid1(VALU_DEP_4)
	v_add3_u32 v38, v36, v38, 0x7fff
	v_cmp_o_f32_e32 vcc_lo, v37, v37
	v_add3_u32 v14, v37, v14, 0x7fff
	s_delay_alu instid0(VALU_DEP_4) | instskip(SKIP_2) | instid1(VALU_DEP_4)
	v_mul_f32_e32 v34, v13, v34
	v_bfe_u32 v13, v35, 16, 1
	v_and_b32_e32 v38, 0xffff0000, v38
	v_and_b32_e32 v14, 0xffff0000, v14
	s_delay_alu instid0(VALU_DEP_4) | instskip(NEXT) | instid1(VALU_DEP_4)
	v_bfe_u32 v39, v34, 16, 1
	v_add3_u32 v13, v35, v13, 0x7fff
	s_delay_alu instid0(VALU_DEP_3) | instskip(SKIP_1) | instid1(VALU_DEP_3)
	v_cndmask_b32_e64 v37, 0x7fc00000, |v14|, vcc_lo
	v_cmp_o_f32_e32 vcc_lo, v36, v36
	v_and_b32_e32 v40, 0xffff0000, v13
	v_add3_u32 v39, v34, v39, 0x7fff
	v_cndmask_b32_e64 v36, 0x7fc00000, |v38|, vcc_lo
	v_add_co_u32 v13, vcc_lo, s3, v15
	v_add_co_ci_u32_e32 v14, vcc_lo, s35, v16, vcc_lo
	v_cmp_o_f32_e32 vcc_lo, v35, v35
	v_and_b32_e32 v15, 0xffff0000, v39
	v_max3_f32 v4, v4, v37, v36
	v_add_co_u32 v32, s3, v32, s22
	v_cndmask_b32_e64 v16, 0x7fc00000, |v40|, vcc_lo
	v_cmp_o_f32_e32 vcc_lo, v34, v34
	v_add_co_ci_u32_e64 v33, s3, s23, v33, s3
	v_cndmask_b32_e64 v15, 0x7fc00000, |v15|, vcc_lo
	v_add_co_u32 v30, vcc_lo, v30, s22
	v_add_co_ci_u32_e32 v31, vcc_lo, s23, v31, vcc_lo
	v_cmp_ge_i64_e32 vcc_lo, v[13:14], v[9:10]
	s_delay_alu instid0(VALU_DEP_4)
	v_max3_f32 v4, v4, v15, v16
	s_or_not1_b32 s3, vcc_lo, exec_lo
	s_branch .LBB72_18
.LBB72_25:
	s_or_b32 exec_lo, exec_lo, s25
.LBB72_26:
	s_delay_alu instid0(SALU_CYCLE_1)
	s_or_b32 exec_lo, exec_lo, s13
	s_lshr_b32 s15, s28, 5
	v_lshlrev_b32_e32 v29, 2, v0
	v_cvt_f32_u32_e32 v9, s15
	s_sub_i32 s8, 0, s15
	s_add_i32 s9, s12, s15
	s_delay_alu instid0(SALU_CYCLE_1) | instskip(NEXT) | instid1(VALU_DEP_1)
	s_add_i32 s9, s9, -1
	v_rcp_iflag_f32_e32 v9, v9
	s_abs_i32 s13, s9
	s_ashr_i32 s9, s9, 31
	ds_store_b32 v29, v4
	s_waitcnt lgkmcnt(0)
	s_barrier
	buffer_gl0_inv
	v_mul_f32_e32 v9, 0x4f7ffffe, v9
	s_delay_alu instid0(VALU_DEP_1) | instskip(NEXT) | instid1(VALU_DEP_1)
	v_cvt_u32_f32_e32 v9, v9
	v_readfirstlane_b32 s3, v9
	s_delay_alu instid0(VALU_DEP_1) | instskip(NEXT) | instid1(SALU_CYCLE_1)
	s_mul_i32 s8, s8, s3
	s_mul_hi_u32 s8, s3, s8
	s_delay_alu instid0(SALU_CYCLE_1) | instskip(NEXT) | instid1(SALU_CYCLE_1)
	s_add_i32 s3, s3, s8
	s_mul_hi_u32 s3, s13, s3
	s_delay_alu instid0(SALU_CYCLE_1) | instskip(NEXT) | instid1(SALU_CYCLE_1)
	s_mul_i32 s8, s3, s15
	s_sub_i32 s8, s13, s8
	s_add_i32 s13, s3, 1
	s_sub_i32 s22, s8, s15
	s_cmp_ge_u32 s8, s15
	s_cselect_b32 s3, s13, s3
	s_cselect_b32 s8, s22, s8
	s_add_i32 s13, s3, 1
	s_cmp_ge_u32 s8, s15
	s_cselect_b32 s3, s13, s3
	s_delay_alu instid0(SALU_CYCLE_1) | instskip(NEXT) | instid1(SALU_CYCLE_1)
	s_xor_b32 s3, s3, s9
	s_sub_i32 s8, s3, s9
	s_delay_alu instid0(SALU_CYCLE_1) | instskip(NEXT) | instid1(SALU_CYCLE_1)
	s_ashr_i32 s9, s8, 31
	v_cmp_lt_i64_e64 s3, s[8:9], 1
	s_delay_alu instid0(VALU_DEP_1)
	s_and_b32 vcc_lo, exec_lo, s3
	s_cbranch_vccnz .LBB72_46
; %bb.27:
	v_lshrrev_b32_e32 v9, 5, v0
	v_and_b32_e32 v4, 31, v0
	s_ashr_i32 s13, s12, 31
	s_mov_b64 s[22:23], 0
	s_mov_b64 s[24:25], src_shared_base
	v_mul_lo_u32 v19, s20, v9
	v_add_co_u32 v11, s3, v4, 16
	s_delay_alu instid0(VALU_DEP_1) | instskip(SKIP_1) | instid1(VALU_DEP_1)
	v_add_co_ci_u32_e64 v12, null, 0, 0, s3
	v_add_co_u32 v13, s3, v4, 8
	v_add_co_ci_u32_e64 v14, null, 0, 0, s3
	v_add_co_u32 v15, s3, v4, 4
	v_dual_mov_b32 v10, 0 :: v_dual_lshlrev_b32 v21, 2, v19
	v_lshlrev_b32_e32 v22, 2, v4
	v_add_co_ci_u32_e64 v16, null, 0, 0, s3
	v_add_co_u32 v17, s3, v4, 2
	s_delay_alu instid0(VALU_DEP_1) | instskip(SKIP_1) | instid1(VALU_DEP_1)
	v_add_co_ci_u32_e64 v18, null, 0, 0, s3
	v_add_co_u32 v19, s3, v4, 1
	v_add_co_ci_u32_e64 v20, null, 0, 0, s3
	v_add3_u32 v30, v21, v22, 0x80
	s_mul_i32 s3, s20, s15
	s_delay_alu instid0(SALU_CYCLE_1)
	s_lshl_b32 s30, s3, 2
	s_branch .LBB72_30
.LBB72_28:                              ;   in Loop: Header=BB72_30 Depth=1
	s_or_b32 exec_lo, exec_lo, s3
	v_mov_b32_e32 v22, s25
	flat_load_b32 v21, v[21:22] glc dlc
	s_waitcnt vmcnt(0)
.LBB72_29:                              ;   in Loop: Header=BB72_30 Depth=1
	s_or_b32 exec_lo, exec_lo, s24
	s_add_u32 s22, s22, 1
	v_add_nc_u32_e32 v30, s30, v30
	s_addc_u32 s23, s23, 0
	s_delay_alu instid0(SALU_CYCLE_1)
	s_cmp_eq_u64 s[22:23], s[8:9]
	s_cbranch_scc1 .LBB72_46
.LBB72_30:                              ; =>This Loop Header: Depth=1
                                        ;     Child Loop BB72_33 Depth 2
	s_waitcnt lgkmcnt(0)
	v_mad_u64_u32 v[21:22], null, s22, s15, v[9:10]
	s_mov_b32 s24, exec_lo
	s_delay_alu instid0(VALU_DEP_1) | instskip(NEXT) | instid1(VALU_DEP_1)
	v_mad_u64_u32 v[23:24], null, s23, s15, v[22:23]
	v_mov_b32_e32 v22, v23
	s_delay_alu instid0(VALU_DEP_1)
	v_cmpx_gt_i64_e64 s[12:13], v[21:22]
	s_cbranch_execz .LBB72_29
; %bb.31:                               ;   in Loop: Header=BB72_30 Depth=1
	v_mul_lo_u32 v24, v22, s20
	v_mul_lo_u32 v25, v21, s21
	v_mad_u64_u32 v[22:23], null, v21, s20, 0
	s_delay_alu instid0(VALU_DEP_1) | instskip(NEXT) | instid1(VALU_DEP_2)
	v_add3_u32 v23, v23, v25, v24
	v_add_co_u32 v24, vcc_lo, v22, s20
	v_add_co_u32 v31, s3, v22, v4
	s_delay_alu instid0(VALU_DEP_3) | instskip(SKIP_2) | instid1(VALU_DEP_2)
	v_add_co_ci_u32_e32 v25, vcc_lo, s21, v23, vcc_lo
	v_add_co_ci_u32_e64 v21, s3, 0, v23, s3
	s_mov_b32 s3, exec_lo
	v_cmp_gt_i64_e32 vcc_lo, s[18:19], v[24:25]
	v_cndmask_b32_e32 v25, s19, v25, vcc_lo
	v_cndmask_b32_e32 v24, s18, v24, vcc_lo
	v_add_co_u32 v26, vcc_lo, v31, 32
	v_add_co_ci_u32_e32 v27, vcc_lo, 0, v21, vcc_lo
	v_lshlrev_b32_e32 v21, 2, v31
	s_delay_alu instid0(VALU_DEP_2)
	v_cmpx_lt_i64_e64 v[26:27], v[24:25]
	s_cbranch_execz .LBB72_34
; %bb.32:                               ;   in Loop: Header=BB72_30 Depth=1
	ds_load_b32 v33, v21
	v_mov_b32_e32 v32, v30
	s_mov_b32 s31, 0
.LBB72_33:                              ;   Parent Loop BB72_30 Depth=1
                                        ; =>  This Inner Loop Header: Depth=2
	ds_load_b32 v34, v32
	v_add_co_u32 v26, vcc_lo, v26, 32
	v_add_co_ci_u32_e32 v27, vcc_lo, 0, v27, vcc_lo
	s_waitcnt lgkmcnt(1)
	v_dual_max_f32 v33, v33, v33 :: v_dual_add_nc_u32 v32, 0x80, v32
	s_delay_alu instid0(VALU_DEP_2) | instskip(SKIP_3) | instid1(VALU_DEP_1)
	v_cmp_ge_i64_e32 vcc_lo, v[26:27], v[24:25]
	s_or_b32 s31, vcc_lo, s31
	s_waitcnt lgkmcnt(0)
	v_max_f32_e32 v34, v34, v34
	v_max_f32_e32 v33, v33, v34
	ds_store_b32 v21, v33
	s_and_not1_b32 exec_lo, exec_lo, s31
	s_cbranch_execnz .LBB72_33
.LBB72_34:                              ;   in Loop: Header=BB72_30 Depth=1
	s_or_b32 exec_lo, exec_lo, s3
	v_sub_co_u32 v22, vcc_lo, v24, v22
	v_sub_co_ci_u32_e32 v23, vcc_lo, v25, v23, vcc_lo
	s_mov_b32 s3, exec_lo
	s_delay_alu instid0(VALU_DEP_1) | instskip(SKIP_1) | instid1(VALU_DEP_1)
	v_cmp_gt_i64_e32 vcc_lo, 32, v[22:23]
	v_dual_cndmask_b32 v24, 0, v23 :: v_dual_cndmask_b32 v23, 32, v22
	v_cmpx_lt_i64_e64 v[11:12], v[23:24]
	s_cbranch_execz .LBB72_36
; %bb.35:                               ;   in Loop: Header=BB72_30 Depth=1
	v_dual_mov_b32 v22, s25 :: v_dual_add_nc_u32 v25, 64, v21
	v_mov_b32_e32 v26, s25
	flat_load_b32 v27, v[21:22] glc dlc
	s_waitcnt vmcnt(0)
	flat_load_b32 v25, v[25:26] glc dlc
	s_waitcnt vmcnt(0) lgkmcnt(0)
	v_dual_max_f32 v26, v27, v27 :: v_dual_max_f32 v25, v25, v25
	s_delay_alu instid0(VALU_DEP_1)
	v_max_f32_e32 v25, v26, v25
	flat_store_b32 v[21:22], v25 dlc
	s_waitcnt_vscnt null, 0x0
.LBB72_36:                              ;   in Loop: Header=BB72_30 Depth=1
	s_or_b32 exec_lo, exec_lo, s3
	s_delay_alu instid0(SALU_CYCLE_1)
	s_mov_b32 s3, exec_lo
	v_cmpx_lt_i64_e64 v[13:14], v[23:24]
	s_cbranch_execz .LBB72_38
; %bb.37:                               ;   in Loop: Header=BB72_30 Depth=1
	v_dual_mov_b32 v22, s25 :: v_dual_add_nc_u32 v25, 32, v21
	v_mov_b32_e32 v26, s25
	flat_load_b32 v27, v[21:22] glc dlc
	s_waitcnt vmcnt(0)
	flat_load_b32 v25, v[25:26] glc dlc
	s_waitcnt vmcnt(0) lgkmcnt(0)
	v_dual_max_f32 v26, v27, v27 :: v_dual_max_f32 v25, v25, v25
	s_delay_alu instid0(VALU_DEP_1)
	v_max_f32_e32 v25, v26, v25
	flat_store_b32 v[21:22], v25 dlc
	s_waitcnt_vscnt null, 0x0
.LBB72_38:                              ;   in Loop: Header=BB72_30 Depth=1
	s_or_b32 exec_lo, exec_lo, s3
	s_delay_alu instid0(SALU_CYCLE_1)
	s_mov_b32 s3, exec_lo
	v_cmpx_ge_i64_e64 v[15:16], v[23:24]
	s_xor_b32 s3, exec_lo, s3
; %bb.39:                               ;   in Loop: Header=BB72_30 Depth=1
                                        ; implicit-def: $vgpr21
; %bb.40:                               ;   in Loop: Header=BB72_30 Depth=1
	s_delay_alu instid0(SALU_CYCLE_1)
	s_and_not1_saveexec_b32 s3, s3
	s_cbranch_execz .LBB72_42
; %bb.41:                               ;   in Loop: Header=BB72_30 Depth=1
	v_dual_mov_b32 v22, s25 :: v_dual_add_nc_u32 v25, 16, v21
	v_mov_b32_e32 v26, s25
	flat_load_b32 v27, v[21:22] glc dlc
	s_waitcnt vmcnt(0)
	flat_load_b32 v25, v[25:26] glc dlc
	s_waitcnt vmcnt(0) lgkmcnt(0)
	v_dual_max_f32 v26, v27, v27 :: v_dual_max_f32 v25, v25, v25
	s_delay_alu instid0(VALU_DEP_1)
	v_max_f32_e32 v25, v26, v25
	flat_store_b32 v[21:22], v25 dlc
	s_waitcnt_vscnt null, 0x0
.LBB72_42:                              ;   in Loop: Header=BB72_30 Depth=1
	s_or_b32 exec_lo, exec_lo, s3
	v_lshlrev_b32_e32 v21, 2, v31
	s_mov_b32 s3, exec_lo
	v_cmpx_lt_i64_e64 v[17:18], v[23:24]
	s_cbranch_execz .LBB72_44
; %bb.43:                               ;   in Loop: Header=BB72_30 Depth=1
	s_delay_alu instid0(VALU_DEP_2)
	v_dual_mov_b32 v22, s25 :: v_dual_add_nc_u32 v25, 8, v21
	v_mov_b32_e32 v26, s25
	flat_load_b32 v27, v[21:22] glc dlc
	s_waitcnt vmcnt(0)
	flat_load_b32 v25, v[25:26] glc dlc
	s_waitcnt vmcnt(0) lgkmcnt(0)
	v_dual_max_f32 v26, v27, v27 :: v_dual_max_f32 v25, v25, v25
	s_delay_alu instid0(VALU_DEP_1)
	v_max_f32_e32 v25, v26, v25
	flat_store_b32 v[21:22], v25 dlc
	s_waitcnt_vscnt null, 0x0
.LBB72_44:                              ;   in Loop: Header=BB72_30 Depth=1
	s_or_b32 exec_lo, exec_lo, s3
	s_delay_alu instid0(SALU_CYCLE_1)
	s_mov_b32 s3, exec_lo
	v_cmpx_lt_i64_e64 v[19:20], v[23:24]
	s_cbranch_execz .LBB72_28
; %bb.45:                               ;   in Loop: Header=BB72_30 Depth=1
	v_dual_mov_b32 v22, s25 :: v_dual_add_nc_u32 v23, 4, v21
	v_mov_b32_e32 v24, s25
	flat_load_b32 v25, v[21:22] glc dlc
	s_waitcnt vmcnt(0)
	flat_load_b32 v23, v[23:24] glc dlc
	s_waitcnt vmcnt(0) lgkmcnt(0)
	v_dual_max_f32 v24, v25, v25 :: v_dual_max_f32 v23, v23, v23
	s_delay_alu instid0(VALU_DEP_1)
	v_max_f32_e32 v23, v24, v23
	flat_store_b32 v[21:22], v23 dlc
	s_waitcnt_vscnt null, 0x0
	s_branch .LBB72_28
.LBB72_46:
	s_load_b64 s[8:9], s[0:1], 0x40
	v_cmp_lt_i64_e32 vcc_lo, v[7:8], v[5:6]
	v_cmp_eq_u32_e64 s3, 0, v3
	s_waitcnt lgkmcnt(0)
	s_barrier
	buffer_gl0_inv
	s_and_b32 s12, s3, vcc_lo
	s_delay_alu instid0(SALU_CYCLE_1)
	s_and_saveexec_b32 s3, s12
	s_cbranch_execz .LBB72_53
; %bb.47:
	s_load_b64 s[0:1], s[0:1], 0x20
	ds_load_b32 v5, v29
	s_waitcnt lgkmcnt(0)
	s_cmp_eq_u64 s[0:1], 0
	s_cbranch_scc1 .LBB72_49
; %bb.48:
	s_load_b32 s0, s[0:1], 0x0
	v_max_f32_e32 v3, v5, v5
	s_waitcnt lgkmcnt(0)
	v_max_f32_e64 v4, s0, s0
	s_delay_alu instid0(VALU_DEP_1)
	v_min_f32_e32 v5, v3, v4
.LBB72_49:
	s_add_u32 s0, s8, s29
	s_addc_u32 s1, s9, 0
	s_add_u32 s12, s0, -1
	s_addc_u32 s13, s1, -1
	s_delay_alu instid0(SALU_CYCLE_1) | instskip(SKIP_1) | instid1(SALU_CYCLE_1)
	s_or_b64 s[20:21], s[12:13], s[8:9]
	s_mov_b32 s20, 0
	s_cmp_lg_u64 s[20:21], 0
	s_cbranch_scc0 .LBB72_162
; %bb.50:
	s_ashr_i32 s0, s9, 31
	s_delay_alu instid0(SALU_CYCLE_1) | instskip(SKIP_2) | instid1(SALU_CYCLE_1)
	s_add_u32 s22, s8, s0
	s_mov_b32 s1, s0
	s_addc_u32 s23, s9, s0
	s_xor_b64 s[0:1], s[22:23], s[0:1]
	s_delay_alu instid0(SALU_CYCLE_1) | instskip(SKIP_3) | instid1(VALU_DEP_1)
	v_cvt_f32_u32_e32 v3, s0
	v_cvt_f32_u32_e32 v4, s1
	s_sub_u32 s22, 0, s0
	s_subb_u32 s23, 0, s1
	v_fmamk_f32 v3, v4, 0x4f800000, v3
	s_delay_alu instid0(VALU_DEP_1) | instskip(SKIP_2) | instid1(VALU_DEP_1)
	v_rcp_f32_e32 v3, v3
	s_waitcnt_depctr 0xfff
	v_mul_f32_e32 v3, 0x5f7ffffc, v3
	v_mul_f32_e32 v4, 0x2f800000, v3
	s_delay_alu instid0(VALU_DEP_1) | instskip(NEXT) | instid1(VALU_DEP_1)
	v_trunc_f32_e32 v4, v4
	v_fmamk_f32 v3, v4, 0xcf800000, v3
	v_cvt_u32_f32_e32 v4, v4
	s_delay_alu instid0(VALU_DEP_2) | instskip(NEXT) | instid1(VALU_DEP_2)
	v_cvt_u32_f32_e32 v3, v3
	v_readfirstlane_b32 s15, v4
	s_delay_alu instid0(VALU_DEP_2) | instskip(NEXT) | instid1(VALU_DEP_2)
	v_readfirstlane_b32 s21, v3
	s_mul_i32 s24, s22, s15
	s_delay_alu instid0(VALU_DEP_1)
	s_mul_hi_u32 s30, s22, s21
	s_mul_i32 s25, s23, s21
	s_add_i32 s24, s30, s24
	s_mul_i32 s31, s22, s21
	s_add_i32 s24, s24, s25
	s_mul_hi_u32 s30, s21, s31
	s_mul_hi_u32 s33, s15, s31
	s_mul_i32 s25, s15, s31
	s_mul_hi_u32 s31, s21, s24
	s_mul_i32 s21, s21, s24
	s_mul_hi_u32 s34, s15, s24
	s_add_u32 s21, s30, s21
	s_addc_u32 s30, 0, s31
	s_add_u32 s21, s21, s25
	s_mul_i32 s24, s15, s24
	s_addc_u32 s21, s30, s33
	s_addc_u32 s25, s34, 0
	s_add_u32 s21, s21, s24
	s_addc_u32 s24, 0, s25
	v_add_co_u32 v3, s21, v3, s21
	s_delay_alu instid0(VALU_DEP_1) | instskip(SKIP_1) | instid1(VALU_DEP_1)
	s_cmp_lg_u32 s21, 0
	s_addc_u32 s15, s15, s24
	v_readfirstlane_b32 s21, v3
	s_mul_i32 s24, s22, s15
	s_delay_alu instid0(VALU_DEP_1)
	s_mul_hi_u32 s25, s22, s21
	s_mul_i32 s23, s23, s21
	s_add_i32 s24, s25, s24
	s_mul_i32 s22, s22, s21
	s_add_i32 s24, s24, s23
	s_mul_hi_u32 s25, s15, s22
	s_mul_i32 s30, s15, s22
	s_mul_hi_u32 s22, s21, s22
	s_mul_hi_u32 s31, s21, s24
	s_mul_i32 s21, s21, s24
	s_mul_hi_u32 s23, s15, s24
	s_add_u32 s21, s22, s21
	s_addc_u32 s22, 0, s31
	s_add_u32 s21, s21, s30
	s_mul_i32 s24, s15, s24
	s_addc_u32 s21, s22, s25
	s_addc_u32 s22, s23, 0
	s_add_u32 s21, s21, s24
	s_addc_u32 s22, 0, s22
	v_add_co_u32 v3, s21, v3, s21
	s_delay_alu instid0(VALU_DEP_1) | instskip(SKIP_2) | instid1(VALU_DEP_1)
	s_cmp_lg_u32 s21, 0
	s_addc_u32 s15, s15, s22
	s_ashr_i32 s22, s13, 31
	v_readfirstlane_b32 s21, v3
	s_add_u32 s24, s12, s22
	s_mov_b32 s23, s22
	s_addc_u32 s25, s13, s22
	s_delay_alu instid0(SALU_CYCLE_1) | instskip(NEXT) | instid1(SALU_CYCLE_1)
	s_xor_b64 s[24:25], s[24:25], s[22:23]
	s_mul_i32 s30, s24, s15
	s_mul_hi_u32 s31, s24, s21
	s_mul_hi_u32 s23, s24, s15
	;; [unrolled: 1-line block ×3, first 2 shown]
	s_mul_i32 s21, s25, s21
	s_add_u32 s30, s31, s30
	s_addc_u32 s23, 0, s23
	s_mul_hi_u32 s33, s25, s15
	s_add_u32 s21, s30, s21
	s_mul_i32 s15, s25, s15
	s_addc_u32 s21, s23, s34
	s_addc_u32 s23, s33, 0
	s_add_u32 s15, s21, s15
	s_addc_u32 s21, 0, s23
	s_mul_hi_u32 s23, s0, s15
	s_mul_i32 s21, s0, s21
	s_mul_i32 s30, s1, s15
	;; [unrolled: 1-line block ×3, first 2 shown]
	s_add_i32 s21, s23, s21
	v_sub_co_u32 v3, s15, s24, s15
	s_add_i32 s21, s21, s30
	s_delay_alu instid0(SALU_CYCLE_1) | instskip(SKIP_1) | instid1(VALU_DEP_1)
	s_sub_i32 s23, s25, s21
	s_cmp_lg_u32 s15, 0
	v_sub_co_u32 v4, s24, v3, s0
	s_subb_u32 s23, s23, s1
	s_cmp_lg_u32 s24, 0
	s_subb_u32 s30, s23, 0
	s_delay_alu instid0(VALU_DEP_1)
	v_cmp_le_u32_e32 vcc_lo, s0, v4
	s_cmp_ge_u32 s30, s1
	s_cselect_b32 s31, -1, 0
	s_cmp_eq_u32 s30, s1
	v_cndmask_b32_e64 v6, 0, -1, vcc_lo
	s_cselect_b32 vcc_lo, -1, 0
	s_cmp_lg_u32 s24, 0
	v_sub_co_u32 v7, s24, v4, s0
	s_subb_u32 s23, s23, s1
	s_cmp_lg_u32 s24, 0
	v_cndmask_b32_e32 v6, s31, v6, vcc_lo
	s_subb_u32 s23, s23, 0
	s_cmp_lg_u32 s15, 0
	v_cmp_le_u32_e32 vcc_lo, s0, v3
	s_subb_u32 s15, s25, s21
	s_delay_alu instid0(SALU_CYCLE_1)
	s_cmp_ge_u32 s15, s1
	v_cndmask_b32_e64 v8, 0, -1, vcc_lo
	s_cselect_b32 s21, -1, 0
	s_cmp_eq_u32 s15, s1
	v_cmp_ne_u32_e32 vcc_lo, 0, v6
	v_mov_b32_e32 v6, s23
	s_cselect_b32 s0, -1, 0
	s_delay_alu instid0(SALU_CYCLE_1) | instskip(SKIP_1) | instid1(VALU_DEP_3)
	v_cndmask_b32_e64 v8, s21, v8, s0
	v_cndmask_b32_e32 v4, v4, v7, vcc_lo
	v_cndmask_b32_e32 v6, s30, v6, vcc_lo
	s_delay_alu instid0(VALU_DEP_3) | instskip(NEXT) | instid1(VALU_DEP_3)
	v_cmp_ne_u32_e32 vcc_lo, 0, v8
	v_cndmask_b32_e32 v3, v3, v4, vcc_lo
	s_delay_alu instid0(VALU_DEP_3) | instskip(NEXT) | instid1(VALU_DEP_2)
	v_cndmask_b32_e32 v6, s15, v6, vcc_lo
	v_xor_b32_e32 v3, s22, v3
	s_delay_alu instid0(VALU_DEP_2) | instskip(NEXT) | instid1(VALU_DEP_2)
	v_xor_b32_e32 v4, s22, v6
	v_sub_co_u32 v3, vcc_lo, v3, s22
	s_delay_alu instid0(VALU_DEP_2)
	v_subrev_co_ci_u32_e32 v4, vcc_lo, s22, v4, vcc_lo
	s_and_not1_b32 vcc_lo, exec_lo, s20
	s_cbranch_vccnz .LBB72_52
.LBB72_51:
	v_cvt_f32_u32_e32 v3, s8
	s_sub_i32 s0, 0, s8
	s_delay_alu instid0(VALU_DEP_1) | instskip(SKIP_2) | instid1(VALU_DEP_1)
	v_rcp_iflag_f32_e32 v3, v3
	s_waitcnt_depctr 0xfff
	v_mul_f32_e32 v3, 0x4f7ffffe, v3
	v_cvt_u32_f32_e32 v3, v3
	s_delay_alu instid0(VALU_DEP_1) | instskip(NEXT) | instid1(VALU_DEP_1)
	v_mul_lo_u32 v4, s0, v3
	v_mul_hi_u32 v4, v3, v4
	s_delay_alu instid0(VALU_DEP_1) | instskip(NEXT) | instid1(VALU_DEP_1)
	v_add_nc_u32_e32 v3, v3, v4
	v_mul_hi_u32 v3, s12, v3
	s_delay_alu instid0(VALU_DEP_1) | instskip(NEXT) | instid1(VALU_DEP_1)
	v_mul_lo_u32 v3, v3, s8
	v_sub_nc_u32_e32 v3, s12, v3
	s_delay_alu instid0(VALU_DEP_1) | instskip(SKIP_1) | instid1(VALU_DEP_2)
	v_subrev_nc_u32_e32 v4, s8, v3
	v_cmp_le_u32_e32 vcc_lo, s8, v3
	v_cndmask_b32_e32 v3, v3, v4, vcc_lo
	s_delay_alu instid0(VALU_DEP_1) | instskip(SKIP_1) | instid1(VALU_DEP_2)
	v_subrev_nc_u32_e32 v4, s8, v3
	v_cmp_le_u32_e32 vcc_lo, s8, v3
	v_dual_cndmask_b32 v3, v3, v4 :: v_dual_mov_b32 v4, 0
.LBB72_52:
	v_div_scale_f32 v6, null, 0x43e00000, 0x43e00000, v5
	v_div_scale_f32 v9, vcc_lo, v5, 0x43e00000, v5
	s_delay_alu instid0(VALU_DEP_3) | instskip(NEXT) | instid1(VALU_DEP_3)
	v_sub_co_u32 v10, s0, s12, v3
	v_rcp_f32_e32 v7, v6
	v_sub_co_ci_u32_e64 v3, s0, s13, v4, s0
	s_lshl_b64 s[0:1], s[16:17], 2
	s_delay_alu instid0(SALU_CYCLE_1) | instskip(NEXT) | instid1(VALU_DEP_1)
	s_add_u32 s0, s0, s6
	v_mul_lo_u32 v11, v3, v1
	s_addc_u32 s1, s1, s7
	s_waitcnt_depctr 0xfff
	v_fma_f32 v8, -v6, v7, 1.0
	s_delay_alu instid0(VALU_DEP_1) | instskip(NEXT) | instid1(VALU_DEP_1)
	v_fmac_f32_e32 v7, v8, v7
	v_mul_f32_e32 v8, v9, v7
	s_delay_alu instid0(VALU_DEP_1) | instskip(NEXT) | instid1(VALU_DEP_1)
	v_fma_f32 v4, -v6, v8, v9
	v_fmac_f32_e32 v8, v4, v7
	v_mul_lo_u32 v4, v10, v2
	v_mad_u64_u32 v[2:3], null, v10, v1, 0
	s_delay_alu instid0(VALU_DEP_3) | instskip(NEXT) | instid1(VALU_DEP_2)
	v_fma_f32 v1, -v6, v8, v9
	v_add3_u32 v3, v3, v4, v11
	s_delay_alu instid0(VALU_DEP_2) | instskip(NEXT) | instid1(VALU_DEP_1)
	v_div_fmas_f32 v1, v1, v7, v8
	v_div_fixup_f32 v4, v1, 0x43e00000, v5
	s_delay_alu instid0(VALU_DEP_3) | instskip(NEXT) | instid1(VALU_DEP_2)
	v_lshlrev_b64 v[1:2], 2, v[2:3]
	v_max_f32_e32 v3, 0x36924925, v4
	s_delay_alu instid0(VALU_DEP_2) | instskip(NEXT) | instid1(VALU_DEP_3)
	v_add_co_u32 v1, vcc_lo, s0, v1
	v_add_co_ci_u32_e32 v2, vcc_lo, s1, v2, vcc_lo
	global_store_b32 v[1:2], v3, off
.LBB72_53:
	s_or_b32 exec_lo, exec_lo, s3
	s_waitcnt_vscnt null, 0x0
	s_barrier
	buffer_gl0_inv
	s_and_saveexec_b32 s0, s2
	s_cbranch_execz .LBB72_161
; %bb.54:
	s_add_u32 s0, s8, s29
	s_addc_u32 s1, s9, 0
	s_add_u32 s2, s0, -1
	s_addc_u32 s3, s1, -1
	s_delay_alu instid0(SALU_CYCLE_1) | instskip(SKIP_1) | instid1(SALU_CYCLE_1)
	s_or_b64 s[12:13], s[2:3], s[8:9]
	s_mov_b32 s12, 0
	s_cmp_lg_u64 s[12:13], 0
	s_cbranch_scc0 .LBB72_163
; %bb.55:
	s_ashr_i32 s0, s9, 31
	s_delay_alu instid0(SALU_CYCLE_1) | instskip(SKIP_2) | instid1(SALU_CYCLE_1)
	s_add_u32 s20, s8, s0
	s_mov_b32 s1, s0
	s_addc_u32 s21, s9, s0
	s_xor_b64 s[0:1], s[20:21], s[0:1]
	s_delay_alu instid0(SALU_CYCLE_1) | instskip(SKIP_3) | instid1(VALU_DEP_1)
	v_cvt_f32_u32_e32 v1, s0
	v_cvt_f32_u32_e32 v2, s1
	s_sub_u32 s15, 0, s0
	s_subb_u32 s20, 0, s1
	v_fmamk_f32 v1, v2, 0x4f800000, v1
	s_delay_alu instid0(VALU_DEP_1) | instskip(SKIP_2) | instid1(VALU_DEP_1)
	v_rcp_f32_e32 v1, v1
	s_waitcnt_depctr 0xfff
	v_mul_f32_e32 v1, 0x5f7ffffc, v1
	v_mul_f32_e32 v2, 0x2f800000, v1
	s_delay_alu instid0(VALU_DEP_1) | instskip(NEXT) | instid1(VALU_DEP_1)
	v_trunc_f32_e32 v2, v2
	v_fmamk_f32 v1, v2, 0xcf800000, v1
	v_cvt_u32_f32_e32 v2, v2
	s_delay_alu instid0(VALU_DEP_2) | instskip(NEXT) | instid1(VALU_DEP_2)
	v_cvt_u32_f32_e32 v1, v1
	v_readfirstlane_b32 s9, v2
	s_delay_alu instid0(VALU_DEP_2) | instskip(NEXT) | instid1(VALU_DEP_2)
	v_readfirstlane_b32 s13, v1
	s_mul_i32 s21, s15, s9
	s_delay_alu instid0(VALU_DEP_1)
	s_mul_hi_u32 s23, s15, s13
	s_mul_i32 s22, s20, s13
	s_add_i32 s21, s23, s21
	s_mul_i32 s24, s15, s13
	s_add_i32 s21, s21, s22
	s_mul_hi_u32 s23, s13, s24
	s_mul_hi_u32 s25, s9, s24
	s_mul_i32 s22, s9, s24
	s_mul_hi_u32 s24, s13, s21
	s_mul_i32 s13, s13, s21
	s_mul_hi_u32 s29, s9, s21
	s_add_u32 s13, s23, s13
	s_addc_u32 s23, 0, s24
	s_add_u32 s13, s13, s22
	s_mul_i32 s21, s9, s21
	s_addc_u32 s13, s23, s25
	s_addc_u32 s22, s29, 0
	s_add_u32 s13, s13, s21
	s_addc_u32 s21, 0, s22
	v_add_co_u32 v1, s13, v1, s13
	s_delay_alu instid0(VALU_DEP_1) | instskip(SKIP_1) | instid1(VALU_DEP_1)
	s_cmp_lg_u32 s13, 0
	s_addc_u32 s9, s9, s21
	v_readfirstlane_b32 s13, v1
	s_mul_i32 s21, s15, s9
	s_delay_alu instid0(VALU_DEP_1)
	s_mul_hi_u32 s22, s15, s13
	s_mul_i32 s20, s20, s13
	s_add_i32 s21, s22, s21
	s_mul_i32 s15, s15, s13
	s_add_i32 s21, s21, s20
	s_mul_hi_u32 s22, s9, s15
	s_mul_i32 s23, s9, s15
	s_mul_hi_u32 s15, s13, s15
	s_mul_hi_u32 s24, s13, s21
	s_mul_i32 s13, s13, s21
	s_mul_hi_u32 s20, s9, s21
	s_add_u32 s13, s15, s13
	s_addc_u32 s15, 0, s24
	s_add_u32 s13, s13, s23
	s_mul_i32 s21, s9, s21
	s_addc_u32 s13, s15, s22
	s_addc_u32 s15, s20, 0
	s_add_u32 s13, s13, s21
	s_addc_u32 s15, 0, s15
	v_add_co_u32 v1, s13, v1, s13
	s_delay_alu instid0(VALU_DEP_1) | instskip(SKIP_2) | instid1(VALU_DEP_1)
	s_cmp_lg_u32 s13, 0
	s_addc_u32 s9, s9, s15
	s_ashr_i32 s20, s3, 31
	v_readfirstlane_b32 s13, v1
	s_add_u32 s22, s2, s20
	s_mov_b32 s21, s20
	s_addc_u32 s23, s3, s20
	s_delay_alu instid0(SALU_CYCLE_1) | instskip(NEXT) | instid1(SALU_CYCLE_1)
	s_xor_b64 s[22:23], s[22:23], s[20:21]
	s_mul_i32 s21, s22, s9
	s_mul_hi_u32 s24, s22, s13
	s_mul_hi_u32 s15, s22, s9
	;; [unrolled: 1-line block ×3, first 2 shown]
	s_mul_i32 s13, s23, s13
	s_add_u32 s21, s24, s21
	s_addc_u32 s15, 0, s15
	s_mul_hi_u32 s25, s23, s9
	s_add_u32 s13, s21, s13
	s_mul_i32 s9, s23, s9
	s_addc_u32 s13, s15, s29
	s_addc_u32 s15, s25, 0
	s_add_u32 s9, s13, s9
	s_addc_u32 s13, 0, s15
	s_mul_hi_u32 s15, s0, s9
	s_mul_i32 s13, s0, s13
	s_mul_i32 s21, s1, s9
	s_mul_i32 s9, s0, s9
	s_add_i32 s13, s15, s13
	v_sub_co_u32 v1, s9, s22, s9
	s_add_i32 s13, s13, s21
	s_delay_alu instid0(SALU_CYCLE_1) | instskip(SKIP_1) | instid1(VALU_DEP_1)
	s_sub_i32 s15, s23, s13
	s_cmp_lg_u32 s9, 0
	v_sub_co_u32 v2, s21, v1, s0
	s_subb_u32 s15, s15, s1
	s_cmp_lg_u32 s21, 0
	s_subb_u32 s22, s15, 0
	s_delay_alu instid0(VALU_DEP_1)
	v_cmp_le_u32_e32 vcc_lo, s0, v2
	s_cmp_ge_u32 s22, s1
	s_cselect_b32 s24, -1, 0
	s_cmp_eq_u32 s22, s1
	v_cndmask_b32_e64 v3, 0, -1, vcc_lo
	s_cselect_b32 vcc_lo, -1, 0
	s_cmp_lg_u32 s21, 0
	v_sub_co_u32 v4, s21, v2, s0
	s_subb_u32 s15, s15, s1
	s_cmp_lg_u32 s21, 0
	v_cndmask_b32_e32 v3, s24, v3, vcc_lo
	s_subb_u32 s15, s15, 0
	s_cmp_lg_u32 s9, 0
	v_cmp_le_u32_e32 vcc_lo, s0, v1
	s_subb_u32 s9, s23, s13
	s_delay_alu instid0(SALU_CYCLE_1)
	s_cmp_ge_u32 s9, s1
	v_cndmask_b32_e64 v5, 0, -1, vcc_lo
	s_cselect_b32 s13, -1, 0
	s_cmp_eq_u32 s9, s1
	v_cmp_ne_u32_e32 vcc_lo, 0, v3
	v_mov_b32_e32 v3, s15
	s_cselect_b32 s0, -1, 0
	s_delay_alu instid0(SALU_CYCLE_1) | instskip(SKIP_1) | instid1(VALU_DEP_3)
	v_cndmask_b32_e64 v5, s13, v5, s0
	v_cndmask_b32_e32 v2, v2, v4, vcc_lo
	v_cndmask_b32_e32 v3, s22, v3, vcc_lo
	s_delay_alu instid0(VALU_DEP_3) | instskip(NEXT) | instid1(VALU_DEP_3)
	v_cmp_ne_u32_e32 vcc_lo, 0, v5
	v_cndmask_b32_e32 v1, v1, v2, vcc_lo
	s_delay_alu instid0(VALU_DEP_3) | instskip(NEXT) | instid1(VALU_DEP_2)
	v_cndmask_b32_e32 v3, s9, v3, vcc_lo
	v_xor_b32_e32 v1, s20, v1
	s_delay_alu instid0(VALU_DEP_2) | instskip(NEXT) | instid1(VALU_DEP_2)
	v_xor_b32_e32 v2, s20, v3
	v_sub_co_u32 v1, vcc_lo, v1, s20
	s_delay_alu instid0(VALU_DEP_2)
	v_subrev_co_ci_u32_e32 v2, vcc_lo, s20, v2, vcc_lo
	s_and_not1_b32 vcc_lo, exec_lo, s12
	s_cbranch_vccnz .LBB72_57
.LBB72_56:
	v_cvt_f32_u32_e32 v1, s8
	s_sub_i32 s0, 0, s8
	s_delay_alu instid0(VALU_DEP_1) | instskip(SKIP_2) | instid1(VALU_DEP_1)
	v_rcp_iflag_f32_e32 v1, v1
	s_waitcnt_depctr 0xfff
	v_mul_f32_e32 v1, 0x4f7ffffe, v1
	v_cvt_u32_f32_e32 v1, v1
	s_delay_alu instid0(VALU_DEP_1) | instskip(NEXT) | instid1(VALU_DEP_1)
	v_mul_lo_u32 v2, s0, v1
	v_mul_hi_u32 v2, v1, v2
	s_delay_alu instid0(VALU_DEP_1) | instskip(NEXT) | instid1(VALU_DEP_1)
	v_add_nc_u32_e32 v1, v1, v2
	v_mul_hi_u32 v1, s2, v1
	s_delay_alu instid0(VALU_DEP_1) | instskip(NEXT) | instid1(VALU_DEP_1)
	v_mul_lo_u32 v1, v1, s8
	v_sub_nc_u32_e32 v1, s2, v1
	s_delay_alu instid0(VALU_DEP_1) | instskip(SKIP_1) | instid1(VALU_DEP_2)
	v_subrev_nc_u32_e32 v2, s8, v1
	v_cmp_le_u32_e32 vcc_lo, s8, v1
	v_cndmask_b32_e32 v1, v1, v2, vcc_lo
	s_delay_alu instid0(VALU_DEP_1) | instskip(SKIP_1) | instid1(VALU_DEP_2)
	v_subrev_nc_u32_e32 v2, s8, v1
	v_cmp_le_u32_e32 vcc_lo, s8, v1
	v_dual_cndmask_b32 v1, v1, v2 :: v_dual_mov_b32 v2, 0
.LBB72_57:
	s_mul_i32 s0, s19, s16
	s_mul_hi_u32 s1, s18, s16
	s_mul_i32 s8, s18, s16
	s_add_i32 s1, s1, s0
	v_sub_co_u32 v9, vcc_lo, s2, v1
	s_add_u32 s0, s4, s8
	s_addc_u32 s1, s5, s1
	s_lshl_b64 s[4:5], s[16:17], 2
	v_sub_co_ci_u32_e32 v10, vcc_lo, s3, v2, vcc_lo
	v_mov_b32_e32 v1, 0
	s_add_u32 s4, s6, s4
	s_addc_u32 s5, s7, s5
	s_mul_i32 s2, s28, 3
	s_lshl_b32 s3, s28, 1
	s_mov_b32 s6, 0
	s_mov_b32 s7, 0x43e00000
	s_add_i32 s8, s28, s28
	s_branch .LBB72_63
.LBB72_58:                              ;   in Loop: Header=BB72_63 Depth=1
	s_or_b32 exec_lo, exec_lo, s16
.LBB72_59:                              ;   in Loop: Header=BB72_63 Depth=1
	s_delay_alu instid0(SALU_CYCLE_1)
	s_or_b32 exec_lo, exec_lo, s15
	v_lshrrev_b32_e32 v6, 24, v14
	v_lshrrev_b32_e32 v12, 24, v13
	v_and_b32_e32 v13, 0x80000000, v4
	v_lshrrev_b32_e32 v11, 24, v11
	v_and_b32_e32 v8, 0xff, v8
	v_and_b32_e32 v6, 0x80, v6
	;; [unrolled: 1-line block ×3, first 2 shown]
	s_delay_alu instid0(VALU_DEP_3) | instskip(NEXT) | instid1(VALU_DEP_3)
	v_and_or_b32 v8, 0x80, v11, v8
	v_and_or_b32 v5, 0xff, v5, v6
	v_lshlrev_b32_e32 v6, 24, v3
	v_lshlrev_b64 v[3:4], 2, v[0:1]
	v_and_or_b32 v7, 0xff, v7, v12
	v_add3_u32 v0, s8, s28, v2
	v_lshlrev_b32_e32 v5, 16, v5
	s_delay_alu instid0(VALU_DEP_3) | instskip(SKIP_1) | instid1(VALU_DEP_3)
	v_lshlrev_b32_e32 v7, 8, v7
	v_add_co_u32 v2, vcc_lo, s0, v3
	v_or3_b32 v5, v13, v6, v5
	v_add_co_ci_u32_e32 v3, vcc_lo, s1, v4, vcc_lo
	v_cmp_le_u32_e32 vcc_lo, s14, v0
	s_delay_alu instid0(VALU_DEP_3)
	v_or3_b32 v4, v5, v7, v8
	s_or_not1_b32 s15, vcc_lo, exec_lo
	global_store_b32 v[2:3], v4, off
.LBB72_60:                              ;   in Loop: Header=BB72_63 Depth=1
	s_or_b32 exec_lo, exec_lo, s13
	s_delay_alu instid0(SALU_CYCLE_1)
	s_or_not1_b32 s13, s15, exec_lo
.LBB72_61:                              ;   in Loop: Header=BB72_63 Depth=1
	s_or_b32 exec_lo, exec_lo, s12
	s_delay_alu instid0(SALU_CYCLE_1)
	s_or_not1_b32 s12, s13, exec_lo
.LBB72_62:                              ;   in Loop: Header=BB72_63 Depth=1
	s_or_b32 exec_lo, exec_lo, s9
	s_delay_alu instid0(SALU_CYCLE_1) | instskip(NEXT) | instid1(SALU_CYCLE_1)
	s_and_b32 s9, exec_lo, s12
	s_or_b32 s6, s9, s6
	s_delay_alu instid0(SALU_CYCLE_1)
	s_and_not1_b32 exec_lo, exec_lo, s6
	s_cbranch_execz .LBB72_161
.LBB72_63:                              ; =>This Inner Loop Header: Depth=1
	v_lshlrev_b64 v[4:5], 3, v[0:1]
	v_bfe_u32 v8, v0, 5, 25
	s_mov_b32 s9, exec_lo
	s_delay_alu instid0(VALU_DEP_1) | instskip(NEXT) | instid1(VALU_DEP_3)
	v_mad_u64_u32 v[6:7], null, v9, v8, 0
	v_add_co_u32 v2, vcc_lo, s26, v4
	s_delay_alu instid0(VALU_DEP_4)
	v_add_co_ci_u32_e32 v3, vcc_lo, s27, v5, vcc_lo
	v_add_co_u32 v4, vcc_lo, s10, v4
	v_add_co_ci_u32_e32 v5, vcc_lo, s11, v5, vcc_lo
	global_load_b64 v[2:3], v[2:3], off
	v_mad_u64_u32 v[11:12], null, v10, v8, v[7:8]
	global_load_b64 v[4:5], v[4:5], off
	v_mov_b32_e32 v7, v11
	s_delay_alu instid0(VALU_DEP_1) | instskip(NEXT) | instid1(VALU_DEP_1)
	v_lshlrev_b64 v[6:7], 2, v[6:7]
	v_add_co_u32 v6, vcc_lo, s4, v6
	s_delay_alu instid0(VALU_DEP_2)
	v_add_co_ci_u32_e32 v7, vcc_lo, s5, v7, vcc_lo
	global_load_b32 v11, v[6:7], off
	s_waitcnt vmcnt(2)
	v_lshlrev_b32_e32 v6, 16, v2
	s_waitcnt vmcnt(1)
	v_lshlrev_b32_e32 v8, 16, v4
	s_delay_alu instid0(VALU_DEP_2) | instskip(NEXT) | instid1(VALU_DEP_1)
	v_mul_f32_e32 v6, v28, v6
	v_bfe_u32 v7, v6, 16, 1
	s_delay_alu instid0(VALU_DEP_1) | instskip(NEXT) | instid1(VALU_DEP_1)
	v_add3_u32 v7, v6, v7, 0x7fff
	v_and_b32_e32 v7, 0xffff0000, v7
	v_cmp_o_f32_e32 vcc_lo, v6, v6
	s_delay_alu instid0(VALU_DEP_2) | instskip(NEXT) | instid1(VALU_DEP_1)
	v_cndmask_b32_e32 v6, 0x7fc00000, v7, vcc_lo
	v_mul_f32_e32 v6, v6, v8
	s_delay_alu instid0(VALU_DEP_1) | instskip(NEXT) | instid1(VALU_DEP_1)
	v_bfe_u32 v7, v6, 16, 1
	v_add3_u32 v7, v6, v7, 0x7fff
	s_delay_alu instid0(VALU_DEP_1) | instskip(SKIP_1) | instid1(VALU_DEP_2)
	v_and_b32_e32 v7, 0xffff0000, v7
	v_cmp_o_f32_e32 vcc_lo, v6, v6
	v_cndmask_b32_e32 v6, 0x7fc00000, v7, vcc_lo
	s_waitcnt vmcnt(0)
	s_delay_alu instid0(VALU_DEP_1) | instskip(SKIP_1) | instid1(VALU_DEP_2)
	v_div_scale_f32 v7, null, v11, v11, v6
	v_div_scale_f32 v13, vcc_lo, v6, v11, v6
	v_rcp_f32_e32 v8, v7
	s_waitcnt_depctr 0xfff
	v_fma_f32 v12, -v7, v8, 1.0
	s_delay_alu instid0(VALU_DEP_1) | instskip(NEXT) | instid1(VALU_DEP_1)
	v_fmac_f32_e32 v8, v12, v8
	v_mul_f32_e32 v12, v13, v8
	s_delay_alu instid0(VALU_DEP_1) | instskip(NEXT) | instid1(VALU_DEP_1)
	v_fma_f32 v14, -v7, v12, v13
	v_fmac_f32_e32 v12, v14, v8
	s_delay_alu instid0(VALU_DEP_1) | instskip(NEXT) | instid1(VALU_DEP_1)
	v_fma_f32 v7, -v7, v12, v13
	v_div_fmas_f32 v7, v7, v8, v12
	s_delay_alu instid0(VALU_DEP_1) | instskip(SKIP_1) | instid1(VALU_DEP_2)
	v_div_fixup_f32 v6, v7, v11, v6
	v_mov_b32_e32 v7, 0x7f
	v_minmax_f32 v8, v6, s7, 0xc3e00000
	v_mov_b32_e32 v6, 0x7f
	s_delay_alu instid0(VALU_DEP_2) | instskip(NEXT) | instid1(VALU_DEP_1)
	v_and_b32_e32 v12, 0x7fffffff, v8
	v_cmpx_gt_u32_e32 0x43f00000, v12
	s_cbranch_execz .LBB72_69
; %bb.64:                               ;   in Loop: Header=BB72_63 Depth=1
	s_mov_b32 s12, exec_lo
                                        ; implicit-def: $vgpr7
	v_cmpx_lt_u32_e32 0x3c7fffff, v12
	s_xor_b32 s12, exec_lo, s12
; %bb.65:                               ;   in Loop: Header=BB72_63 Depth=1
	v_bfe_u32 v7, v8, 20, 1
	s_delay_alu instid0(VALU_DEP_1) | instskip(NEXT) | instid1(VALU_DEP_1)
	v_add3_u32 v7, v8, v7, 0x407ffff
	v_lshrrev_b32_e32 v7, 20, v7
; %bb.66:                               ;   in Loop: Header=BB72_63 Depth=1
	s_and_not1_saveexec_b32 s12, s12
; %bb.67:                               ;   in Loop: Header=BB72_63 Depth=1
	v_add_f32_e64 v7, 0x46800000, |v8|
; %bb.68:                               ;   in Loop: Header=BB72_63 Depth=1
	s_or_b32 exec_lo, exec_lo, s12
.LBB72_69:                              ;   in Loop: Header=BB72_63 Depth=1
	s_delay_alu instid0(SALU_CYCLE_1) | instskip(SKIP_3) | instid1(VALU_DEP_2)
	s_or_b32 exec_lo, exec_lo, s9
	v_and_b32_e32 v12, 0xffff0000, v2
	v_and_b32_e32 v14, 0xffff0000, v4
	s_mov_b32 s9, exec_lo
	v_mul_f32_e32 v12, v28, v12
	s_delay_alu instid0(VALU_DEP_1) | instskip(NEXT) | instid1(VALU_DEP_1)
	v_bfe_u32 v13, v12, 16, 1
	v_add3_u32 v13, v12, v13, 0x7fff
	s_delay_alu instid0(VALU_DEP_1) | instskip(SKIP_1) | instid1(VALU_DEP_2)
	v_and_b32_e32 v13, 0xffff0000, v13
	v_cmp_o_f32_e32 vcc_lo, v12, v12
	v_cndmask_b32_e32 v12, 0x7fc00000, v13, vcc_lo
	s_delay_alu instid0(VALU_DEP_1) | instskip(NEXT) | instid1(VALU_DEP_1)
	v_mul_f32_e32 v12, v12, v14
	v_bfe_u32 v13, v12, 16, 1
	s_delay_alu instid0(VALU_DEP_1) | instskip(NEXT) | instid1(VALU_DEP_1)
	v_add3_u32 v13, v12, v13, 0x7fff
	v_and_b32_e32 v13, 0xffff0000, v13
	v_cmp_o_f32_e32 vcc_lo, v12, v12
	s_delay_alu instid0(VALU_DEP_2) | instskip(NEXT) | instid1(VALU_DEP_1)
	v_cndmask_b32_e32 v12, 0x7fc00000, v13, vcc_lo
	v_div_scale_f32 v13, null, v11, v11, v12
	s_delay_alu instid0(VALU_DEP_1) | instskip(SKIP_2) | instid1(VALU_DEP_1)
	v_rcp_f32_e32 v14, v13
	s_waitcnt_depctr 0xfff
	v_fma_f32 v15, -v13, v14, 1.0
	v_fmac_f32_e32 v14, v15, v14
	v_div_scale_f32 v15, vcc_lo, v12, v11, v12
	s_delay_alu instid0(VALU_DEP_1) | instskip(NEXT) | instid1(VALU_DEP_1)
	v_mul_f32_e32 v16, v15, v14
	v_fma_f32 v17, -v13, v16, v15
	s_delay_alu instid0(VALU_DEP_1) | instskip(NEXT) | instid1(VALU_DEP_1)
	v_fmac_f32_e32 v16, v17, v14
	v_fma_f32 v13, -v13, v16, v15
	s_delay_alu instid0(VALU_DEP_1) | instskip(NEXT) | instid1(VALU_DEP_1)
	v_div_fmas_f32 v13, v13, v14, v16
	v_div_fixup_f32 v12, v13, v11, v12
	s_delay_alu instid0(VALU_DEP_1) | instskip(NEXT) | instid1(VALU_DEP_1)
	v_minmax_f32 v12, v12, s7, 0xc3e00000
	v_and_b32_e32 v13, 0x7fffffff, v12
	s_delay_alu instid0(VALU_DEP_1)
	v_cmpx_gt_u32_e32 0x43f00000, v13
	s_cbranch_execz .LBB72_75
; %bb.70:                               ;   in Loop: Header=BB72_63 Depth=1
	s_mov_b32 s12, exec_lo
                                        ; implicit-def: $vgpr6
	v_cmpx_lt_u32_e32 0x3c7fffff, v13
	s_xor_b32 s12, exec_lo, s12
; %bb.71:                               ;   in Loop: Header=BB72_63 Depth=1
	v_bfe_u32 v6, v12, 20, 1
	s_delay_alu instid0(VALU_DEP_1) | instskip(NEXT) | instid1(VALU_DEP_1)
	v_add3_u32 v6, v12, v6, 0x407ffff
	v_lshrrev_b32_e32 v6, 20, v6
; %bb.72:                               ;   in Loop: Header=BB72_63 Depth=1
	s_and_not1_saveexec_b32 s12, s12
; %bb.73:                               ;   in Loop: Header=BB72_63 Depth=1
	v_add_f32_e64 v6, 0x46800000, |v12|
; %bb.74:                               ;   in Loop: Header=BB72_63 Depth=1
	s_or_b32 exec_lo, exec_lo, s12
.LBB72_75:                              ;   in Loop: Header=BB72_63 Depth=1
	s_delay_alu instid0(SALU_CYCLE_1) | instskip(SKIP_3) | instid1(VALU_DEP_2)
	s_or_b32 exec_lo, exec_lo, s9
	v_alignbit_b32 v2, v3, v2, 16
	v_alignbit_b32 v4, v5, v4, 16
	s_mov_b32 s9, exec_lo
	v_and_b32_e32 v2, 0xffff0000, v2
	s_delay_alu instid0(VALU_DEP_2) | instskip(NEXT) | instid1(VALU_DEP_2)
	v_and_b32_e32 v4, 0xffff0000, v4
	v_mul_f32_e32 v2, v28, v2
	s_delay_alu instid0(VALU_DEP_1) | instskip(NEXT) | instid1(VALU_DEP_1)
	v_bfe_u32 v13, v2, 16, 1
	v_add3_u32 v13, v2, v13, 0x7fff
	s_delay_alu instid0(VALU_DEP_1) | instskip(SKIP_1) | instid1(VALU_DEP_2)
	v_and_b32_e32 v13, 0xffff0000, v13
	v_cmp_o_f32_e32 vcc_lo, v2, v2
	v_cndmask_b32_e32 v2, 0x7fc00000, v13, vcc_lo
	s_delay_alu instid0(VALU_DEP_1) | instskip(NEXT) | instid1(VALU_DEP_1)
	v_mul_f32_e32 v2, v2, v4
	v_bfe_u32 v4, v2, 16, 1
	v_cmp_o_f32_e32 vcc_lo, v2, v2
	s_delay_alu instid0(VALU_DEP_2) | instskip(NEXT) | instid1(VALU_DEP_1)
	v_add3_u32 v4, v2, v4, 0x7fff
	v_and_b32_e32 v4, 0xffff0000, v4
	s_delay_alu instid0(VALU_DEP_1) | instskip(NEXT) | instid1(VALU_DEP_1)
	v_cndmask_b32_e32 v2, 0x7fc00000, v4, vcc_lo
	v_div_scale_f32 v4, null, v11, v11, v2
	v_div_scale_f32 v15, vcc_lo, v2, v11, v2
	s_delay_alu instid0(VALU_DEP_2) | instskip(SKIP_2) | instid1(VALU_DEP_1)
	v_rcp_f32_e32 v13, v4
	s_waitcnt_depctr 0xfff
	v_fma_f32 v14, -v4, v13, 1.0
	v_fmac_f32_e32 v13, v14, v13
	s_delay_alu instid0(VALU_DEP_1) | instskip(NEXT) | instid1(VALU_DEP_1)
	v_mul_f32_e32 v14, v15, v13
	v_fma_f32 v16, -v4, v14, v15
	s_delay_alu instid0(VALU_DEP_1) | instskip(NEXT) | instid1(VALU_DEP_1)
	v_fmac_f32_e32 v14, v16, v13
	v_fma_f32 v4, -v4, v14, v15
	s_delay_alu instid0(VALU_DEP_1) | instskip(NEXT) | instid1(VALU_DEP_1)
	v_div_fmas_f32 v4, v4, v13, v14
	v_div_fixup_f32 v2, v4, v11, v2
	v_mov_b32_e32 v4, 0x7f
	s_delay_alu instid0(VALU_DEP_2) | instskip(SKIP_1) | instid1(VALU_DEP_2)
	v_minmax_f32 v13, v2, s7, 0xc3e00000
	v_mov_b32_e32 v2, 0x7f
	v_and_b32_e32 v14, 0x7fffffff, v13
	s_delay_alu instid0(VALU_DEP_1)
	v_cmpx_gt_u32_e32 0x43f00000, v14
	s_cbranch_execz .LBB72_81
; %bb.76:                               ;   in Loop: Header=BB72_63 Depth=1
	s_mov_b32 s12, exec_lo
                                        ; implicit-def: $vgpr4
	v_cmpx_lt_u32_e32 0x3c7fffff, v14
	s_xor_b32 s12, exec_lo, s12
; %bb.77:                               ;   in Loop: Header=BB72_63 Depth=1
	v_bfe_u32 v4, v13, 20, 1
	s_delay_alu instid0(VALU_DEP_1) | instskip(NEXT) | instid1(VALU_DEP_1)
	v_add3_u32 v4, v13, v4, 0x407ffff
	v_lshrrev_b32_e32 v4, 20, v4
; %bb.78:                               ;   in Loop: Header=BB72_63 Depth=1
	s_and_not1_saveexec_b32 s12, s12
; %bb.79:                               ;   in Loop: Header=BB72_63 Depth=1
	v_add_f32_e64 v4, 0x46800000, |v13|
; %bb.80:                               ;   in Loop: Header=BB72_63 Depth=1
	s_or_b32 exec_lo, exec_lo, s12
.LBB72_81:                              ;   in Loop: Header=BB72_63 Depth=1
	s_delay_alu instid0(SALU_CYCLE_1) | instskip(SKIP_3) | instid1(VALU_DEP_2)
	s_or_b32 exec_lo, exec_lo, s9
	v_and_b32_e32 v3, 0xffff0000, v3
	v_and_b32_e32 v5, 0xffff0000, v5
	s_mov_b32 s9, exec_lo
	v_mul_f32_e32 v3, v28, v3
	s_delay_alu instid0(VALU_DEP_1) | instskip(NEXT) | instid1(VALU_DEP_1)
	v_bfe_u32 v14, v3, 16, 1
	v_add3_u32 v14, v3, v14, 0x7fff
	s_delay_alu instid0(VALU_DEP_1) | instskip(SKIP_1) | instid1(VALU_DEP_2)
	v_and_b32_e32 v14, 0xffff0000, v14
	v_cmp_o_f32_e32 vcc_lo, v3, v3
	v_cndmask_b32_e32 v3, 0x7fc00000, v14, vcc_lo
	s_delay_alu instid0(VALU_DEP_1) | instskip(NEXT) | instid1(VALU_DEP_1)
	v_mul_f32_e32 v3, v3, v5
	v_bfe_u32 v5, v3, 16, 1
	v_cmp_o_f32_e32 vcc_lo, v3, v3
	s_delay_alu instid0(VALU_DEP_2) | instskip(NEXT) | instid1(VALU_DEP_1)
	v_add3_u32 v5, v3, v5, 0x7fff
	v_and_b32_e32 v5, 0xffff0000, v5
	s_delay_alu instid0(VALU_DEP_1) | instskip(NEXT) | instid1(VALU_DEP_1)
	v_cndmask_b32_e32 v3, 0x7fc00000, v5, vcc_lo
	v_div_scale_f32 v5, null, v11, v11, v3
	s_delay_alu instid0(VALU_DEP_1) | instskip(SKIP_2) | instid1(VALU_DEP_1)
	v_rcp_f32_e32 v14, v5
	s_waitcnt_depctr 0xfff
	v_fma_f32 v15, -v5, v14, 1.0
	v_fmac_f32_e32 v14, v15, v14
	v_div_scale_f32 v15, vcc_lo, v3, v11, v3
	s_delay_alu instid0(VALU_DEP_1) | instskip(NEXT) | instid1(VALU_DEP_1)
	v_mul_f32_e32 v16, v15, v14
	v_fma_f32 v17, -v5, v16, v15
	s_delay_alu instid0(VALU_DEP_1) | instskip(NEXT) | instid1(VALU_DEP_1)
	v_fmac_f32_e32 v16, v17, v14
	v_fma_f32 v5, -v5, v16, v15
	s_delay_alu instid0(VALU_DEP_1) | instskip(NEXT) | instid1(VALU_DEP_1)
	v_div_fmas_f32 v5, v5, v14, v16
	v_div_fixup_f32 v3, v5, v11, v3
	s_delay_alu instid0(VALU_DEP_1) | instskip(NEXT) | instid1(VALU_DEP_1)
	v_minmax_f32 v3, v3, s7, 0xc3e00000
	v_and_b32_e32 v5, 0x7fffffff, v3
	s_delay_alu instid0(VALU_DEP_1)
	v_cmpx_gt_u32_e32 0x43f00000, v5
	s_cbranch_execz .LBB72_87
; %bb.82:                               ;   in Loop: Header=BB72_63 Depth=1
	s_mov_b32 s12, exec_lo
                                        ; implicit-def: $vgpr2
	v_cmpx_lt_u32_e32 0x3c7fffff, v5
	s_xor_b32 s12, exec_lo, s12
; %bb.83:                               ;   in Loop: Header=BB72_63 Depth=1
	v_bfe_u32 v2, v3, 20, 1
	s_delay_alu instid0(VALU_DEP_1) | instskip(NEXT) | instid1(VALU_DEP_1)
	v_add3_u32 v2, v3, v2, 0x407ffff
	v_lshrrev_b32_e32 v2, 20, v2
; %bb.84:                               ;   in Loop: Header=BB72_63 Depth=1
	s_and_not1_saveexec_b32 s12, s12
; %bb.85:                               ;   in Loop: Header=BB72_63 Depth=1
	v_add_f32_e64 v2, 0x46800000, |v3|
; %bb.86:                               ;   in Loop: Header=BB72_63 Depth=1
	s_or_b32 exec_lo, exec_lo, s12
.LBB72_87:                              ;   in Loop: Header=BB72_63 Depth=1
	s_delay_alu instid0(SALU_CYCLE_1)
	s_or_b32 exec_lo, exec_lo, s9
	v_lshrrev_b32_e32 v5, 24, v13
	v_lshrrev_b32_e32 v11, 24, v12
	;; [unrolled: 1-line block ×3, first 2 shown]
	v_lshlrev_b32_e32 v2, 24, v2
	v_and_b32_e32 v7, 0xff, v7
	v_and_b32_e32 v5, 0x80, v5
	;; [unrolled: 1-line block ×3, first 2 shown]
	s_mov_b32 s12, -1
	s_mov_b32 s9, exec_lo
	v_and_or_b32 v7, 0x80, v8, v7
	v_and_or_b32 v4, 0xff, v4, v5
	v_and_b32_e32 v5, 0x80000000, v3
	v_and_or_b32 v6, 0xff, v6, v11
	s_delay_alu instid0(VALU_DEP_3) | instskip(SKIP_1) | instid1(VALU_DEP_3)
	v_lshlrev_b32_e32 v11, 16, v4
	v_lshlrev_b64 v[3:4], 2, v[0:1]
	v_lshlrev_b32_e32 v6, 8, v6
	s_delay_alu instid0(VALU_DEP_3) | instskip(SKIP_1) | instid1(VALU_DEP_4)
	v_or3_b32 v5, v5, v2, v11
	v_add_nc_u32_e32 v2, s28, v0
	v_add_co_u32 v3, vcc_lo, s0, v3
	v_add_co_ci_u32_e32 v4, vcc_lo, s1, v4, vcc_lo
	s_delay_alu instid0(VALU_DEP_4)
	v_or3_b32 v5, v5, v6, v7
	global_store_b32 v[3:4], v5, off
	v_cmpx_gt_u32_e64 s14, v2
	s_cbranch_execz .LBB72_62
; %bb.88:                               ;   in Loop: Header=BB72_63 Depth=1
	v_bfe_u32 v14, v2, 5, 25
	s_mov_b32 s12, exec_lo
	s_delay_alu instid0(VALU_DEP_1) | instskip(NEXT) | instid1(VALU_DEP_1)
	v_mad_u64_u32 v[11:12], null, v9, v14, 0
	v_dual_mov_b32 v3, v1 :: v_dual_mov_b32 v8, v12
	s_delay_alu instid0(VALU_DEP_1) | instskip(NEXT) | instid1(VALU_DEP_2)
	v_lshlrev_b64 v[6:7], 3, v[2:3]
	v_mad_u64_u32 v[12:13], null, v10, v14, v[8:9]
	s_delay_alu instid0(VALU_DEP_2) | instskip(NEXT) | instid1(VALU_DEP_3)
	v_add_co_u32 v4, vcc_lo, s26, v6
	v_add_co_ci_u32_e32 v5, vcc_lo, s27, v7, vcc_lo
	v_add_co_u32 v6, vcc_lo, s10, v6
	v_add_co_ci_u32_e32 v7, vcc_lo, s11, v7, vcc_lo
	global_load_b64 v[4:5], v[4:5], off
	v_lshlrev_b64 v[11:12], 2, v[11:12]
	global_load_b64 v[6:7], v[6:7], off
	v_add_co_u32 v11, vcc_lo, s4, v11
	v_add_co_ci_u32_e32 v12, vcc_lo, s5, v12, vcc_lo
	global_load_b32 v13, v[11:12], off
	s_waitcnt vmcnt(2)
	v_lshlrev_b32_e32 v8, 16, v4
	s_waitcnt vmcnt(1)
	v_lshlrev_b32_e32 v12, 16, v6
	s_delay_alu instid0(VALU_DEP_2) | instskip(NEXT) | instid1(VALU_DEP_1)
	v_mul_f32_e32 v8, v28, v8
	v_bfe_u32 v11, v8, 16, 1
	s_delay_alu instid0(VALU_DEP_1) | instskip(NEXT) | instid1(VALU_DEP_1)
	v_add3_u32 v11, v8, v11, 0x7fff
	v_and_b32_e32 v11, 0xffff0000, v11
	v_cmp_o_f32_e32 vcc_lo, v8, v8
	s_delay_alu instid0(VALU_DEP_2) | instskip(NEXT) | instid1(VALU_DEP_1)
	v_cndmask_b32_e32 v8, 0x7fc00000, v11, vcc_lo
	v_mul_f32_e32 v8, v8, v12
	s_delay_alu instid0(VALU_DEP_1) | instskip(NEXT) | instid1(VALU_DEP_1)
	v_bfe_u32 v11, v8, 16, 1
	v_add3_u32 v11, v8, v11, 0x7fff
	s_delay_alu instid0(VALU_DEP_1) | instskip(SKIP_1) | instid1(VALU_DEP_2)
	v_and_b32_e32 v11, 0xffff0000, v11
	v_cmp_o_f32_e32 vcc_lo, v8, v8
	v_cndmask_b32_e32 v8, 0x7fc00000, v11, vcc_lo
	s_waitcnt vmcnt(0)
	s_delay_alu instid0(VALU_DEP_1) | instskip(SKIP_1) | instid1(VALU_DEP_2)
	v_div_scale_f32 v11, null, v13, v13, v8
	v_div_scale_f32 v15, vcc_lo, v8, v13, v8
	v_rcp_f32_e32 v12, v11
	s_waitcnt_depctr 0xfff
	v_fma_f32 v14, -v11, v12, 1.0
	s_delay_alu instid0(VALU_DEP_1) | instskip(NEXT) | instid1(VALU_DEP_1)
	v_fmac_f32_e32 v12, v14, v12
	v_mul_f32_e32 v14, v15, v12
	s_delay_alu instid0(VALU_DEP_1) | instskip(NEXT) | instid1(VALU_DEP_1)
	v_fma_f32 v16, -v11, v14, v15
	v_fmac_f32_e32 v14, v16, v12
	s_delay_alu instid0(VALU_DEP_1) | instskip(NEXT) | instid1(VALU_DEP_1)
	v_fma_f32 v11, -v11, v14, v15
	v_div_fmas_f32 v11, v11, v12, v14
	s_delay_alu instid0(VALU_DEP_1) | instskip(SKIP_1) | instid1(VALU_DEP_2)
	v_div_fixup_f32 v8, v11, v13, v8
	v_mov_b32_e32 v11, 0x7f
	v_minmax_f32 v12, v8, s7, 0xc3e00000
	v_mov_b32_e32 v8, 0x7f
	s_delay_alu instid0(VALU_DEP_2) | instskip(NEXT) | instid1(VALU_DEP_1)
	v_and_b32_e32 v14, 0x7fffffff, v12
	v_cmpx_gt_u32_e32 0x43f00000, v14
	s_cbranch_execz .LBB72_94
; %bb.89:                               ;   in Loop: Header=BB72_63 Depth=1
	s_mov_b32 s13, exec_lo
                                        ; implicit-def: $vgpr11
	v_cmpx_lt_u32_e32 0x3c7fffff, v14
	s_xor_b32 s13, exec_lo, s13
; %bb.90:                               ;   in Loop: Header=BB72_63 Depth=1
	v_bfe_u32 v11, v12, 20, 1
	s_delay_alu instid0(VALU_DEP_1) | instskip(NEXT) | instid1(VALU_DEP_1)
	v_add3_u32 v11, v12, v11, 0x407ffff
	v_lshrrev_b32_e32 v11, 20, v11
; %bb.91:                               ;   in Loop: Header=BB72_63 Depth=1
	s_and_not1_saveexec_b32 s13, s13
; %bb.92:                               ;   in Loop: Header=BB72_63 Depth=1
	v_add_f32_e64 v11, 0x46800000, |v12|
; %bb.93:                               ;   in Loop: Header=BB72_63 Depth=1
	s_or_b32 exec_lo, exec_lo, s13
.LBB72_94:                              ;   in Loop: Header=BB72_63 Depth=1
	s_delay_alu instid0(SALU_CYCLE_1) | instskip(SKIP_3) | instid1(VALU_DEP_2)
	s_or_b32 exec_lo, exec_lo, s12
	v_and_b32_e32 v14, 0xffff0000, v4
	v_and_b32_e32 v16, 0xffff0000, v6
	s_mov_b32 s12, exec_lo
	v_mul_f32_e32 v14, v28, v14
	s_delay_alu instid0(VALU_DEP_1) | instskip(NEXT) | instid1(VALU_DEP_1)
	v_bfe_u32 v15, v14, 16, 1
	v_add3_u32 v15, v14, v15, 0x7fff
	s_delay_alu instid0(VALU_DEP_1) | instskip(SKIP_1) | instid1(VALU_DEP_2)
	v_and_b32_e32 v15, 0xffff0000, v15
	v_cmp_o_f32_e32 vcc_lo, v14, v14
	v_cndmask_b32_e32 v14, 0x7fc00000, v15, vcc_lo
	s_delay_alu instid0(VALU_DEP_1) | instskip(NEXT) | instid1(VALU_DEP_1)
	v_mul_f32_e32 v14, v14, v16
	v_bfe_u32 v15, v14, 16, 1
	s_delay_alu instid0(VALU_DEP_1) | instskip(NEXT) | instid1(VALU_DEP_1)
	v_add3_u32 v15, v14, v15, 0x7fff
	v_and_b32_e32 v15, 0xffff0000, v15
	v_cmp_o_f32_e32 vcc_lo, v14, v14
	s_delay_alu instid0(VALU_DEP_2) | instskip(NEXT) | instid1(VALU_DEP_1)
	v_cndmask_b32_e32 v14, 0x7fc00000, v15, vcc_lo
	v_div_scale_f32 v15, null, v13, v13, v14
	s_delay_alu instid0(VALU_DEP_1) | instskip(SKIP_2) | instid1(VALU_DEP_1)
	v_rcp_f32_e32 v16, v15
	s_waitcnt_depctr 0xfff
	v_fma_f32 v17, -v15, v16, 1.0
	v_fmac_f32_e32 v16, v17, v16
	v_div_scale_f32 v17, vcc_lo, v14, v13, v14
	s_delay_alu instid0(VALU_DEP_1) | instskip(NEXT) | instid1(VALU_DEP_1)
	v_mul_f32_e32 v18, v17, v16
	v_fma_f32 v19, -v15, v18, v17
	s_delay_alu instid0(VALU_DEP_1) | instskip(NEXT) | instid1(VALU_DEP_1)
	v_fmac_f32_e32 v18, v19, v16
	v_fma_f32 v15, -v15, v18, v17
	s_delay_alu instid0(VALU_DEP_1) | instskip(NEXT) | instid1(VALU_DEP_1)
	v_div_fmas_f32 v15, v15, v16, v18
	v_div_fixup_f32 v14, v15, v13, v14
	s_delay_alu instid0(VALU_DEP_1) | instskip(NEXT) | instid1(VALU_DEP_1)
	v_minmax_f32 v14, v14, s7, 0xc3e00000
	v_and_b32_e32 v15, 0x7fffffff, v14
	s_delay_alu instid0(VALU_DEP_1)
	v_cmpx_gt_u32_e32 0x43f00000, v15
	s_cbranch_execz .LBB72_100
; %bb.95:                               ;   in Loop: Header=BB72_63 Depth=1
	s_mov_b32 s13, exec_lo
                                        ; implicit-def: $vgpr8
	v_cmpx_lt_u32_e32 0x3c7fffff, v15
	s_xor_b32 s13, exec_lo, s13
; %bb.96:                               ;   in Loop: Header=BB72_63 Depth=1
	v_bfe_u32 v8, v14, 20, 1
	s_delay_alu instid0(VALU_DEP_1) | instskip(NEXT) | instid1(VALU_DEP_1)
	v_add3_u32 v8, v14, v8, 0x407ffff
	v_lshrrev_b32_e32 v8, 20, v8
; %bb.97:                               ;   in Loop: Header=BB72_63 Depth=1
	s_and_not1_saveexec_b32 s13, s13
; %bb.98:                               ;   in Loop: Header=BB72_63 Depth=1
	v_add_f32_e64 v8, 0x46800000, |v14|
; %bb.99:                               ;   in Loop: Header=BB72_63 Depth=1
	s_or_b32 exec_lo, exec_lo, s13
.LBB72_100:                             ;   in Loop: Header=BB72_63 Depth=1
	s_delay_alu instid0(SALU_CYCLE_1) | instskip(SKIP_3) | instid1(VALU_DEP_2)
	s_or_b32 exec_lo, exec_lo, s12
	v_alignbit_b32 v4, v5, v4, 16
	v_alignbit_b32 v6, v7, v6, 16
	s_mov_b32 s12, exec_lo
	v_and_b32_e32 v4, 0xffff0000, v4
	s_delay_alu instid0(VALU_DEP_2) | instskip(NEXT) | instid1(VALU_DEP_2)
	v_and_b32_e32 v6, 0xffff0000, v6
	v_mul_f32_e32 v4, v28, v4
	s_delay_alu instid0(VALU_DEP_1) | instskip(NEXT) | instid1(VALU_DEP_1)
	v_bfe_u32 v15, v4, 16, 1
	v_add3_u32 v15, v4, v15, 0x7fff
	s_delay_alu instid0(VALU_DEP_1) | instskip(SKIP_1) | instid1(VALU_DEP_2)
	v_and_b32_e32 v15, 0xffff0000, v15
	v_cmp_o_f32_e32 vcc_lo, v4, v4
	v_cndmask_b32_e32 v4, 0x7fc00000, v15, vcc_lo
	s_delay_alu instid0(VALU_DEP_1) | instskip(NEXT) | instid1(VALU_DEP_1)
	v_mul_f32_e32 v4, v4, v6
	v_bfe_u32 v6, v4, 16, 1
	v_cmp_o_f32_e32 vcc_lo, v4, v4
	s_delay_alu instid0(VALU_DEP_2) | instskip(NEXT) | instid1(VALU_DEP_1)
	v_add3_u32 v6, v4, v6, 0x7fff
	v_and_b32_e32 v6, 0xffff0000, v6
	s_delay_alu instid0(VALU_DEP_1) | instskip(NEXT) | instid1(VALU_DEP_1)
	v_cndmask_b32_e32 v4, 0x7fc00000, v6, vcc_lo
	v_div_scale_f32 v6, null, v13, v13, v4
	v_div_scale_f32 v17, vcc_lo, v4, v13, v4
	s_delay_alu instid0(VALU_DEP_2) | instskip(SKIP_2) | instid1(VALU_DEP_1)
	v_rcp_f32_e32 v15, v6
	s_waitcnt_depctr 0xfff
	v_fma_f32 v16, -v6, v15, 1.0
	v_fmac_f32_e32 v15, v16, v15
	s_delay_alu instid0(VALU_DEP_1) | instskip(NEXT) | instid1(VALU_DEP_1)
	v_mul_f32_e32 v16, v17, v15
	v_fma_f32 v18, -v6, v16, v17
	s_delay_alu instid0(VALU_DEP_1) | instskip(NEXT) | instid1(VALU_DEP_1)
	v_fmac_f32_e32 v16, v18, v15
	v_fma_f32 v6, -v6, v16, v17
	s_delay_alu instid0(VALU_DEP_1) | instskip(NEXT) | instid1(VALU_DEP_1)
	v_div_fmas_f32 v6, v6, v15, v16
	v_div_fixup_f32 v4, v6, v13, v4
	v_mov_b32_e32 v6, 0x7f
	s_delay_alu instid0(VALU_DEP_2) | instskip(SKIP_1) | instid1(VALU_DEP_2)
	v_minmax_f32 v15, v4, s7, 0xc3e00000
	v_mov_b32_e32 v4, 0x7f
	v_and_b32_e32 v16, 0x7fffffff, v15
	s_delay_alu instid0(VALU_DEP_1)
	v_cmpx_gt_u32_e32 0x43f00000, v16
	s_cbranch_execz .LBB72_106
; %bb.101:                              ;   in Loop: Header=BB72_63 Depth=1
	s_mov_b32 s13, exec_lo
                                        ; implicit-def: $vgpr6
	v_cmpx_lt_u32_e32 0x3c7fffff, v16
	s_xor_b32 s13, exec_lo, s13
; %bb.102:                              ;   in Loop: Header=BB72_63 Depth=1
	v_bfe_u32 v6, v15, 20, 1
	s_delay_alu instid0(VALU_DEP_1) | instskip(NEXT) | instid1(VALU_DEP_1)
	v_add3_u32 v6, v15, v6, 0x407ffff
	v_lshrrev_b32_e32 v6, 20, v6
; %bb.103:                              ;   in Loop: Header=BB72_63 Depth=1
	s_and_not1_saveexec_b32 s13, s13
; %bb.104:                              ;   in Loop: Header=BB72_63 Depth=1
	v_add_f32_e64 v6, 0x46800000, |v15|
; %bb.105:                              ;   in Loop: Header=BB72_63 Depth=1
	s_or_b32 exec_lo, exec_lo, s13
.LBB72_106:                             ;   in Loop: Header=BB72_63 Depth=1
	s_delay_alu instid0(SALU_CYCLE_1) | instskip(SKIP_3) | instid1(VALU_DEP_2)
	s_or_b32 exec_lo, exec_lo, s12
	v_and_b32_e32 v5, 0xffff0000, v5
	v_and_b32_e32 v7, 0xffff0000, v7
	s_mov_b32 s12, exec_lo
	v_mul_f32_e32 v5, v28, v5
	s_delay_alu instid0(VALU_DEP_1) | instskip(NEXT) | instid1(VALU_DEP_1)
	v_bfe_u32 v16, v5, 16, 1
	v_add3_u32 v16, v5, v16, 0x7fff
	s_delay_alu instid0(VALU_DEP_1) | instskip(SKIP_1) | instid1(VALU_DEP_2)
	v_and_b32_e32 v16, 0xffff0000, v16
	v_cmp_o_f32_e32 vcc_lo, v5, v5
	v_cndmask_b32_e32 v5, 0x7fc00000, v16, vcc_lo
	s_delay_alu instid0(VALU_DEP_1) | instskip(NEXT) | instid1(VALU_DEP_1)
	v_mul_f32_e32 v5, v5, v7
	v_bfe_u32 v7, v5, 16, 1
	v_cmp_o_f32_e32 vcc_lo, v5, v5
	s_delay_alu instid0(VALU_DEP_2) | instskip(NEXT) | instid1(VALU_DEP_1)
	v_add3_u32 v7, v5, v7, 0x7fff
	v_and_b32_e32 v7, 0xffff0000, v7
	s_delay_alu instid0(VALU_DEP_1) | instskip(NEXT) | instid1(VALU_DEP_1)
	v_cndmask_b32_e32 v5, 0x7fc00000, v7, vcc_lo
	v_div_scale_f32 v7, null, v13, v13, v5
	s_delay_alu instid0(VALU_DEP_1) | instskip(SKIP_2) | instid1(VALU_DEP_1)
	v_rcp_f32_e32 v16, v7
	s_waitcnt_depctr 0xfff
	v_fma_f32 v17, -v7, v16, 1.0
	v_fmac_f32_e32 v16, v17, v16
	v_div_scale_f32 v17, vcc_lo, v5, v13, v5
	s_delay_alu instid0(VALU_DEP_1) | instskip(NEXT) | instid1(VALU_DEP_1)
	v_mul_f32_e32 v18, v17, v16
	v_fma_f32 v19, -v7, v18, v17
	s_delay_alu instid0(VALU_DEP_1) | instskip(NEXT) | instid1(VALU_DEP_1)
	v_fmac_f32_e32 v18, v19, v16
	v_fma_f32 v7, -v7, v18, v17
	s_delay_alu instid0(VALU_DEP_1) | instskip(NEXT) | instid1(VALU_DEP_1)
	v_div_fmas_f32 v7, v7, v16, v18
	v_div_fixup_f32 v5, v7, v13, v5
	s_delay_alu instid0(VALU_DEP_1) | instskip(NEXT) | instid1(VALU_DEP_1)
	v_minmax_f32 v5, v5, s7, 0xc3e00000
	v_and_b32_e32 v7, 0x7fffffff, v5
	s_delay_alu instid0(VALU_DEP_1)
	v_cmpx_gt_u32_e32 0x43f00000, v7
	s_cbranch_execz .LBB72_112
; %bb.107:                              ;   in Loop: Header=BB72_63 Depth=1
	s_mov_b32 s13, exec_lo
                                        ; implicit-def: $vgpr4
	v_cmpx_lt_u32_e32 0x3c7fffff, v7
	s_xor_b32 s13, exec_lo, s13
; %bb.108:                              ;   in Loop: Header=BB72_63 Depth=1
	v_bfe_u32 v4, v5, 20, 1
	s_delay_alu instid0(VALU_DEP_1) | instskip(NEXT) | instid1(VALU_DEP_1)
	v_add3_u32 v4, v5, v4, 0x407ffff
	v_lshrrev_b32_e32 v4, 20, v4
; %bb.109:                              ;   in Loop: Header=BB72_63 Depth=1
	s_and_not1_saveexec_b32 s13, s13
; %bb.110:                              ;   in Loop: Header=BB72_63 Depth=1
	v_add_f32_e64 v4, 0x46800000, |v5|
; %bb.111:                              ;   in Loop: Header=BB72_63 Depth=1
	s_or_b32 exec_lo, exec_lo, s13
.LBB72_112:                             ;   in Loop: Header=BB72_63 Depth=1
	s_delay_alu instid0(SALU_CYCLE_1)
	s_or_b32 exec_lo, exec_lo, s12
	v_lshrrev_b32_e32 v7, 24, v15
	v_lshrrev_b32_e32 v13, 24, v14
	;; [unrolled: 1-line block ×3, first 2 shown]
	v_and_b32_e32 v14, 0x80000000, v5
	v_and_b32_e32 v11, 0xff, v11
	;; [unrolled: 1-line block ×4, first 2 shown]
	s_mov_b32 s13, -1
	s_mov_b32 s12, exec_lo
	v_and_or_b32 v11, 0x80, v12, v11
	v_and_or_b32 v6, 0xff, v6, v7
	v_lshlrev_b32_e32 v7, 24, v4
	v_and_or_b32 v8, 0xff, v8, v13
	v_lshlrev_b64 v[4:5], 2, v[2:3]
	v_add_nc_u32_e32 v3, s3, v0
	v_lshlrev_b32_e32 v6, 16, v6
	s_delay_alu instid0(VALU_DEP_4) | instskip(NEXT) | instid1(VALU_DEP_4)
	v_lshlrev_b32_e32 v8, 8, v8
	v_add_co_u32 v4, vcc_lo, s0, v4
	s_delay_alu instid0(VALU_DEP_3) | instskip(SKIP_1) | instid1(VALU_DEP_2)
	v_or3_b32 v6, v14, v7, v6
	v_add_co_ci_u32_e32 v5, vcc_lo, s1, v5, vcc_lo
	v_or3_b32 v6, v6, v8, v11
	global_store_b32 v[4:5], v6, off
	v_cmpx_gt_u32_e64 s14, v3
	s_cbranch_execz .LBB72_61
; %bb.113:                              ;   in Loop: Header=BB72_63 Depth=1
	v_mov_b32_e32 v4, v1
	v_bfe_u32 v15, v3, 5, 25
	s_mov_b32 s13, exec_lo
	s_delay_alu instid0(VALU_DEP_2) | instskip(NEXT) | instid1(VALU_DEP_2)
	v_lshlrev_b64 v[7:8], 3, v[3:4]
	v_mad_u64_u32 v[11:12], null, v9, v15, 0
	s_delay_alu instid0(VALU_DEP_2) | instskip(NEXT) | instid1(VALU_DEP_3)
	v_add_co_u32 v5, vcc_lo, s26, v7
	v_add_co_ci_u32_e32 v6, vcc_lo, s27, v8, vcc_lo
	v_add_co_u32 v7, vcc_lo, s10, v7
	v_add_co_ci_u32_e32 v8, vcc_lo, s11, v8, vcc_lo
	global_load_b64 v[5:6], v[5:6], off
	v_mad_u64_u32 v[13:14], null, v10, v15, v[12:13]
	global_load_b64 v[7:8], v[7:8], off
	v_mov_b32_e32 v12, v13
	s_delay_alu instid0(VALU_DEP_1) | instskip(NEXT) | instid1(VALU_DEP_1)
	v_lshlrev_b64 v[11:12], 2, v[11:12]
	v_add_co_u32 v11, vcc_lo, s4, v11
	s_delay_alu instid0(VALU_DEP_2)
	v_add_co_ci_u32_e32 v12, vcc_lo, s5, v12, vcc_lo
	global_load_b32 v14, v[11:12], off
	s_waitcnt vmcnt(2)
	v_lshlrev_b32_e32 v11, 16, v5
	s_waitcnt vmcnt(1)
	v_lshlrev_b32_e32 v13, 16, v7
	s_delay_alu instid0(VALU_DEP_2) | instskip(NEXT) | instid1(VALU_DEP_1)
	v_mul_f32_e32 v11, v28, v11
	v_bfe_u32 v12, v11, 16, 1
	v_cmp_o_f32_e32 vcc_lo, v11, v11
	s_delay_alu instid0(VALU_DEP_2) | instskip(NEXT) | instid1(VALU_DEP_1)
	v_add3_u32 v12, v11, v12, 0x7fff
	v_and_b32_e32 v12, 0xffff0000, v12
	s_delay_alu instid0(VALU_DEP_1) | instskip(NEXT) | instid1(VALU_DEP_1)
	v_cndmask_b32_e32 v11, 0x7fc00000, v12, vcc_lo
	v_mul_f32_e32 v11, v11, v13
	s_delay_alu instid0(VALU_DEP_1) | instskip(SKIP_1) | instid1(VALU_DEP_2)
	v_bfe_u32 v12, v11, 16, 1
	v_cmp_o_f32_e32 vcc_lo, v11, v11
	v_add3_u32 v12, v11, v12, 0x7fff
	s_delay_alu instid0(VALU_DEP_1) | instskip(NEXT) | instid1(VALU_DEP_1)
	v_and_b32_e32 v12, 0xffff0000, v12
	v_cndmask_b32_e32 v11, 0x7fc00000, v12, vcc_lo
	s_waitcnt vmcnt(0)
	s_delay_alu instid0(VALU_DEP_1) | instskip(SKIP_1) | instid1(VALU_DEP_2)
	v_div_scale_f32 v12, null, v14, v14, v11
	v_div_scale_f32 v16, vcc_lo, v11, v14, v11
	v_rcp_f32_e32 v13, v12
	s_waitcnt_depctr 0xfff
	v_fma_f32 v15, -v12, v13, 1.0
	s_delay_alu instid0(VALU_DEP_1) | instskip(NEXT) | instid1(VALU_DEP_1)
	v_fmac_f32_e32 v13, v15, v13
	v_mul_f32_e32 v15, v16, v13
	s_delay_alu instid0(VALU_DEP_1) | instskip(NEXT) | instid1(VALU_DEP_1)
	v_fma_f32 v17, -v12, v15, v16
	v_fmac_f32_e32 v15, v17, v13
	s_delay_alu instid0(VALU_DEP_1) | instskip(NEXT) | instid1(VALU_DEP_1)
	v_fma_f32 v12, -v12, v15, v16
	v_div_fmas_f32 v12, v12, v13, v15
	s_delay_alu instid0(VALU_DEP_1) | instskip(SKIP_1) | instid1(VALU_DEP_2)
	v_div_fixup_f32 v11, v12, v14, v11
	v_mov_b32_e32 v12, 0x7f
	v_minmax_f32 v13, v11, s7, 0xc3e00000
	v_mov_b32_e32 v11, 0x7f
	s_delay_alu instid0(VALU_DEP_2) | instskip(NEXT) | instid1(VALU_DEP_1)
	v_and_b32_e32 v15, 0x7fffffff, v13
	v_cmpx_gt_u32_e32 0x43f00000, v15
	s_cbranch_execz .LBB72_119
; %bb.114:                              ;   in Loop: Header=BB72_63 Depth=1
	s_mov_b32 s15, exec_lo
                                        ; implicit-def: $vgpr12
	v_cmpx_lt_u32_e32 0x3c7fffff, v15
	s_xor_b32 s15, exec_lo, s15
; %bb.115:                              ;   in Loop: Header=BB72_63 Depth=1
	v_bfe_u32 v12, v13, 20, 1
	s_delay_alu instid0(VALU_DEP_1) | instskip(NEXT) | instid1(VALU_DEP_1)
	v_add3_u32 v12, v13, v12, 0x407ffff
	v_lshrrev_b32_e32 v12, 20, v12
; %bb.116:                              ;   in Loop: Header=BB72_63 Depth=1
	s_and_not1_saveexec_b32 s15, s15
; %bb.117:                              ;   in Loop: Header=BB72_63 Depth=1
	v_add_f32_e64 v12, 0x46800000, |v13|
; %bb.118:                              ;   in Loop: Header=BB72_63 Depth=1
	s_or_b32 exec_lo, exec_lo, s15
.LBB72_119:                             ;   in Loop: Header=BB72_63 Depth=1
	s_delay_alu instid0(SALU_CYCLE_1) | instskip(SKIP_3) | instid1(VALU_DEP_2)
	s_or_b32 exec_lo, exec_lo, s13
	v_and_b32_e32 v15, 0xffff0000, v5
	v_and_b32_e32 v17, 0xffff0000, v7
	s_mov_b32 s13, exec_lo
	v_mul_f32_e32 v15, v28, v15
	s_delay_alu instid0(VALU_DEP_1) | instskip(NEXT) | instid1(VALU_DEP_1)
	v_bfe_u32 v16, v15, 16, 1
	v_add3_u32 v16, v15, v16, 0x7fff
	s_delay_alu instid0(VALU_DEP_1) | instskip(SKIP_1) | instid1(VALU_DEP_2)
	v_and_b32_e32 v16, 0xffff0000, v16
	v_cmp_o_f32_e32 vcc_lo, v15, v15
	v_cndmask_b32_e32 v15, 0x7fc00000, v16, vcc_lo
	s_delay_alu instid0(VALU_DEP_1) | instskip(NEXT) | instid1(VALU_DEP_1)
	v_mul_f32_e32 v15, v15, v17
	v_bfe_u32 v16, v15, 16, 1
	s_delay_alu instid0(VALU_DEP_1) | instskip(NEXT) | instid1(VALU_DEP_1)
	v_add3_u32 v16, v15, v16, 0x7fff
	v_and_b32_e32 v16, 0xffff0000, v16
	v_cmp_o_f32_e32 vcc_lo, v15, v15
	s_delay_alu instid0(VALU_DEP_2) | instskip(NEXT) | instid1(VALU_DEP_1)
	v_cndmask_b32_e32 v15, 0x7fc00000, v16, vcc_lo
	v_div_scale_f32 v16, null, v14, v14, v15
	s_delay_alu instid0(VALU_DEP_1) | instskip(SKIP_2) | instid1(VALU_DEP_1)
	v_rcp_f32_e32 v17, v16
	s_waitcnt_depctr 0xfff
	v_fma_f32 v18, -v16, v17, 1.0
	v_fmac_f32_e32 v17, v18, v17
	v_div_scale_f32 v18, vcc_lo, v15, v14, v15
	s_delay_alu instid0(VALU_DEP_1) | instskip(NEXT) | instid1(VALU_DEP_1)
	v_mul_f32_e32 v19, v18, v17
	v_fma_f32 v20, -v16, v19, v18
	s_delay_alu instid0(VALU_DEP_1) | instskip(NEXT) | instid1(VALU_DEP_1)
	v_fmac_f32_e32 v19, v20, v17
	v_fma_f32 v16, -v16, v19, v18
	s_delay_alu instid0(VALU_DEP_1) | instskip(NEXT) | instid1(VALU_DEP_1)
	v_div_fmas_f32 v16, v16, v17, v19
	v_div_fixup_f32 v15, v16, v14, v15
	s_delay_alu instid0(VALU_DEP_1) | instskip(NEXT) | instid1(VALU_DEP_1)
	v_minmax_f32 v15, v15, s7, 0xc3e00000
	v_and_b32_e32 v16, 0x7fffffff, v15
	s_delay_alu instid0(VALU_DEP_1)
	v_cmpx_gt_u32_e32 0x43f00000, v16
	s_cbranch_execz .LBB72_125
; %bb.120:                              ;   in Loop: Header=BB72_63 Depth=1
	s_mov_b32 s15, exec_lo
                                        ; implicit-def: $vgpr11
	v_cmpx_lt_u32_e32 0x3c7fffff, v16
	s_xor_b32 s15, exec_lo, s15
; %bb.121:                              ;   in Loop: Header=BB72_63 Depth=1
	v_bfe_u32 v11, v15, 20, 1
	s_delay_alu instid0(VALU_DEP_1) | instskip(NEXT) | instid1(VALU_DEP_1)
	v_add3_u32 v11, v15, v11, 0x407ffff
	v_lshrrev_b32_e32 v11, 20, v11
; %bb.122:                              ;   in Loop: Header=BB72_63 Depth=1
	s_and_not1_saveexec_b32 s15, s15
; %bb.123:                              ;   in Loop: Header=BB72_63 Depth=1
	v_add_f32_e64 v11, 0x46800000, |v15|
; %bb.124:                              ;   in Loop: Header=BB72_63 Depth=1
	s_or_b32 exec_lo, exec_lo, s15
.LBB72_125:                             ;   in Loop: Header=BB72_63 Depth=1
	s_delay_alu instid0(SALU_CYCLE_1) | instskip(SKIP_3) | instid1(VALU_DEP_2)
	s_or_b32 exec_lo, exec_lo, s13
	v_alignbit_b32 v5, v6, v5, 16
	v_alignbit_b32 v7, v8, v7, 16
	s_mov_b32 s13, exec_lo
	v_and_b32_e32 v5, 0xffff0000, v5
	s_delay_alu instid0(VALU_DEP_2) | instskip(NEXT) | instid1(VALU_DEP_2)
	v_and_b32_e32 v7, 0xffff0000, v7
	v_mul_f32_e32 v5, v28, v5
	s_delay_alu instid0(VALU_DEP_1) | instskip(NEXT) | instid1(VALU_DEP_1)
	v_bfe_u32 v16, v5, 16, 1
	v_add3_u32 v16, v5, v16, 0x7fff
	s_delay_alu instid0(VALU_DEP_1) | instskip(SKIP_1) | instid1(VALU_DEP_2)
	v_and_b32_e32 v16, 0xffff0000, v16
	v_cmp_o_f32_e32 vcc_lo, v5, v5
	v_cndmask_b32_e32 v5, 0x7fc00000, v16, vcc_lo
	s_delay_alu instid0(VALU_DEP_1) | instskip(NEXT) | instid1(VALU_DEP_1)
	v_mul_f32_e32 v5, v5, v7
	v_bfe_u32 v7, v5, 16, 1
	v_cmp_o_f32_e32 vcc_lo, v5, v5
	s_delay_alu instid0(VALU_DEP_2) | instskip(NEXT) | instid1(VALU_DEP_1)
	v_add3_u32 v7, v5, v7, 0x7fff
	v_and_b32_e32 v7, 0xffff0000, v7
	s_delay_alu instid0(VALU_DEP_1) | instskip(NEXT) | instid1(VALU_DEP_1)
	v_cndmask_b32_e32 v5, 0x7fc00000, v7, vcc_lo
	v_div_scale_f32 v7, null, v14, v14, v5
	v_div_scale_f32 v18, vcc_lo, v5, v14, v5
	s_delay_alu instid0(VALU_DEP_2) | instskip(SKIP_2) | instid1(VALU_DEP_1)
	v_rcp_f32_e32 v16, v7
	s_waitcnt_depctr 0xfff
	v_fma_f32 v17, -v7, v16, 1.0
	v_fmac_f32_e32 v16, v17, v16
	s_delay_alu instid0(VALU_DEP_1) | instskip(NEXT) | instid1(VALU_DEP_1)
	v_mul_f32_e32 v17, v18, v16
	v_fma_f32 v19, -v7, v17, v18
	s_delay_alu instid0(VALU_DEP_1) | instskip(NEXT) | instid1(VALU_DEP_1)
	v_fmac_f32_e32 v17, v19, v16
	v_fma_f32 v7, -v7, v17, v18
	s_delay_alu instid0(VALU_DEP_1) | instskip(NEXT) | instid1(VALU_DEP_1)
	v_div_fmas_f32 v7, v7, v16, v17
	v_div_fixup_f32 v5, v7, v14, v5
	v_mov_b32_e32 v7, 0x7f
	s_delay_alu instid0(VALU_DEP_2) | instskip(SKIP_1) | instid1(VALU_DEP_2)
	v_minmax_f32 v16, v5, s7, 0xc3e00000
	v_mov_b32_e32 v5, 0x7f
	v_and_b32_e32 v17, 0x7fffffff, v16
	s_delay_alu instid0(VALU_DEP_1)
	v_cmpx_gt_u32_e32 0x43f00000, v17
	s_cbranch_execz .LBB72_131
; %bb.126:                              ;   in Loop: Header=BB72_63 Depth=1
	s_mov_b32 s15, exec_lo
                                        ; implicit-def: $vgpr7
	v_cmpx_lt_u32_e32 0x3c7fffff, v17
	s_xor_b32 s15, exec_lo, s15
; %bb.127:                              ;   in Loop: Header=BB72_63 Depth=1
	v_bfe_u32 v7, v16, 20, 1
	s_delay_alu instid0(VALU_DEP_1) | instskip(NEXT) | instid1(VALU_DEP_1)
	v_add3_u32 v7, v16, v7, 0x407ffff
	v_lshrrev_b32_e32 v7, 20, v7
; %bb.128:                              ;   in Loop: Header=BB72_63 Depth=1
	s_and_not1_saveexec_b32 s15, s15
; %bb.129:                              ;   in Loop: Header=BB72_63 Depth=1
	v_add_f32_e64 v7, 0x46800000, |v16|
; %bb.130:                              ;   in Loop: Header=BB72_63 Depth=1
	s_or_b32 exec_lo, exec_lo, s15
.LBB72_131:                             ;   in Loop: Header=BB72_63 Depth=1
	s_delay_alu instid0(SALU_CYCLE_1) | instskip(SKIP_3) | instid1(VALU_DEP_2)
	s_or_b32 exec_lo, exec_lo, s13
	v_and_b32_e32 v6, 0xffff0000, v6
	v_and_b32_e32 v8, 0xffff0000, v8
	s_mov_b32 s13, exec_lo
	v_mul_f32_e32 v6, v28, v6
	s_delay_alu instid0(VALU_DEP_1) | instskip(NEXT) | instid1(VALU_DEP_1)
	v_bfe_u32 v17, v6, 16, 1
	v_add3_u32 v17, v6, v17, 0x7fff
	s_delay_alu instid0(VALU_DEP_1) | instskip(SKIP_1) | instid1(VALU_DEP_2)
	v_and_b32_e32 v17, 0xffff0000, v17
	v_cmp_o_f32_e32 vcc_lo, v6, v6
	v_cndmask_b32_e32 v6, 0x7fc00000, v17, vcc_lo
	s_delay_alu instid0(VALU_DEP_1) | instskip(NEXT) | instid1(VALU_DEP_1)
	v_mul_f32_e32 v6, v6, v8
	v_bfe_u32 v8, v6, 16, 1
	v_cmp_o_f32_e32 vcc_lo, v6, v6
	s_delay_alu instid0(VALU_DEP_2) | instskip(NEXT) | instid1(VALU_DEP_1)
	v_add3_u32 v8, v6, v8, 0x7fff
	v_and_b32_e32 v8, 0xffff0000, v8
	s_delay_alu instid0(VALU_DEP_1) | instskip(NEXT) | instid1(VALU_DEP_1)
	v_cndmask_b32_e32 v6, 0x7fc00000, v8, vcc_lo
	v_div_scale_f32 v8, null, v14, v14, v6
	s_delay_alu instid0(VALU_DEP_1) | instskip(SKIP_2) | instid1(VALU_DEP_1)
	v_rcp_f32_e32 v17, v8
	s_waitcnt_depctr 0xfff
	v_fma_f32 v18, -v8, v17, 1.0
	v_fmac_f32_e32 v17, v18, v17
	v_div_scale_f32 v18, vcc_lo, v6, v14, v6
	s_delay_alu instid0(VALU_DEP_1) | instskip(NEXT) | instid1(VALU_DEP_1)
	v_mul_f32_e32 v19, v18, v17
	v_fma_f32 v20, -v8, v19, v18
	s_delay_alu instid0(VALU_DEP_1) | instskip(NEXT) | instid1(VALU_DEP_1)
	v_fmac_f32_e32 v19, v20, v17
	v_fma_f32 v8, -v8, v19, v18
	s_delay_alu instid0(VALU_DEP_1) | instskip(NEXT) | instid1(VALU_DEP_1)
	v_div_fmas_f32 v8, v8, v17, v19
	v_div_fixup_f32 v6, v8, v14, v6
	s_delay_alu instid0(VALU_DEP_1) | instskip(NEXT) | instid1(VALU_DEP_1)
	v_minmax_f32 v6, v6, s7, 0xc3e00000
	v_and_b32_e32 v8, 0x7fffffff, v6
	s_delay_alu instid0(VALU_DEP_1)
	v_cmpx_gt_u32_e32 0x43f00000, v8
	s_cbranch_execz .LBB72_137
; %bb.132:                              ;   in Loop: Header=BB72_63 Depth=1
	s_mov_b32 s15, exec_lo
                                        ; implicit-def: $vgpr5
	v_cmpx_lt_u32_e32 0x3c7fffff, v8
	s_xor_b32 s15, exec_lo, s15
; %bb.133:                              ;   in Loop: Header=BB72_63 Depth=1
	v_bfe_u32 v5, v6, 20, 1
	s_delay_alu instid0(VALU_DEP_1) | instskip(NEXT) | instid1(VALU_DEP_1)
	v_add3_u32 v5, v6, v5, 0x407ffff
	v_lshrrev_b32_e32 v5, 20, v5
; %bb.134:                              ;   in Loop: Header=BB72_63 Depth=1
	s_and_not1_saveexec_b32 s15, s15
; %bb.135:                              ;   in Loop: Header=BB72_63 Depth=1
	v_add_f32_e64 v5, 0x46800000, |v6|
; %bb.136:                              ;   in Loop: Header=BB72_63 Depth=1
	s_or_b32 exec_lo, exec_lo, s15
.LBB72_137:                             ;   in Loop: Header=BB72_63 Depth=1
	s_delay_alu instid0(SALU_CYCLE_1)
	s_or_b32 exec_lo, exec_lo, s13
	v_lshrrev_b32_e32 v8, 24, v16
	v_lshrrev_b32_e32 v14, 24, v15
	;; [unrolled: 1-line block ×3, first 2 shown]
	v_lshlrev_b32_e32 v5, 24, v5
	v_and_b32_e32 v6, 0x80000000, v6
	v_and_b32_e32 v8, 0x80, v8
	;; [unrolled: 1-line block ×3, first 2 shown]
	v_lshlrev_b64 v[3:4], 2, v[3:4]
	v_add_nc_u32_e32 v0, s2, v0
	s_mov_b32 s15, -1
	v_and_or_b32 v7, 0xff, v7, v8
	v_and_b32_e32 v8, 0xff, v12
	v_and_or_b32 v11, 0xff, v11, v14
	v_add_co_u32 v3, vcc_lo, s0, v3
	s_delay_alu instid0(VALU_DEP_4) | instskip(NEXT) | instid1(VALU_DEP_4)
	v_lshlrev_b32_e32 v7, 16, v7
	v_and_or_b32 v8, 0x80, v13, v8
	s_delay_alu instid0(VALU_DEP_4) | instskip(SKIP_1) | instid1(VALU_DEP_4)
	v_lshlrev_b32_e32 v11, 8, v11
	v_add_co_ci_u32_e32 v4, vcc_lo, s1, v4, vcc_lo
	v_or3_b32 v5, v6, v5, v7
	s_mov_b32 s13, exec_lo
	s_delay_alu instid0(VALU_DEP_1)
	v_or3_b32 v5, v5, v11, v8
	global_store_b32 v[3:4], v5, off
	v_cmpx_gt_u32_e64 s14, v0
	s_cbranch_execz .LBB72_60
; %bb.138:                              ;   in Loop: Header=BB72_63 Depth=1
	v_lshlrev_b64 v[5:6], 3, v[0:1]
	v_bfe_u32 v13, v0, 5, 25
	s_mov_b32 s15, exec_lo
	s_delay_alu instid0(VALU_DEP_1) | instskip(NEXT) | instid1(VALU_DEP_3)
	v_mad_u64_u32 v[7:8], null, v9, v13, 0
	v_add_co_u32 v3, vcc_lo, s26, v5
	s_delay_alu instid0(VALU_DEP_4)
	v_add_co_ci_u32_e32 v4, vcc_lo, s27, v6, vcc_lo
	v_add_co_u32 v5, vcc_lo, s10, v5
	v_add_co_ci_u32_e32 v6, vcc_lo, s11, v6, vcc_lo
	global_load_b64 v[3:4], v[3:4], off
	v_mad_u64_u32 v[11:12], null, v10, v13, v[8:9]
	global_load_b64 v[5:6], v[5:6], off
	v_mov_b32_e32 v8, v11
	s_delay_alu instid0(VALU_DEP_1) | instskip(NEXT) | instid1(VALU_DEP_1)
	v_lshlrev_b64 v[7:8], 2, v[7:8]
	v_add_co_u32 v7, vcc_lo, s4, v7
	s_delay_alu instid0(VALU_DEP_2)
	v_add_co_ci_u32_e32 v8, vcc_lo, s5, v8, vcc_lo
	global_load_b32 v12, v[7:8], off
	s_waitcnt vmcnt(2)
	v_lshlrev_b32_e32 v7, 16, v3
	s_waitcnt vmcnt(1)
	v_lshlrev_b32_e32 v11, 16, v5
	s_delay_alu instid0(VALU_DEP_2) | instskip(NEXT) | instid1(VALU_DEP_1)
	v_mul_f32_e32 v7, v28, v7
	v_bfe_u32 v8, v7, 16, 1
	s_delay_alu instid0(VALU_DEP_1) | instskip(NEXT) | instid1(VALU_DEP_1)
	v_add3_u32 v8, v7, v8, 0x7fff
	v_and_b32_e32 v8, 0xffff0000, v8
	v_cmp_o_f32_e32 vcc_lo, v7, v7
	s_delay_alu instid0(VALU_DEP_2) | instskip(NEXT) | instid1(VALU_DEP_1)
	v_cndmask_b32_e32 v7, 0x7fc00000, v8, vcc_lo
	v_mul_f32_e32 v7, v7, v11
	s_delay_alu instid0(VALU_DEP_1) | instskip(NEXT) | instid1(VALU_DEP_1)
	v_bfe_u32 v8, v7, 16, 1
	v_add3_u32 v8, v7, v8, 0x7fff
	s_delay_alu instid0(VALU_DEP_1) | instskip(SKIP_1) | instid1(VALU_DEP_2)
	v_and_b32_e32 v8, 0xffff0000, v8
	v_cmp_o_f32_e32 vcc_lo, v7, v7
	v_cndmask_b32_e32 v7, 0x7fc00000, v8, vcc_lo
	s_waitcnt vmcnt(0)
	s_delay_alu instid0(VALU_DEP_1) | instskip(SKIP_1) | instid1(VALU_DEP_2)
	v_div_scale_f32 v8, null, v12, v12, v7
	v_div_scale_f32 v14, vcc_lo, v7, v12, v7
	v_rcp_f32_e32 v11, v8
	s_waitcnt_depctr 0xfff
	v_fma_f32 v13, -v8, v11, 1.0
	s_delay_alu instid0(VALU_DEP_1) | instskip(NEXT) | instid1(VALU_DEP_1)
	v_fmac_f32_e32 v11, v13, v11
	v_mul_f32_e32 v13, v14, v11
	s_delay_alu instid0(VALU_DEP_1) | instskip(NEXT) | instid1(VALU_DEP_1)
	v_fma_f32 v15, -v8, v13, v14
	v_fmac_f32_e32 v13, v15, v11
	s_delay_alu instid0(VALU_DEP_1) | instskip(NEXT) | instid1(VALU_DEP_1)
	v_fma_f32 v8, -v8, v13, v14
	v_div_fmas_f32 v8, v8, v11, v13
	s_delay_alu instid0(VALU_DEP_1) | instskip(SKIP_1) | instid1(VALU_DEP_2)
	v_div_fixup_f32 v7, v8, v12, v7
	v_mov_b32_e32 v8, 0x7f
	v_minmax_f32 v11, v7, s7, 0xc3e00000
	v_mov_b32_e32 v7, 0x7f
	s_delay_alu instid0(VALU_DEP_2) | instskip(NEXT) | instid1(VALU_DEP_1)
	v_and_b32_e32 v13, 0x7fffffff, v11
	v_cmpx_gt_u32_e32 0x43f00000, v13
	s_cbranch_execz .LBB72_144
; %bb.139:                              ;   in Loop: Header=BB72_63 Depth=1
	s_mov_b32 s16, exec_lo
                                        ; implicit-def: $vgpr8
	v_cmpx_lt_u32_e32 0x3c7fffff, v13
	s_xor_b32 s16, exec_lo, s16
; %bb.140:                              ;   in Loop: Header=BB72_63 Depth=1
	v_bfe_u32 v8, v11, 20, 1
	s_delay_alu instid0(VALU_DEP_1) | instskip(NEXT) | instid1(VALU_DEP_1)
	v_add3_u32 v8, v11, v8, 0x407ffff
	v_lshrrev_b32_e32 v8, 20, v8
; %bb.141:                              ;   in Loop: Header=BB72_63 Depth=1
	s_and_not1_saveexec_b32 s16, s16
; %bb.142:                              ;   in Loop: Header=BB72_63 Depth=1
	v_add_f32_e64 v8, 0x46800000, |v11|
; %bb.143:                              ;   in Loop: Header=BB72_63 Depth=1
	s_or_b32 exec_lo, exec_lo, s16
.LBB72_144:                             ;   in Loop: Header=BB72_63 Depth=1
	s_delay_alu instid0(SALU_CYCLE_1) | instskip(SKIP_3) | instid1(VALU_DEP_2)
	s_or_b32 exec_lo, exec_lo, s15
	v_and_b32_e32 v13, 0xffff0000, v3
	v_and_b32_e32 v15, 0xffff0000, v5
	s_mov_b32 s15, exec_lo
	v_mul_f32_e32 v13, v28, v13
	s_delay_alu instid0(VALU_DEP_1) | instskip(NEXT) | instid1(VALU_DEP_1)
	v_bfe_u32 v14, v13, 16, 1
	v_add3_u32 v14, v13, v14, 0x7fff
	s_delay_alu instid0(VALU_DEP_1) | instskip(SKIP_1) | instid1(VALU_DEP_2)
	v_and_b32_e32 v14, 0xffff0000, v14
	v_cmp_o_f32_e32 vcc_lo, v13, v13
	v_cndmask_b32_e32 v13, 0x7fc00000, v14, vcc_lo
	s_delay_alu instid0(VALU_DEP_1) | instskip(NEXT) | instid1(VALU_DEP_1)
	v_mul_f32_e32 v13, v13, v15
	v_bfe_u32 v14, v13, 16, 1
	s_delay_alu instid0(VALU_DEP_1) | instskip(NEXT) | instid1(VALU_DEP_1)
	v_add3_u32 v14, v13, v14, 0x7fff
	v_and_b32_e32 v14, 0xffff0000, v14
	v_cmp_o_f32_e32 vcc_lo, v13, v13
	s_delay_alu instid0(VALU_DEP_2) | instskip(NEXT) | instid1(VALU_DEP_1)
	v_cndmask_b32_e32 v13, 0x7fc00000, v14, vcc_lo
	v_div_scale_f32 v14, null, v12, v12, v13
	s_delay_alu instid0(VALU_DEP_1) | instskip(SKIP_2) | instid1(VALU_DEP_1)
	v_rcp_f32_e32 v15, v14
	s_waitcnt_depctr 0xfff
	v_fma_f32 v16, -v14, v15, 1.0
	v_fmac_f32_e32 v15, v16, v15
	v_div_scale_f32 v16, vcc_lo, v13, v12, v13
	s_delay_alu instid0(VALU_DEP_1) | instskip(NEXT) | instid1(VALU_DEP_1)
	v_mul_f32_e32 v17, v16, v15
	v_fma_f32 v18, -v14, v17, v16
	s_delay_alu instid0(VALU_DEP_1) | instskip(NEXT) | instid1(VALU_DEP_1)
	v_fmac_f32_e32 v17, v18, v15
	v_fma_f32 v14, -v14, v17, v16
	s_delay_alu instid0(VALU_DEP_1) | instskip(NEXT) | instid1(VALU_DEP_1)
	v_div_fmas_f32 v14, v14, v15, v17
	v_div_fixup_f32 v13, v14, v12, v13
	s_delay_alu instid0(VALU_DEP_1) | instskip(NEXT) | instid1(VALU_DEP_1)
	v_minmax_f32 v13, v13, s7, 0xc3e00000
	v_and_b32_e32 v14, 0x7fffffff, v13
	s_delay_alu instid0(VALU_DEP_1)
	v_cmpx_gt_u32_e32 0x43f00000, v14
	s_cbranch_execz .LBB72_150
; %bb.145:                              ;   in Loop: Header=BB72_63 Depth=1
	s_mov_b32 s16, exec_lo
                                        ; implicit-def: $vgpr7
	v_cmpx_lt_u32_e32 0x3c7fffff, v14
	s_xor_b32 s16, exec_lo, s16
; %bb.146:                              ;   in Loop: Header=BB72_63 Depth=1
	v_bfe_u32 v7, v13, 20, 1
	s_delay_alu instid0(VALU_DEP_1) | instskip(NEXT) | instid1(VALU_DEP_1)
	v_add3_u32 v7, v13, v7, 0x407ffff
	v_lshrrev_b32_e32 v7, 20, v7
; %bb.147:                              ;   in Loop: Header=BB72_63 Depth=1
	s_and_not1_saveexec_b32 s16, s16
; %bb.148:                              ;   in Loop: Header=BB72_63 Depth=1
	v_add_f32_e64 v7, 0x46800000, |v13|
; %bb.149:                              ;   in Loop: Header=BB72_63 Depth=1
	s_or_b32 exec_lo, exec_lo, s16
.LBB72_150:                             ;   in Loop: Header=BB72_63 Depth=1
	s_delay_alu instid0(SALU_CYCLE_1) | instskip(SKIP_3) | instid1(VALU_DEP_2)
	s_or_b32 exec_lo, exec_lo, s15
	v_alignbit_b32 v3, v4, v3, 16
	v_alignbit_b32 v5, v6, v5, 16
	s_mov_b32 s15, exec_lo
	v_and_b32_e32 v3, 0xffff0000, v3
	s_delay_alu instid0(VALU_DEP_2) | instskip(NEXT) | instid1(VALU_DEP_2)
	v_and_b32_e32 v5, 0xffff0000, v5
	v_mul_f32_e32 v3, v28, v3
	s_delay_alu instid0(VALU_DEP_1) | instskip(NEXT) | instid1(VALU_DEP_1)
	v_bfe_u32 v14, v3, 16, 1
	v_add3_u32 v14, v3, v14, 0x7fff
	s_delay_alu instid0(VALU_DEP_1) | instskip(SKIP_1) | instid1(VALU_DEP_2)
	v_and_b32_e32 v14, 0xffff0000, v14
	v_cmp_o_f32_e32 vcc_lo, v3, v3
	v_cndmask_b32_e32 v3, 0x7fc00000, v14, vcc_lo
	s_delay_alu instid0(VALU_DEP_1) | instskip(NEXT) | instid1(VALU_DEP_1)
	v_mul_f32_e32 v3, v3, v5
	v_bfe_u32 v5, v3, 16, 1
	v_cmp_o_f32_e32 vcc_lo, v3, v3
	s_delay_alu instid0(VALU_DEP_2) | instskip(NEXT) | instid1(VALU_DEP_1)
	v_add3_u32 v5, v3, v5, 0x7fff
	v_and_b32_e32 v5, 0xffff0000, v5
	s_delay_alu instid0(VALU_DEP_1) | instskip(NEXT) | instid1(VALU_DEP_1)
	v_cndmask_b32_e32 v3, 0x7fc00000, v5, vcc_lo
	v_div_scale_f32 v5, null, v12, v12, v3
	v_div_scale_f32 v16, vcc_lo, v3, v12, v3
	s_delay_alu instid0(VALU_DEP_2) | instskip(SKIP_2) | instid1(VALU_DEP_1)
	v_rcp_f32_e32 v14, v5
	s_waitcnt_depctr 0xfff
	v_fma_f32 v15, -v5, v14, 1.0
	v_fmac_f32_e32 v14, v15, v14
	s_delay_alu instid0(VALU_DEP_1) | instskip(NEXT) | instid1(VALU_DEP_1)
	v_mul_f32_e32 v15, v16, v14
	v_fma_f32 v17, -v5, v15, v16
	s_delay_alu instid0(VALU_DEP_1) | instskip(NEXT) | instid1(VALU_DEP_1)
	v_fmac_f32_e32 v15, v17, v14
	v_fma_f32 v5, -v5, v15, v16
	s_delay_alu instid0(VALU_DEP_1) | instskip(NEXT) | instid1(VALU_DEP_1)
	v_div_fmas_f32 v5, v5, v14, v15
	v_div_fixup_f32 v3, v5, v12, v3
	v_mov_b32_e32 v5, 0x7f
	s_delay_alu instid0(VALU_DEP_2) | instskip(SKIP_1) | instid1(VALU_DEP_2)
	v_minmax_f32 v14, v3, s7, 0xc3e00000
	v_mov_b32_e32 v3, 0x7f
	v_and_b32_e32 v15, 0x7fffffff, v14
	s_delay_alu instid0(VALU_DEP_1)
	v_cmpx_gt_u32_e32 0x43f00000, v15
	s_cbranch_execz .LBB72_156
; %bb.151:                              ;   in Loop: Header=BB72_63 Depth=1
	s_mov_b32 s16, exec_lo
                                        ; implicit-def: $vgpr5
	v_cmpx_lt_u32_e32 0x3c7fffff, v15
	s_xor_b32 s16, exec_lo, s16
; %bb.152:                              ;   in Loop: Header=BB72_63 Depth=1
	v_bfe_u32 v5, v14, 20, 1
	s_delay_alu instid0(VALU_DEP_1) | instskip(NEXT) | instid1(VALU_DEP_1)
	v_add3_u32 v5, v14, v5, 0x407ffff
	v_lshrrev_b32_e32 v5, 20, v5
; %bb.153:                              ;   in Loop: Header=BB72_63 Depth=1
	s_and_not1_saveexec_b32 s16, s16
; %bb.154:                              ;   in Loop: Header=BB72_63 Depth=1
	v_add_f32_e64 v5, 0x46800000, |v14|
; %bb.155:                              ;   in Loop: Header=BB72_63 Depth=1
	s_or_b32 exec_lo, exec_lo, s16
.LBB72_156:                             ;   in Loop: Header=BB72_63 Depth=1
	s_delay_alu instid0(SALU_CYCLE_1) | instskip(SKIP_3) | instid1(VALU_DEP_2)
	s_or_b32 exec_lo, exec_lo, s15
	v_and_b32_e32 v4, 0xffff0000, v4
	v_and_b32_e32 v6, 0xffff0000, v6
	s_mov_b32 s15, exec_lo
	v_mul_f32_e32 v4, v28, v4
	s_delay_alu instid0(VALU_DEP_1) | instskip(NEXT) | instid1(VALU_DEP_1)
	v_bfe_u32 v15, v4, 16, 1
	v_add3_u32 v15, v4, v15, 0x7fff
	s_delay_alu instid0(VALU_DEP_1) | instskip(SKIP_1) | instid1(VALU_DEP_2)
	v_and_b32_e32 v15, 0xffff0000, v15
	v_cmp_o_f32_e32 vcc_lo, v4, v4
	v_cndmask_b32_e32 v4, 0x7fc00000, v15, vcc_lo
	s_delay_alu instid0(VALU_DEP_1) | instskip(NEXT) | instid1(VALU_DEP_1)
	v_mul_f32_e32 v4, v4, v6
	v_bfe_u32 v6, v4, 16, 1
	v_cmp_o_f32_e32 vcc_lo, v4, v4
	s_delay_alu instid0(VALU_DEP_2) | instskip(NEXT) | instid1(VALU_DEP_1)
	v_add3_u32 v6, v4, v6, 0x7fff
	v_and_b32_e32 v6, 0xffff0000, v6
	s_delay_alu instid0(VALU_DEP_1) | instskip(NEXT) | instid1(VALU_DEP_1)
	v_cndmask_b32_e32 v4, 0x7fc00000, v6, vcc_lo
	v_div_scale_f32 v6, null, v12, v12, v4
	s_delay_alu instid0(VALU_DEP_1) | instskip(SKIP_2) | instid1(VALU_DEP_1)
	v_rcp_f32_e32 v15, v6
	s_waitcnt_depctr 0xfff
	v_fma_f32 v16, -v6, v15, 1.0
	v_fmac_f32_e32 v15, v16, v15
	v_div_scale_f32 v16, vcc_lo, v4, v12, v4
	s_delay_alu instid0(VALU_DEP_1) | instskip(NEXT) | instid1(VALU_DEP_1)
	v_mul_f32_e32 v17, v16, v15
	v_fma_f32 v18, -v6, v17, v16
	s_delay_alu instid0(VALU_DEP_1) | instskip(NEXT) | instid1(VALU_DEP_1)
	v_fmac_f32_e32 v17, v18, v15
	v_fma_f32 v6, -v6, v17, v16
	s_delay_alu instid0(VALU_DEP_1) | instskip(NEXT) | instid1(VALU_DEP_1)
	v_div_fmas_f32 v6, v6, v15, v17
	v_div_fixup_f32 v4, v6, v12, v4
	s_delay_alu instid0(VALU_DEP_1) | instskip(NEXT) | instid1(VALU_DEP_1)
	v_minmax_f32 v4, v4, s7, 0xc3e00000
	v_and_b32_e32 v6, 0x7fffffff, v4
	s_delay_alu instid0(VALU_DEP_1)
	v_cmpx_gt_u32_e32 0x43f00000, v6
	s_cbranch_execz .LBB72_59
; %bb.157:                              ;   in Loop: Header=BB72_63 Depth=1
	s_mov_b32 s16, exec_lo
                                        ; implicit-def: $vgpr3
	v_cmpx_lt_u32_e32 0x3c7fffff, v6
	s_xor_b32 s16, exec_lo, s16
; %bb.158:                              ;   in Loop: Header=BB72_63 Depth=1
	v_bfe_u32 v3, v4, 20, 1
	s_delay_alu instid0(VALU_DEP_1) | instskip(NEXT) | instid1(VALU_DEP_1)
	v_add3_u32 v3, v4, v3, 0x407ffff
	v_lshrrev_b32_e32 v3, 20, v3
; %bb.159:                              ;   in Loop: Header=BB72_63 Depth=1
	s_and_not1_saveexec_b32 s16, s16
	s_cbranch_execz .LBB72_58
; %bb.160:                              ;   in Loop: Header=BB72_63 Depth=1
	v_add_f32_e64 v3, 0x46800000, |v4|
	s_branch .LBB72_58
.LBB72_161:
	s_nop 0
	s_sendmsg sendmsg(MSG_DEALLOC_VGPRS)
	s_endpgm
.LBB72_162:
                                        ; implicit-def: $vgpr3_vgpr4
	s_branch .LBB72_51
.LBB72_163:
                                        ; implicit-def: $vgpr1_vgpr2
	s_branch .LBB72_56
	.section	.rodata,"a",@progbits
	.p2align	6, 0x0
	.amdhsa_kernel _ZN4vllm31rms_norm_per_block_quant_kernelIN3c108BFloat16ENS1_13Float8_e4m3fnELb0ELb1ELi128EEEvPT0_PfPKT_S9_PKffiiPS7_l
		.amdhsa_group_segment_fixed_size 4228
		.amdhsa_private_segment_fixed_size 0
		.amdhsa_kernarg_size 328
		.amdhsa_user_sgpr_count 15
		.amdhsa_user_sgpr_dispatch_ptr 0
		.amdhsa_user_sgpr_queue_ptr 0
		.amdhsa_user_sgpr_kernarg_segment_ptr 1
		.amdhsa_user_sgpr_dispatch_id 0
		.amdhsa_user_sgpr_private_segment_size 0
		.amdhsa_wavefront_size32 1
		.amdhsa_uses_dynamic_stack 0
		.amdhsa_enable_private_segment 0
		.amdhsa_system_sgpr_workgroup_id_x 1
		.amdhsa_system_sgpr_workgroup_id_y 0
		.amdhsa_system_sgpr_workgroup_id_z 0
		.amdhsa_system_sgpr_workgroup_info 0
		.amdhsa_system_vgpr_workitem_id 0
		.amdhsa_next_free_vgpr 46
		.amdhsa_next_free_sgpr 36
		.amdhsa_reserve_vcc 1
		.amdhsa_float_round_mode_32 0
		.amdhsa_float_round_mode_16_64 0
		.amdhsa_float_denorm_mode_32 3
		.amdhsa_float_denorm_mode_16_64 3
		.amdhsa_dx10_clamp 1
		.amdhsa_ieee_mode 1
		.amdhsa_fp16_overflow 0
		.amdhsa_workgroup_processor_mode 1
		.amdhsa_memory_ordered 1
		.amdhsa_forward_progress 0
		.amdhsa_shared_vgpr_count 0
		.amdhsa_exception_fp_ieee_invalid_op 0
		.amdhsa_exception_fp_denorm_src 0
		.amdhsa_exception_fp_ieee_div_zero 0
		.amdhsa_exception_fp_ieee_overflow 0
		.amdhsa_exception_fp_ieee_underflow 0
		.amdhsa_exception_fp_ieee_inexact 0
		.amdhsa_exception_int_div_zero 0
	.end_amdhsa_kernel
	.section	.text._ZN4vllm31rms_norm_per_block_quant_kernelIN3c108BFloat16ENS1_13Float8_e4m3fnELb0ELb1ELi128EEEvPT0_PfPKT_S9_PKffiiPS7_l,"axG",@progbits,_ZN4vllm31rms_norm_per_block_quant_kernelIN3c108BFloat16ENS1_13Float8_e4m3fnELb0ELb1ELi128EEEvPT0_PfPKT_S9_PKffiiPS7_l,comdat
.Lfunc_end72:
	.size	_ZN4vllm31rms_norm_per_block_quant_kernelIN3c108BFloat16ENS1_13Float8_e4m3fnELb0ELb1ELi128EEEvPT0_PfPKT_S9_PKffiiPS7_l, .Lfunc_end72-_ZN4vllm31rms_norm_per_block_quant_kernelIN3c108BFloat16ENS1_13Float8_e4m3fnELb0ELb1ELi128EEEvPT0_PfPKT_S9_PKffiiPS7_l
                                        ; -- End function
	.section	.AMDGPU.csdata,"",@progbits
; Kernel info:
; codeLenInByte = 14736
; NumSgprs: 38
; NumVgprs: 46
; ScratchSize: 0
; MemoryBound: 0
; FloatMode: 240
; IeeeMode: 1
; LDSByteSize: 4228 bytes/workgroup (compile time only)
; SGPRBlocks: 4
; VGPRBlocks: 5
; NumSGPRsForWavesPerEU: 38
; NumVGPRsForWavesPerEU: 46
; Occupancy: 16
; WaveLimiterHint : 0
; COMPUTE_PGM_RSRC2:SCRATCH_EN: 0
; COMPUTE_PGM_RSRC2:USER_SGPR: 15
; COMPUTE_PGM_RSRC2:TRAP_HANDLER: 0
; COMPUTE_PGM_RSRC2:TGID_X_EN: 1
; COMPUTE_PGM_RSRC2:TGID_Y_EN: 0
; COMPUTE_PGM_RSRC2:TGID_Z_EN: 0
; COMPUTE_PGM_RSRC2:TIDIG_COMP_CNT: 0
	.section	.text._ZN4vllm31rms_norm_per_block_quant_kernelIN3c108BFloat16ENS1_15Float8_e4m3fnuzELb0ELb1ELi128EEEvPT0_PfPKT_S9_PKffiiPS7_l,"axG",@progbits,_ZN4vllm31rms_norm_per_block_quant_kernelIN3c108BFloat16ENS1_15Float8_e4m3fnuzELb0ELb1ELi128EEEvPT0_PfPKT_S9_PKffiiPS7_l,comdat
	.protected	_ZN4vllm31rms_norm_per_block_quant_kernelIN3c108BFloat16ENS1_15Float8_e4m3fnuzELb0ELb1ELi128EEEvPT0_PfPKT_S9_PKffiiPS7_l ; -- Begin function _ZN4vllm31rms_norm_per_block_quant_kernelIN3c108BFloat16ENS1_15Float8_e4m3fnuzELb0ELb1ELi128EEEvPT0_PfPKT_S9_PKffiiPS7_l
	.globl	_ZN4vllm31rms_norm_per_block_quant_kernelIN3c108BFloat16ENS1_15Float8_e4m3fnuzELb0ELb1ELi128EEEvPT0_PfPKT_S9_PKffiiPS7_l
	.p2align	8
	.type	_ZN4vllm31rms_norm_per_block_quant_kernelIN3c108BFloat16ENS1_15Float8_e4m3fnuzELb0ELb1ELi128EEEvPT0_PfPKT_S9_PKffiiPS7_l,@function
_ZN4vllm31rms_norm_per_block_quant_kernelIN3c108BFloat16ENS1_15Float8_e4m3fnuzELb0ELb1ELi128EEEvPT0_PfPKT_S9_PKffiiPS7_l: ; @_ZN4vllm31rms_norm_per_block_quant_kernelIN3c108BFloat16ENS1_15Float8_e4m3fnuzELb0ELb1ELi128EEEvPT0_PfPKT_S9_PKffiiPS7_l
; %bb.0:
	s_mov_b32 s16, s15
	s_clause 0x2
	s_load_b128 s[12:15], s[0:1], 0x28
	s_load_b256 s[4:11], s[0:1], 0x0
	s_load_b32 s29, s[0:1], 0x48
	v_mov_b32_e32 v6, 0
	s_mov_b32 s17, 0
	s_waitcnt lgkmcnt(0)
	s_ashr_i32 s2, s14, 31
	s_mul_hi_u32 s3, s14, s16
	s_mul_i32 s15, s2, s16
	s_mul_i32 s2, s14, s16
	s_add_i32 s3, s3, s15
	s_mov_b32 s18, s13
	s_lshl_b64 s[22:23], s[2:3], 1
	s_delay_alu instid0(SALU_CYCLE_1)
	s_add_u32 s26, s8, s22
	s_addc_u32 s27, s9, s23
	s_ashr_i32 s14, s13, 2
	s_add_u32 s20, s0, 0x48
	v_cmp_gt_u32_e64 s2, s14, v0
	s_addc_u32 s21, s1, 0
	s_delay_alu instid0(VALU_DEP_1)
	s_and_saveexec_b32 s3, s2
	s_cbranch_execz .LBB73_10
; %bb.1:
	s_cmp_lt_u32 s16, s29
	v_mov_b32_e32 v2, 0
	s_cselect_b32 s15, 12, 18
                                        ; implicit-def: $sgpr19
	v_mov_b32_e32 v1, v0
	s_add_u32 s24, s20, s15
	s_addc_u32 s25, s21, 0
	s_mov_b32 s15, s17
	global_load_u16 v7, v2, s[24:25]
	s_waitcnt vmcnt(0)
	v_lshlrev_b32_e32 v9, 1, v7
	v_mul_lo_u32 v8, v7, 3
	v_add_nc_u32_e32 v10, v7, v7
	v_mov_b32_e32 v6, v2
	s_branch .LBB73_5
.LBB73_2:                               ;   in Loop: Header=BB73_5 Depth=1
	s_or_b32 exec_lo, exec_lo, s28
	s_delay_alu instid0(SALU_CYCLE_1)
	s_or_not1_b32 s28, s30, exec_lo
.LBB73_3:                               ;   in Loop: Header=BB73_5 Depth=1
	s_or_b32 exec_lo, exec_lo, s25
	s_delay_alu instid0(SALU_CYCLE_1) | instskip(SKIP_1) | instid1(SALU_CYCLE_1)
	s_and_not1_b32 s19, s19, exec_lo
	s_and_b32 s25, s28, exec_lo
	s_or_b32 s19, s19, s25
.LBB73_4:                               ;   in Loop: Header=BB73_5 Depth=1
	s_or_b32 exec_lo, exec_lo, s24
	s_delay_alu instid0(SALU_CYCLE_1) | instskip(NEXT) | instid1(SALU_CYCLE_1)
	s_and_b32 s24, exec_lo, s19
	s_or_b32 s15, s24, s15
	s_delay_alu instid0(SALU_CYCLE_1)
	s_and_not1_b32 exec_lo, exec_lo, s15
	s_cbranch_execz .LBB73_9
.LBB73_5:                               ; =>This Inner Loop Header: Depth=1
	v_lshlrev_b64 v[3:4], 3, v[1:2]
	s_or_b32 s19, s19, exec_lo
	s_mov_b32 s24, exec_lo
	s_delay_alu instid0(VALU_DEP_1) | instskip(NEXT) | instid1(VALU_DEP_2)
	v_add_co_u32 v3, vcc_lo, s26, v3
	v_add_co_ci_u32_e32 v4, vcc_lo, s27, v4, vcc_lo
	global_load_b64 v[3:4], v[3:4], off
	s_waitcnt vmcnt(0)
	v_lshlrev_b32_e32 v5, 16, v3
	v_and_b32_e32 v11, 0xffff0000, v3
	v_alignbit_b32 v3, v4, v3, 16
	v_and_b32_e32 v4, 0xffff0000, v4
	s_delay_alu instid0(VALU_DEP_2) | instskip(NEXT) | instid1(VALU_DEP_1)
	v_dual_fmac_f32 v6, v5, v5 :: v_dual_and_b32 v3, 0xffff0000, v3
	v_fmac_f32_e32 v6, v11, v11
	s_delay_alu instid0(VALU_DEP_1) | instskip(NEXT) | instid1(VALU_DEP_1)
	v_fmac_f32_e32 v6, v3, v3
	v_dual_fmac_f32 v6, v4, v4 :: v_dual_add_nc_u32 v3, v1, v7
	s_delay_alu instid0(VALU_DEP_1)
	v_cmpx_gt_u32_e64 s14, v3
	s_cbranch_execz .LBB73_4
; %bb.6:                                ;   in Loop: Header=BB73_5 Depth=1
	v_mov_b32_e32 v4, v2
	s_mov_b32 s28, -1
	s_mov_b32 s25, exec_lo
	s_delay_alu instid0(VALU_DEP_1) | instskip(NEXT) | instid1(VALU_DEP_1)
	v_lshlrev_b64 v[4:5], 3, v[3:4]
	v_add_co_u32 v4, vcc_lo, s26, v4
	s_delay_alu instid0(VALU_DEP_2)
	v_add_co_ci_u32_e32 v5, vcc_lo, s27, v5, vcc_lo
	global_load_b64 v[4:5], v[4:5], off
	s_waitcnt vmcnt(0)
	v_lshlrev_b32_e32 v11, 16, v4
	v_and_b32_e32 v12, 0xffff0000, v4
	v_alignbit_b32 v4, v5, v4, 16
	s_delay_alu instid0(VALU_DEP_3) | instskip(NEXT) | instid1(VALU_DEP_2)
	v_dual_fmac_f32 v6, v11, v11 :: v_dual_and_b32 v5, 0xffff0000, v5
	v_and_b32_e32 v4, 0xffff0000, v4
	s_delay_alu instid0(VALU_DEP_2) | instskip(NEXT) | instid1(VALU_DEP_1)
	v_fmac_f32_e32 v6, v12, v12
	v_fmac_f32_e32 v6, v4, v4
	v_add_nc_u32_e32 v4, v9, v1
	s_delay_alu instid0(VALU_DEP_2) | instskip(NEXT) | instid1(VALU_DEP_2)
	v_fmac_f32_e32 v6, v5, v5
	v_cmpx_gt_u32_e64 s14, v4
	s_cbranch_execz .LBB73_3
; %bb.7:                                ;   in Loop: Header=BB73_5 Depth=1
	v_mov_b32_e32 v5, v2
	v_add_nc_u32_e32 v1, v8, v1
	s_mov_b32 s30, -1
	s_mov_b32 s28, exec_lo
	s_delay_alu instid0(VALU_DEP_2) | instskip(NEXT) | instid1(VALU_DEP_1)
	v_lshlrev_b64 v[4:5], 3, v[4:5]
	v_add_co_u32 v4, vcc_lo, s26, v4
	s_delay_alu instid0(VALU_DEP_2)
	v_add_co_ci_u32_e32 v5, vcc_lo, s27, v5, vcc_lo
	global_load_b64 v[4:5], v[4:5], off
	s_waitcnt vmcnt(0)
	v_and_b32_e32 v12, 0xffff0000, v4
	v_lshlrev_b32_e32 v11, 16, v4
	v_alignbit_b32 v4, v5, v4, 16
	s_delay_alu instid0(VALU_DEP_2) | instskip(NEXT) | instid1(VALU_DEP_2)
	v_dual_fmac_f32 v6, v11, v11 :: v_dual_and_b32 v5, 0xffff0000, v5
	v_and_b32_e32 v4, 0xffff0000, v4
	s_delay_alu instid0(VALU_DEP_2) | instskip(NEXT) | instid1(VALU_DEP_1)
	v_fmac_f32_e32 v6, v12, v12
	v_fmac_f32_e32 v6, v4, v4
	s_delay_alu instid0(VALU_DEP_1)
	v_fmac_f32_e32 v6, v5, v5
	v_cmpx_gt_u32_e64 s14, v1
	s_xor_b32 s28, exec_lo, s28
	s_cbranch_execz .LBB73_2
; %bb.8:                                ;   in Loop: Header=BB73_5 Depth=1
	v_lshlrev_b64 v[4:5], 3, v[1:2]
	s_delay_alu instid0(VALU_DEP_1) | instskip(NEXT) | instid1(VALU_DEP_2)
	v_add_co_u32 v4, vcc_lo, s26, v4
	v_add_co_ci_u32_e32 v5, vcc_lo, s27, v5, vcc_lo
	global_load_b64 v[4:5], v[4:5], off
	s_waitcnt vmcnt(0)
	v_and_b32_e32 v11, 0xffff0000, v4
	v_lshlrev_b32_e32 v1, 16, v4
	v_alignbit_b32 v4, v5, v4, 16
	s_delay_alu instid0(VALU_DEP_2) | instskip(NEXT) | instid1(VALU_DEP_2)
	v_fmac_f32_e32 v6, v1, v1
	v_and_b32_e32 v4, 0xffff0000, v4
	v_add3_u32 v1, v10, v7, v3
	s_delay_alu instid0(VALU_DEP_3) | instskip(NEXT) | instid1(VALU_DEP_2)
	v_dual_fmac_f32 v6, v11, v11 :: v_dual_and_b32 v3, 0xffff0000, v5
	v_cmp_le_u32_e32 vcc_lo, s14, v1
	s_delay_alu instid0(VALU_DEP_2) | instskip(SKIP_1) | instid1(VALU_DEP_1)
	v_fmac_f32_e32 v6, v4, v4
	s_or_not1_b32 s30, vcc_lo, exec_lo
	v_fmac_f32_e32 v6, v3, v3
	s_branch .LBB73_2
.LBB73_9:
	s_or_b32 exec_lo, exec_lo, s15
.LBB73_10:
	s_delay_alu instid0(SALU_CYCLE_1) | instskip(SKIP_4) | instid1(VALU_DEP_2)
	s_or_b32 exec_lo, exec_lo, s3
	v_mbcnt_lo_u32_b32 v1, -1, 0
	s_load_b32 s3, s[20:21], 0xc
	v_and_b32_e32 v7, 0x3e0, v0
	s_mov_b32 s15, exec_lo
	v_cmp_ne_u32_e32 vcc_lo, 31, v1
	v_add_nc_u32_e32 v3, 1, v1
	v_add_co_ci_u32_e32 v2, vcc_lo, 0, v1, vcc_lo
	v_cmp_gt_u32_e32 vcc_lo, 30, v1
	s_delay_alu instid0(VALU_DEP_2)
	v_lshlrev_b32_e32 v2, 2, v2
	v_cndmask_b32_e64 v5, 0, 1, vcc_lo
	ds_bpermute_b32 v4, v2, v6
	s_waitcnt lgkmcnt(0)
	s_and_b32 s3, s3, 0xffff
	v_lshlrev_b32_e32 v5, 1, v5
	v_sub_nc_u32_e64 v12, s3, v7 clamp
	s_delay_alu instid0(VALU_DEP_1) | instskip(SKIP_1) | instid1(VALU_DEP_4)
	v_cmp_lt_u32_e32 vcc_lo, v3, v12
	v_add_f32_e32 v7, v6, v4
	v_add_lshl_u32 v4, v5, v1, 2
	s_delay_alu instid0(VALU_DEP_2) | instskip(SKIP_2) | instid1(VALU_DEP_1)
	v_cndmask_b32_e32 v7, v6, v7, vcc_lo
	v_cmp_gt_u32_e32 vcc_lo, 28, v1
	v_cndmask_b32_e64 v5, 0, 1, vcc_lo
	v_lshlrev_b32_e32 v8, 2, v5
	ds_bpermute_b32 v6, v4, v7
	v_add_nc_u32_e32 v5, 2, v1
	s_delay_alu instid0(VALU_DEP_1) | instskip(SKIP_3) | instid1(VALU_DEP_2)
	v_cmp_lt_u32_e32 vcc_lo, v5, v12
	s_waitcnt lgkmcnt(0)
	v_add_f32_e32 v9, v7, v6
	v_add_lshl_u32 v6, v8, v1, 2
	v_cndmask_b32_e32 v9, v7, v9, vcc_lo
	v_cmp_gt_u32_e32 vcc_lo, 24, v1
	ds_bpermute_b32 v8, v6, v9
	v_cndmask_b32_e64 v7, 0, 1, vcc_lo
	s_delay_alu instid0(VALU_DEP_1) | instskip(SKIP_1) | instid1(VALU_DEP_1)
	v_lshlrev_b32_e32 v10, 3, v7
	v_add_nc_u32_e32 v7, 4, v1
	v_cmp_lt_u32_e32 vcc_lo, v7, v12
	s_waitcnt lgkmcnt(0)
	v_add_f32_e32 v11, v9, v8
	v_add_lshl_u32 v8, v10, v1, 2
	s_delay_alu instid0(VALU_DEP_2) | instskip(SKIP_3) | instid1(VALU_DEP_1)
	v_cndmask_b32_e32 v11, v9, v11, vcc_lo
	v_cmp_gt_u32_e32 vcc_lo, 16, v1
	ds_bpermute_b32 v10, v8, v11
	v_cndmask_b32_e64 v9, 0, 1, vcc_lo
	v_lshlrev_b32_e32 v13, 4, v9
	v_add_nc_u32_e32 v9, 8, v1
	s_delay_alu instid0(VALU_DEP_1) | instskip(SKIP_3) | instid1(VALU_DEP_2)
	v_cmp_lt_u32_e32 vcc_lo, v9, v12
	s_waitcnt lgkmcnt(0)
	v_add_f32_e32 v14, v11, v10
	v_add_lshl_u32 v10, v13, v1, 2
	v_cndmask_b32_e32 v13, v11, v14, vcc_lo
	v_add_nc_u32_e32 v11, 16, v1
	ds_bpermute_b32 v14, v10, v13
	v_cmp_lt_u32_e32 vcc_lo, v11, v12
	s_waitcnt lgkmcnt(0)
	v_add_f32_e32 v14, v13, v14
	s_delay_alu instid0(VALU_DEP_1)
	v_cndmask_b32_e32 v12, v13, v14, vcc_lo
	v_cmpx_eq_u32_e32 0, v1
	s_cbranch_execz .LBB73_12
; %bb.11:
	v_lshrrev_b32_e32 v13, 3, v0
	s_delay_alu instid0(VALU_DEP_1)
	v_and_b32_e32 v13, 0x7c, v13
	ds_store_b32 v13, v12 offset:4096
.LBB73_12:
	s_or_b32 exec_lo, exec_lo, s15
	s_delay_alu instid0(SALU_CYCLE_1)
	s_mov_b32 s15, exec_lo
	s_waitcnt lgkmcnt(0)
	s_barrier
	buffer_gl0_inv
	v_cmpx_gt_u32_e32 32, v0
	s_cbranch_execz .LBB73_14
; %bb.13:
	v_lshlrev_b32_e32 v1, 2, v1
	s_add_i32 s3, s3, 31
	s_delay_alu instid0(SALU_CYCLE_1) | instskip(NEXT) | instid1(SALU_CYCLE_1)
	s_lshr_b32 s3, s3, 5
	v_cmp_gt_u32_e32 vcc_lo, s3, v3
	ds_load_b32 v1, v1 offset:4096
	s_waitcnt lgkmcnt(0)
	ds_bpermute_b32 v2, v2, v1
	s_waitcnt lgkmcnt(0)
	v_add_f32_e32 v2, v1, v2
	s_delay_alu instid0(VALU_DEP_1) | instskip(SKIP_4) | instid1(VALU_DEP_1)
	v_cndmask_b32_e32 v1, v1, v2, vcc_lo
	v_cmp_gt_u32_e32 vcc_lo, s3, v5
	ds_bpermute_b32 v2, v4, v1
	s_waitcnt lgkmcnt(0)
	v_add_f32_e32 v2, v1, v2
	v_cndmask_b32_e32 v1, v1, v2, vcc_lo
	v_cmp_gt_u32_e32 vcc_lo, s3, v7
	ds_bpermute_b32 v2, v6, v1
	s_waitcnt lgkmcnt(0)
	v_add_f32_e32 v2, v1, v2
	s_delay_alu instid0(VALU_DEP_1) | instskip(SKIP_4) | instid1(VALU_DEP_1)
	v_cndmask_b32_e32 v1, v1, v2, vcc_lo
	v_cmp_gt_u32_e32 vcc_lo, s3, v9
	ds_bpermute_b32 v2, v8, v1
	s_waitcnt lgkmcnt(0)
	v_add_f32_e32 v2, v1, v2
	v_cndmask_b32_e32 v1, v1, v2, vcc_lo
	v_cmp_gt_u32_e32 vcc_lo, s3, v11
	ds_bpermute_b32 v2, v10, v1
	s_waitcnt lgkmcnt(0)
	v_add_f32_e32 v2, v1, v2
	s_delay_alu instid0(VALU_DEP_1)
	v_cndmask_b32_e32 v12, v1, v2, vcc_lo
.LBB73_14:
	s_or_b32 exec_lo, exec_lo, s15
	s_delay_alu instid0(SALU_CYCLE_1)
	s_mov_b32 s3, exec_lo
	v_cmpx_eq_u32_e32 0, v0
	s_cbranch_execz .LBB73_16
; %bb.15:
	v_cvt_f32_i32_e32 v1, s13
	s_delay_alu instid0(VALU_DEP_1) | instskip(SKIP_1) | instid1(VALU_DEP_2)
	v_div_scale_f32 v2, null, v1, v1, v12
	v_div_scale_f32 v5, vcc_lo, v12, v1, v12
	v_rcp_f32_e32 v3, v2
	s_waitcnt_depctr 0xfff
	v_fma_f32 v4, -v2, v3, 1.0
	s_delay_alu instid0(VALU_DEP_1) | instskip(NEXT) | instid1(VALU_DEP_1)
	v_fmac_f32_e32 v3, v4, v3
	v_mul_f32_e32 v4, v5, v3
	s_delay_alu instid0(VALU_DEP_1) | instskip(NEXT) | instid1(VALU_DEP_1)
	v_fma_f32 v6, -v2, v4, v5
	v_fmac_f32_e32 v4, v6, v3
	s_delay_alu instid0(VALU_DEP_1) | instskip(NEXT) | instid1(VALU_DEP_1)
	v_fma_f32 v2, -v2, v4, v5
	v_div_fmas_f32 v2, v2, v3, v4
	s_delay_alu instid0(VALU_DEP_1) | instskip(NEXT) | instid1(VALU_DEP_1)
	v_div_fixup_f32 v1, v2, v1, v12
	v_add_f32_e32 v1, s12, v1
	s_delay_alu instid0(VALU_DEP_1) | instskip(SKIP_1) | instid1(VALU_DEP_2)
	v_mul_f32_e32 v2, 0x4b800000, v1
	v_cmp_gt_f32_e32 vcc_lo, 0x800000, v1
	v_cndmask_b32_e32 v1, v1, v2, vcc_lo
	s_delay_alu instid0(VALU_DEP_1) | instskip(SKIP_2) | instid1(VALU_DEP_1)
	v_rsq_f32_e32 v1, v1
	s_waitcnt_depctr 0xfff
	v_mul_f32_e32 v2, 0x45800000, v1
	v_dual_cndmask_b32 v1, v1, v2 :: v_dual_mov_b32 v2, 0
	ds_store_b32 v2, v1 offset:4224
.LBB73_16:
	s_or_b32 exec_lo, exec_lo, s3
	s_ashr_i32 s19, s13, 31
	v_mov_b32_e32 v4, 0
	s_lshr_b32 s3, s19, 25
	s_waitcnt lgkmcnt(0)
	s_add_i32 s3, s13, s3
	s_barrier
	s_ashr_i32 s12, s3, 7
	s_cmp_lt_u32 s16, s29
	buffer_gl0_inv
	s_cselect_b32 s13, 12, 18
	ds_load_b32 v28, v4 offset:4224
	s_add_u32 s20, s20, s13
	s_addc_u32 s21, s21, 0
	s_abs_i32 s13, s12
	global_load_u16 v1, v4, s[20:21]
	v_cvt_f32_u32_e32 v2, s13
	s_sub_i32 s20, 0, s13
	s_ashr_i32 s3, s3, 31
	s_delay_alu instid0(VALU_DEP_1) | instskip(SKIP_2) | instid1(VALU_DEP_1)
	v_rcp_iflag_f32_e32 v2, v2
	s_waitcnt_depctr 0xfff
	v_mul_f32_e32 v2, 0x4f7ffffe, v2
	v_cvt_u32_f32_e32 v2, v2
	s_delay_alu instid0(VALU_DEP_1) | instskip(NEXT) | instid1(VALU_DEP_1)
	v_readfirstlane_b32 s15, v2
	s_mul_i32 s20, s20, s15
	s_delay_alu instid0(SALU_CYCLE_1) | instskip(NEXT) | instid1(SALU_CYCLE_1)
	s_mul_hi_u32 s20, s15, s20
	s_add_i32 s15, s15, s20
	s_waitcnt vmcnt(0)
	v_readfirstlane_b32 s28, v1
	s_delay_alu instid0(VALU_DEP_1) | instskip(NEXT) | instid1(SALU_CYCLE_1)
	s_mul_hi_u32 s15, s28, s15
	s_mul_i32 s20, s15, s13
	s_add_i32 s21, s15, 1
	s_sub_i32 s20, s28, s20
	s_delay_alu instid0(SALU_CYCLE_1)
	s_sub_i32 s24, s20, s13
	s_cmp_ge_u32 s20, s13
	s_cselect_b32 s15, s21, s15
	s_cselect_b32 s20, s24, s20
	s_add_i32 s21, s15, 1
	s_cmp_ge_u32 s20, s13
	s_cselect_b32 s13, s21, s15
	s_ashr_i32 s15, s14, 31
	s_xor_b32 s13, s13, s3
	s_delay_alu instid0(SALU_CYCLE_1) | instskip(NEXT) | instid1(SALU_CYCLE_1)
	s_sub_i32 s20, s13, s3
	s_abs_i32 s3, s20
	s_ashr_i32 s21, s20, 31
	v_cvt_f32_u32_e32 v1, s3
	s_sub_i32 s13, 0, s3
	s_delay_alu instid0(VALU_DEP_1) | instskip(SKIP_2) | instid1(VALU_DEP_1)
	v_rcp_iflag_f32_e32 v1, v1
	s_waitcnt_depctr 0xfff
	v_mul_f32_e32 v1, 0x4f7ffffe, v1
	v_cvt_u32_f32_e32 v1, v1
	s_delay_alu instid0(VALU_DEP_1) | instskip(SKIP_1) | instid1(VALU_DEP_1)
	v_mul_lo_u32 v2, s13, v1
	s_mov_b32 s13, exec_lo
	v_mul_hi_u32 v2, v1, v2
	s_delay_alu instid0(VALU_DEP_1) | instskip(NEXT) | instid1(VALU_DEP_1)
	v_add_nc_u32_e32 v1, v1, v2
	v_mul_hi_u32 v1, v0, v1
	s_delay_alu instid0(VALU_DEP_1) | instskip(SKIP_1) | instid1(VALU_DEP_2)
	v_mul_lo_u32 v2, v1, s3
	v_add_nc_u32_e32 v3, 1, v1
	v_sub_nc_u32_e32 v2, v0, v2
	s_delay_alu instid0(VALU_DEP_1) | instskip(SKIP_1) | instid1(VALU_DEP_2)
	v_subrev_nc_u32_e32 v5, s3, v2
	v_cmp_le_u32_e32 vcc_lo, s3, v2
	v_dual_cndmask_b32 v2, v2, v5 :: v_dual_cndmask_b32 v1, v1, v3
	s_delay_alu instid0(VALU_DEP_1) | instskip(NEXT) | instid1(VALU_DEP_2)
	v_cmp_le_u32_e32 vcc_lo, s3, v2
	v_add_nc_u32_e32 v3, 1, v1
	s_delay_alu instid0(VALU_DEP_1) | instskip(NEXT) | instid1(VALU_DEP_1)
	v_cndmask_b32_e32 v1, v1, v3, vcc_lo
	v_xor_b32_e32 v1, s21, v1
	s_delay_alu instid0(VALU_DEP_1) | instskip(NEXT) | instid1(VALU_DEP_1)
	v_subrev_nc_u32_e32 v1, s21, v1
	v_ashrrev_i32_e32 v2, 31, v1
	v_mul_lo_u32 v3, v1, s20
	s_delay_alu instid0(VALU_DEP_2) | instskip(NEXT) | instid1(VALU_DEP_2)
	v_lshlrev_b64 v[7:8], 5, v[1:2]
	v_sub_nc_u32_e32 v3, v0, v3
	s_delay_alu instid0(VALU_DEP_2) | instskip(NEXT) | instid1(VALU_DEP_3)
	v_add_co_u32 v5, vcc_lo, v7, 32
	v_add_co_ci_u32_e32 v6, vcc_lo, 0, v8, vcc_lo
	s_delay_alu instid0(VALU_DEP_1) | instskip(SKIP_4) | instid1(VALU_DEP_3)
	v_cmp_gt_i64_e32 vcc_lo, s[14:15], v[5:6]
	v_cndmask_b32_e32 v6, s15, v6, vcc_lo
	v_cndmask_b32_e32 v5, s14, v5, vcc_lo
	v_add_co_u32 v7, vcc_lo, v7, v3
	v_add_co_ci_u32_e32 v8, vcc_lo, 0, v8, vcc_lo
	v_ashrrev_i32_e32 v10, 31, v5
	v_mov_b32_e32 v9, v5
	s_delay_alu instid0(VALU_DEP_1)
	v_cmpx_lt_i64_e64 v[7:8], v[9:10]
	s_cbranch_execz .LBB73_26
; %bb.17:
	v_lshlrev_b64 v[13:14], 8, v[1:2]
	v_lshlrev_b64 v[11:12], 3, v[3:4]
	s_mul_i32 s3, s20, 24
	s_mul_hi_i32 s15, s20, 24
	s_add_u32 s24, s8, s3
	s_delay_alu instid0(VALU_DEP_2) | instskip(SKIP_2) | instid1(VALU_DEP_2)
	v_add_co_u32 v4, vcc_lo, s22, v13
	v_add_co_ci_u32_e32 v15, vcc_lo, s23, v14, vcc_lo
	s_addc_u32 s22, s9, s15
	v_add_co_u32 v17, vcc_lo, s24, v4
	s_lshl_b64 s[24:25], s[20:21], 4
	s_delay_alu instid0(VALU_DEP_2)
	v_add_co_ci_u32_e32 v18, vcc_lo, s22, v15, vcc_lo
	s_lshl_b64 s[22:23], s[20:21], 5
	s_add_u32 s33, s8, s24
	s_addc_u32 s34, s9, s25
	s_lshl_b64 s[30:31], s[20:21], 3
	v_add_co_u32 v19, vcc_lo, s33, v4
	s_add_u32 s33, s8, s30
	v_add_co_ci_u32_e32 v20, vcc_lo, s34, v15, vcc_lo
	s_addc_u32 s34, s9, s31
	v_add_co_u32 v21, vcc_lo, s33, v4
	v_add_co_ci_u32_e32 v22, vcc_lo, s34, v15, vcc_lo
	v_add_co_u32 v23, vcc_lo, s8, v4
	s_add_u32 s3, s10, s3
	v_add_co_ci_u32_e32 v24, vcc_lo, s9, v15, vcc_lo
	s_addc_u32 s8, s11, s15
	v_add_co_u32 v25, vcc_lo, s3, v13
	s_add_u32 s3, s10, s24
	v_add_co_ci_u32_e32 v26, vcc_lo, s8, v14, vcc_lo
	s_addc_u32 s8, s11, s25
	;; [unrolled: 4-line block ×3, first 2 shown]
	v_add_co_u32 v30, vcc_lo, s3, v13
	v_add_co_ci_u32_e32 v31, vcc_lo, s8, v14, vcc_lo
	v_add_co_u32 v32, vcc_lo, s10, v13
	v_add_co_ci_u32_e32 v33, vcc_lo, s11, v14, vcc_lo
	v_mov_b32_e32 v14, v8
	v_dual_mov_b32 v4, 0 :: v_dual_mov_b32 v13, v7
	s_mul_hi_i32 s15, s20, 3
	s_mul_i32 s24, s20, 3
	s_lshl_b64 s[8:9], s[20:21], 1
	s_mov_b32 s25, 0
                                        ; implicit-def: $sgpr30
	s_branch .LBB73_21
.LBB73_18:                              ;   in Loop: Header=BB73_21 Depth=1
	s_or_b32 exec_lo, exec_lo, s34
	s_delay_alu instid0(SALU_CYCLE_1)
	s_or_not1_b32 s3, s3, exec_lo
.LBB73_19:                              ;   in Loop: Header=BB73_21 Depth=1
	s_or_b32 exec_lo, exec_lo, s33
	s_delay_alu instid0(SALU_CYCLE_1) | instskip(SKIP_1) | instid1(SALU_CYCLE_1)
	s_and_not1_b32 s30, s30, exec_lo
	s_and_b32 s3, s3, exec_lo
	s_or_b32 s30, s30, s3
.LBB73_20:                              ;   in Loop: Header=BB73_21 Depth=1
	s_or_b32 exec_lo, exec_lo, s31
	s_delay_alu instid0(SALU_CYCLE_1) | instskip(NEXT) | instid1(SALU_CYCLE_1)
	s_and_b32 s3, exec_lo, s30
	s_or_b32 s25, s3, s25
	s_delay_alu instid0(SALU_CYCLE_1)
	s_and_not1_b32 exec_lo, exec_lo, s25
	s_cbranch_execz .LBB73_25
.LBB73_21:                              ; =>This Inner Loop Header: Depth=1
	v_add_co_u32 v15, vcc_lo, v23, v11
	v_add_co_ci_u32_e32 v16, vcc_lo, v24, v12, vcc_lo
	v_add_co_u32 v34, vcc_lo, v32, v11
	v_add_co_ci_u32_e32 v35, vcc_lo, v33, v12, vcc_lo
	s_or_b32 s30, s30, exec_lo
	global_load_b64 v[15:16], v[15:16], off
	global_load_b64 v[34:35], v[34:35], off
	s_mov_b32 s31, exec_lo
	s_waitcnt vmcnt(1)
	v_lshlrev_b32_e32 v37, 16, v15
	v_and_b32_e32 v36, 0xffff0000, v15
	v_alignbit_b32 v15, v16, v15, 16
	s_waitcnt vmcnt(0)
	v_lshlrev_b32_e32 v39, 16, v34
	s_waitcnt lgkmcnt(0)
	v_mul_f32_e32 v37, v28, v37
	v_mul_f32_e32 v36, v28, v36
	s_delay_alu instid0(VALU_DEP_2) | instskip(NEXT) | instid1(VALU_DEP_2)
	v_bfe_u32 v40, v37, 16, 1
	v_bfe_u32 v41, v36, 16, 1
	v_cmp_o_f32_e32 vcc_lo, v37, v37
	s_delay_alu instid0(VALU_DEP_3) | instskip(NEXT) | instid1(VALU_DEP_3)
	v_add3_u32 v40, v37, v40, 0x7fff
	v_add3_u32 v41, v36, v41, 0x7fff
	s_delay_alu instid0(VALU_DEP_2) | instskip(NEXT) | instid1(VALU_DEP_2)
	v_and_b32_e32 v40, 0xffff0000, v40
	v_and_b32_e32 v41, 0xffff0000, v41
	s_delay_alu instid0(VALU_DEP_2) | instskip(SKIP_2) | instid1(VALU_DEP_2)
	v_cndmask_b32_e32 v37, 0x7fc00000, v40, vcc_lo
	v_and_b32_e32 v16, 0xffff0000, v16
	v_cmp_o_f32_e32 vcc_lo, v36, v36
	v_dual_mul_f32 v37, v37, v39 :: v_dual_mul_f32 v16, v28, v16
	v_cndmask_b32_e32 v36, 0x7fc00000, v41, vcc_lo
	v_and_b32_e32 v15, 0xffff0000, v15
	v_and_b32_e32 v38, 0xffff0000, v34
	v_alignbit_b32 v34, v35, v34, 16
	v_bfe_u32 v42, v16, 16, 1
	v_cmp_o_f32_e32 vcc_lo, v16, v16
	v_mul_f32_e32 v15, v28, v15
	v_mul_f32_e32 v36, v36, v38
	v_bfe_u32 v38, v37, 16, 1
	v_add3_u32 v42, v16, v42, 0x7fff
	s_delay_alu instid0(VALU_DEP_4) | instskip(NEXT) | instid1(VALU_DEP_2)
	v_bfe_u32 v43, v15, 16, 1
	v_and_b32_e32 v42, 0xffff0000, v42
	s_delay_alu instid0(VALU_DEP_2) | instskip(NEXT) | instid1(VALU_DEP_2)
	v_add3_u32 v43, v15, v43, 0x7fff
	v_cndmask_b32_e32 v16, 0x7fc00000, v42, vcc_lo
	v_cmp_o_f32_e32 vcc_lo, v15, v15
	s_delay_alu instid0(VALU_DEP_3) | instskip(SKIP_1) | instid1(VALU_DEP_2)
	v_and_b32_e32 v40, 0xffff0000, v43
	v_and_b32_e32 v34, 0xffff0000, v34
	v_cndmask_b32_e32 v15, 0x7fc00000, v40, vcc_lo
	v_and_b32_e32 v35, 0xffff0000, v35
	v_cmp_o_f32_e32 vcc_lo, v37, v37
	s_delay_alu instid0(VALU_DEP_2) | instskip(SKIP_2) | instid1(VALU_DEP_3)
	v_dual_mul_f32 v34, v15, v34 :: v_dual_mul_f32 v35, v16, v35
	v_bfe_u32 v16, v36, 16, 1
	v_add3_u32 v15, v37, v38, 0x7fff
	v_bfe_u32 v39, v34, 16, 1
	s_delay_alu instid0(VALU_DEP_4) | instskip(NEXT) | instid1(VALU_DEP_4)
	v_bfe_u32 v38, v35, 16, 1
	v_add3_u32 v16, v36, v16, 0x7fff
	s_delay_alu instid0(VALU_DEP_4) | instskip(NEXT) | instid1(VALU_DEP_4)
	v_and_b32_e32 v15, 0xffff0000, v15
	v_add3_u32 v39, v34, v39, 0x7fff
	s_delay_alu instid0(VALU_DEP_4) | instskip(NEXT) | instid1(VALU_DEP_4)
	v_add3_u32 v38, v35, v38, 0x7fff
	v_and_b32_e32 v16, 0xffff0000, v16
	s_delay_alu instid0(VALU_DEP_4)
	v_cndmask_b32_e64 v37, 0x7fc00000, |v15|, vcc_lo
	v_cmp_o_f32_e32 vcc_lo, v36, v36
	v_and_b32_e32 v39, 0xffff0000, v39
	v_and_b32_e32 v38, 0xffff0000, v38
	v_cndmask_b32_e64 v36, 0x7fc00000, |v16|, vcc_lo
	v_add_co_u32 v15, vcc_lo, v13, s20
	v_add_co_ci_u32_e32 v16, vcc_lo, s21, v14, vcc_lo
	v_cmp_o_f32_e32 vcc_lo, v34, v34
	s_delay_alu instid0(VALU_DEP_4) | instskip(SKIP_3) | instid1(VALU_DEP_1)
	v_max3_f32 v4, v4, v37, v36
	v_cndmask_b32_e64 v34, 0x7fc00000, |v39|, vcc_lo
	v_cmp_o_f32_e32 vcc_lo, v35, v35
	v_cndmask_b32_e64 v35, 0x7fc00000, |v38|, vcc_lo
	v_max3_f32 v4, v4, v34, v35
	v_cmpx_lt_i64_e64 v[15:16], v[9:10]
	s_cbranch_execz .LBB73_20
; %bb.22:                               ;   in Loop: Header=BB73_21 Depth=1
	v_add_co_u32 v34, vcc_lo, v21, v11
	v_add_co_ci_u32_e32 v35, vcc_lo, v22, v12, vcc_lo
	v_add_co_u32 v36, vcc_lo, v30, v11
	v_add_co_ci_u32_e32 v37, vcc_lo, v31, v12, vcc_lo
	s_mov_b32 s3, -1
	global_load_b64 v[34:35], v[34:35], off
	global_load_b64 v[36:37], v[36:37], off
	s_mov_b32 s33, exec_lo
	s_waitcnt vmcnt(1)
	v_lshlrev_b32_e32 v39, 16, v34
	v_and_b32_e32 v38, 0xffff0000, v34
	v_alignbit_b32 v34, v35, v34, 16
	s_delay_alu instid0(VALU_DEP_3) | instskip(NEXT) | instid1(VALU_DEP_3)
	v_mul_f32_e32 v39, v28, v39
	v_dual_mul_f32 v38, v28, v38 :: v_dual_and_b32 v35, 0xffff0000, v35
	s_waitcnt vmcnt(0)
	v_and_b32_e32 v40, 0xffff0000, v36
	s_delay_alu instid0(VALU_DEP_3) | instskip(NEXT) | instid1(VALU_DEP_3)
	v_bfe_u32 v42, v39, 16, 1
	v_mul_f32_e32 v35, v28, v35
	v_cmp_o_f32_e32 vcc_lo, v39, v39
	v_bfe_u32 v43, v38, 16, 1
	s_delay_alu instid0(VALU_DEP_4) | instskip(NEXT) | instid1(VALU_DEP_4)
	v_add3_u32 v42, v39, v42, 0x7fff
	v_bfe_u32 v44, v35, 16, 1
	s_delay_alu instid0(VALU_DEP_3) | instskip(NEXT) | instid1(VALU_DEP_3)
	v_add3_u32 v43, v38, v43, 0x7fff
	v_and_b32_e32 v42, 0xffff0000, v42
	s_delay_alu instid0(VALU_DEP_3) | instskip(NEXT) | instid1(VALU_DEP_3)
	v_add3_u32 v44, v35, v44, 0x7fff
	v_and_b32_e32 v43, 0xffff0000, v43
	s_delay_alu instid0(VALU_DEP_3)
	v_cndmask_b32_e32 v39, 0x7fc00000, v42, vcc_lo
	v_and_b32_e32 v34, 0xffff0000, v34
	v_lshlrev_b32_e32 v41, 16, v36
	v_cmp_o_f32_e32 vcc_lo, v38, v38
	v_and_b32_e32 v44, 0xffff0000, v44
	v_alignbit_b32 v36, v37, v36, 16
	s_delay_alu instid0(VALU_DEP_4) | instskip(SKIP_3) | instid1(VALU_DEP_4)
	v_dual_mul_f32 v34, v28, v34 :: v_dual_mul_f32 v39, v39, v41
	v_cndmask_b32_e32 v38, 0x7fc00000, v43, vcc_lo
	v_cmp_o_f32_e32 vcc_lo, v35, v35
	v_and_b32_e32 v37, 0xffff0000, v37
	v_bfe_u32 v45, v34, 16, 1
	s_delay_alu instid0(VALU_DEP_4) | instskip(SKIP_2) | instid1(VALU_DEP_4)
	v_mul_f32_e32 v38, v38, v40
	v_cndmask_b32_e32 v35, 0x7fc00000, v44, vcc_lo
	v_cmp_o_f32_e32 vcc_lo, v34, v34
	v_add3_u32 v45, v34, v45, 0x7fff
	v_and_b32_e32 v36, 0xffff0000, v36
	v_bfe_u32 v40, v39, 16, 1
	v_mul_f32_e32 v37, v35, v37
	v_bfe_u32 v35, v38, 16, 1
	v_and_b32_e32 v42, 0xffff0000, v45
	s_delay_alu instid0(VALU_DEP_2) | instskip(NEXT) | instid1(VALU_DEP_2)
	v_add3_u32 v35, v38, v35, 0x7fff
	v_cndmask_b32_e32 v34, 0x7fc00000, v42, vcc_lo
	v_cmp_o_f32_e32 vcc_lo, v39, v39
	s_delay_alu instid0(VALU_DEP_2) | instskip(SKIP_2) | instid1(VALU_DEP_3)
	v_dual_mul_f32 v36, v34, v36 :: v_dual_and_b32 v35, 0xffff0000, v35
	v_add3_u32 v34, v39, v40, 0x7fff
	v_bfe_u32 v40, v37, 16, 1
	v_bfe_u32 v41, v36, 16, 1
	s_delay_alu instid0(VALU_DEP_3) | instskip(NEXT) | instid1(VALU_DEP_3)
	v_and_b32_e32 v34, 0xffff0000, v34
	v_add3_u32 v40, v37, v40, 0x7fff
	s_delay_alu instid0(VALU_DEP_3) | instskip(NEXT) | instid1(VALU_DEP_3)
	v_add3_u32 v41, v36, v41, 0x7fff
	v_cndmask_b32_e64 v39, 0x7fc00000, |v34|, vcc_lo
	v_cmp_o_f32_e32 vcc_lo, v38, v38
	s_delay_alu instid0(VALU_DEP_4) | instskip(NEXT) | instid1(VALU_DEP_4)
	v_and_b32_e32 v40, 0xffff0000, v40
	v_and_b32_e32 v41, 0xffff0000, v41
	v_cndmask_b32_e64 v38, 0x7fc00000, |v35|, vcc_lo
	v_add_co_u32 v34, vcc_lo, s8, v13
	v_add_co_ci_u32_e32 v35, vcc_lo, s9, v14, vcc_lo
	v_cmp_o_f32_e32 vcc_lo, v36, v36
	s_delay_alu instid0(VALU_DEP_4) | instskip(SKIP_3) | instid1(VALU_DEP_1)
	v_max3_f32 v4, v4, v39, v38
	v_cndmask_b32_e64 v36, 0x7fc00000, |v41|, vcc_lo
	v_cmp_o_f32_e32 vcc_lo, v37, v37
	v_cndmask_b32_e64 v37, 0x7fc00000, |v40|, vcc_lo
	v_max3_f32 v4, v4, v36, v37
	v_cmpx_lt_i64_e64 v[34:35], v[9:10]
	s_cbranch_execz .LBB73_19
; %bb.23:                               ;   in Loop: Header=BB73_21 Depth=1
	v_add_co_u32 v34, vcc_lo, v19, v11
	v_add_co_ci_u32_e32 v35, vcc_lo, v20, v12, vcc_lo
	v_add_co_u32 v36, vcc_lo, v27, v11
	v_add_co_ci_u32_e32 v37, vcc_lo, v29, v12, vcc_lo
	global_load_b64 v[34:35], v[34:35], off
	global_load_b64 v[36:37], v[36:37], off
	s_waitcnt vmcnt(1)
	v_lshlrev_b32_e32 v39, 16, v34
	v_and_b32_e32 v38, 0xffff0000, v34
	v_alignbit_b32 v34, v35, v34, 16
	s_delay_alu instid0(VALU_DEP_3) | instskip(NEXT) | instid1(VALU_DEP_3)
	v_mul_f32_e32 v39, v28, v39
	v_dual_mul_f32 v38, v28, v38 :: v_dual_and_b32 v35, 0xffff0000, v35
	s_waitcnt vmcnt(0)
	v_and_b32_e32 v40, 0xffff0000, v36
	s_delay_alu instid0(VALU_DEP_3) | instskip(NEXT) | instid1(VALU_DEP_3)
	v_bfe_u32 v42, v39, 16, 1
	v_mul_f32_e32 v35, v28, v35
	v_cmp_o_f32_e32 vcc_lo, v39, v39
	v_bfe_u32 v43, v38, 16, 1
	s_delay_alu instid0(VALU_DEP_4) | instskip(NEXT) | instid1(VALU_DEP_4)
	v_add3_u32 v42, v39, v42, 0x7fff
	v_bfe_u32 v44, v35, 16, 1
	s_delay_alu instid0(VALU_DEP_3) | instskip(NEXT) | instid1(VALU_DEP_3)
	v_add3_u32 v43, v38, v43, 0x7fff
	v_and_b32_e32 v42, 0xffff0000, v42
	s_delay_alu instid0(VALU_DEP_3) | instskip(NEXT) | instid1(VALU_DEP_3)
	v_add3_u32 v44, v35, v44, 0x7fff
	v_and_b32_e32 v43, 0xffff0000, v43
	s_delay_alu instid0(VALU_DEP_3)
	v_cndmask_b32_e32 v39, 0x7fc00000, v42, vcc_lo
	v_and_b32_e32 v34, 0xffff0000, v34
	v_lshlrev_b32_e32 v41, 16, v36
	v_cmp_o_f32_e32 vcc_lo, v38, v38
	v_and_b32_e32 v44, 0xffff0000, v44
	v_alignbit_b32 v36, v37, v36, 16
	s_delay_alu instid0(VALU_DEP_4) | instskip(SKIP_3) | instid1(VALU_DEP_4)
	v_dual_mul_f32 v34, v28, v34 :: v_dual_mul_f32 v39, v39, v41
	v_cndmask_b32_e32 v38, 0x7fc00000, v43, vcc_lo
	v_cmp_o_f32_e32 vcc_lo, v35, v35
	v_and_b32_e32 v37, 0xffff0000, v37
	v_bfe_u32 v45, v34, 16, 1
	s_delay_alu instid0(VALU_DEP_4) | instskip(SKIP_2) | instid1(VALU_DEP_4)
	v_mul_f32_e32 v38, v38, v40
	v_cndmask_b32_e32 v35, 0x7fc00000, v44, vcc_lo
	v_cmp_o_f32_e32 vcc_lo, v34, v34
	v_add3_u32 v45, v34, v45, 0x7fff
	v_and_b32_e32 v36, 0xffff0000, v36
	v_bfe_u32 v40, v39, 16, 1
	v_mul_f32_e32 v35, v35, v37
	v_bfe_u32 v37, v38, 16, 1
	v_and_b32_e32 v42, 0xffff0000, v45
	s_delay_alu instid0(VALU_DEP_2) | instskip(NEXT) | instid1(VALU_DEP_2)
	v_add3_u32 v37, v38, v37, 0x7fff
	v_cndmask_b32_e32 v34, 0x7fc00000, v42, vcc_lo
	v_cmp_o_f32_e32 vcc_lo, v39, v39
	s_delay_alu instid0(VALU_DEP_2) | instskip(SKIP_2) | instid1(VALU_DEP_3)
	v_dual_mul_f32 v34, v34, v36 :: v_dual_and_b32 v37, 0xffff0000, v37
	v_add3_u32 v36, v39, v40, 0x7fff
	v_bfe_u32 v40, v35, 16, 1
	v_bfe_u32 v41, v34, 16, 1
	s_delay_alu instid0(VALU_DEP_3) | instskip(NEXT) | instid1(VALU_DEP_3)
	v_and_b32_e32 v36, 0xffff0000, v36
	v_add3_u32 v40, v35, v40, 0x7fff
	s_delay_alu instid0(VALU_DEP_3) | instskip(NEXT) | instid1(VALU_DEP_3)
	v_add3_u32 v41, v34, v41, 0x7fff
	v_cndmask_b32_e64 v36, 0x7fc00000, |v36|, vcc_lo
	v_cmp_o_f32_e32 vcc_lo, v38, v38
	s_delay_alu instid0(VALU_DEP_4) | instskip(NEXT) | instid1(VALU_DEP_4)
	v_and_b32_e32 v39, 0xffff0000, v40
	v_and_b32_e32 v38, 0xffff0000, v41
	v_cndmask_b32_e64 v37, 0x7fc00000, |v37|, vcc_lo
	v_add_co_u32 v13, vcc_lo, s24, v13
	v_add_co_ci_u32_e32 v14, vcc_lo, s15, v14, vcc_lo
	v_cmp_o_f32_e32 vcc_lo, v34, v34
	s_delay_alu instid0(VALU_DEP_4) | instskip(SKIP_4) | instid1(VALU_DEP_2)
	v_max3_f32 v4, v4, v36, v37
	v_cndmask_b32_e64 v34, 0x7fc00000, |v38|, vcc_lo
	v_cmp_o_f32_e32 vcc_lo, v35, v35
	v_cndmask_b32_e64 v35, 0x7fc00000, |v39|, vcc_lo
	v_cmp_lt_i64_e32 vcc_lo, v[13:14], v[9:10]
                                        ; implicit-def: $vgpr13_vgpr14
	v_max3_f32 v4, v4, v34, v35
	s_and_saveexec_b32 s34, vcc_lo
	s_delay_alu instid0(SALU_CYCLE_1)
	s_xor_b32 s34, exec_lo, s34
	s_cbranch_execz .LBB73_18
; %bb.24:                               ;   in Loop: Header=BB73_21 Depth=1
	v_add_co_u32 v13, vcc_lo, v17, v11
	v_add_co_ci_u32_e32 v14, vcc_lo, v18, v12, vcc_lo
	v_add_co_u32 v34, vcc_lo, v25, v11
	v_add_co_ci_u32_e32 v35, vcc_lo, v26, v12, vcc_lo
	v_add_co_u32 v17, vcc_lo, v17, s22
	global_load_b64 v[13:14], v[13:14], off
	global_load_b64 v[34:35], v[34:35], off
	v_add_co_ci_u32_e32 v18, vcc_lo, s23, v18, vcc_lo
	v_add_co_u32 v19, vcc_lo, v19, s22
	v_add_co_ci_u32_e32 v20, vcc_lo, s23, v20, vcc_lo
	v_add_co_u32 v21, vcc_lo, v21, s22
	v_add_co_ci_u32_e32 v22, vcc_lo, s23, v22, vcc_lo
	v_add_co_u32 v23, vcc_lo, v23, s22
	v_add_co_ci_u32_e32 v24, vcc_lo, s23, v24, vcc_lo
	v_add_co_u32 v25, vcc_lo, v25, s22
	v_add_co_ci_u32_e32 v26, vcc_lo, s23, v26, vcc_lo
	v_add_co_u32 v27, vcc_lo, v27, s22
	v_add_co_ci_u32_e32 v29, vcc_lo, s23, v29, vcc_lo
	s_add_u32 s3, s20, s20
	s_addc_u32 s35, s21, s21
	s_add_u32 s3, s3, s20
	s_addc_u32 s35, s35, s21
	s_waitcnt vmcnt(1)
	v_lshlrev_b32_e32 v37, 16, v13
	s_waitcnt vmcnt(0)
	v_and_b32_e32 v38, 0xffff0000, v34
	v_lshlrev_b32_e32 v39, 16, v34
	v_alignbit_b32 v34, v35, v34, 16
	v_mul_f32_e32 v37, v28, v37
	s_delay_alu instid0(VALU_DEP_1) | instskip(SKIP_1) | instid1(VALU_DEP_2)
	v_bfe_u32 v40, v37, 16, 1
	v_cmp_o_f32_e32 vcc_lo, v37, v37
	v_add3_u32 v40, v37, v40, 0x7fff
	s_delay_alu instid0(VALU_DEP_1) | instskip(NEXT) | instid1(VALU_DEP_1)
	v_and_b32_e32 v40, 0xffff0000, v40
	v_cndmask_b32_e32 v37, 0x7fc00000, v40, vcc_lo
	v_and_b32_e32 v36, 0xffff0000, v13
	v_alignbit_b32 v13, v14, v13, 16
	s_delay_alu instid0(VALU_DEP_2) | instskip(NEXT) | instid1(VALU_DEP_2)
	v_dual_mul_f32 v37, v37, v39 :: v_dual_mul_f32 v36, v28, v36
	v_and_b32_e32 v13, 0xffff0000, v13
	v_and_b32_e32 v14, 0xffff0000, v14
	s_delay_alu instid0(VALU_DEP_3) | instskip(NEXT) | instid1(VALU_DEP_3)
	v_bfe_u32 v41, v36, 16, 1
	v_mul_f32_e32 v13, v28, v13
	s_delay_alu instid0(VALU_DEP_3) | instskip(SKIP_1) | instid1(VALU_DEP_4)
	v_mul_f32_e32 v14, v28, v14
	v_cmp_o_f32_e32 vcc_lo, v36, v36
	v_add3_u32 v41, v36, v41, 0x7fff
	s_delay_alu instid0(VALU_DEP_4) | instskip(NEXT) | instid1(VALU_DEP_4)
	v_bfe_u32 v43, v13, 16, 1
	v_bfe_u32 v42, v14, 16, 1
	s_delay_alu instid0(VALU_DEP_3) | instskip(NEXT) | instid1(VALU_DEP_3)
	v_and_b32_e32 v41, 0xffff0000, v41
	v_add3_u32 v43, v13, v43, 0x7fff
	s_delay_alu instid0(VALU_DEP_3) | instskip(NEXT) | instid1(VALU_DEP_3)
	v_add3_u32 v42, v14, v42, 0x7fff
	v_cndmask_b32_e32 v36, 0x7fc00000, v41, vcc_lo
	v_cmp_o_f32_e32 vcc_lo, v14, v14
	s_delay_alu instid0(VALU_DEP_3) | instskip(SKIP_3) | instid1(VALU_DEP_4)
	v_and_b32_e32 v42, 0xffff0000, v42
	v_and_b32_e32 v35, 0xffff0000, v35
	;; [unrolled: 1-line block ×3, first 2 shown]
	v_mul_f32_e32 v36, v36, v38
	v_cndmask_b32_e32 v14, 0x7fc00000, v42, vcc_lo
	v_and_b32_e32 v34, 0xffff0000, v34
	v_cmp_o_f32_e32 vcc_lo, v13, v13
	s_delay_alu instid0(VALU_DEP_4) | instskip(NEXT) | instid1(VALU_DEP_4)
	v_bfe_u32 v38, v36, 16, 1
	v_mul_f32_e32 v35, v14, v35
	v_bfe_u32 v14, v37, 16, 1
	v_cndmask_b32_e32 v13, 0x7fc00000, v40, vcc_lo
	s_delay_alu instid0(VALU_DEP_4) | instskip(SKIP_1) | instid1(VALU_DEP_4)
	v_add3_u32 v38, v36, v38, 0x7fff
	v_cmp_o_f32_e32 vcc_lo, v37, v37
	v_add3_u32 v14, v37, v14, 0x7fff
	s_delay_alu instid0(VALU_DEP_4) | instskip(SKIP_2) | instid1(VALU_DEP_4)
	v_mul_f32_e32 v34, v13, v34
	v_bfe_u32 v13, v35, 16, 1
	v_and_b32_e32 v38, 0xffff0000, v38
	v_and_b32_e32 v14, 0xffff0000, v14
	s_delay_alu instid0(VALU_DEP_4) | instskip(NEXT) | instid1(VALU_DEP_4)
	v_bfe_u32 v39, v34, 16, 1
	v_add3_u32 v13, v35, v13, 0x7fff
	s_delay_alu instid0(VALU_DEP_3) | instskip(SKIP_1) | instid1(VALU_DEP_3)
	v_cndmask_b32_e64 v37, 0x7fc00000, |v14|, vcc_lo
	v_cmp_o_f32_e32 vcc_lo, v36, v36
	v_and_b32_e32 v40, 0xffff0000, v13
	v_add3_u32 v39, v34, v39, 0x7fff
	v_cndmask_b32_e64 v36, 0x7fc00000, |v38|, vcc_lo
	v_add_co_u32 v13, vcc_lo, s3, v15
	v_add_co_ci_u32_e32 v14, vcc_lo, s35, v16, vcc_lo
	v_cmp_o_f32_e32 vcc_lo, v35, v35
	v_and_b32_e32 v15, 0xffff0000, v39
	v_max3_f32 v4, v4, v37, v36
	v_add_co_u32 v32, s3, v32, s22
	v_cndmask_b32_e64 v16, 0x7fc00000, |v40|, vcc_lo
	v_cmp_o_f32_e32 vcc_lo, v34, v34
	v_add_co_ci_u32_e64 v33, s3, s23, v33, s3
	v_cndmask_b32_e64 v15, 0x7fc00000, |v15|, vcc_lo
	v_add_co_u32 v30, vcc_lo, v30, s22
	v_add_co_ci_u32_e32 v31, vcc_lo, s23, v31, vcc_lo
	v_cmp_ge_i64_e32 vcc_lo, v[13:14], v[9:10]
	s_delay_alu instid0(VALU_DEP_4)
	v_max3_f32 v4, v4, v15, v16
	s_or_not1_b32 s3, vcc_lo, exec_lo
	s_branch .LBB73_18
.LBB73_25:
	s_or_b32 exec_lo, exec_lo, s25
.LBB73_26:
	s_delay_alu instid0(SALU_CYCLE_1)
	s_or_b32 exec_lo, exec_lo, s13
	s_lshr_b32 s15, s28, 5
	v_lshlrev_b32_e32 v29, 2, v0
	v_cvt_f32_u32_e32 v9, s15
	s_sub_i32 s8, 0, s15
	s_add_i32 s9, s12, s15
	s_delay_alu instid0(SALU_CYCLE_1) | instskip(NEXT) | instid1(VALU_DEP_1)
	s_add_i32 s9, s9, -1
	v_rcp_iflag_f32_e32 v9, v9
	s_abs_i32 s13, s9
	s_ashr_i32 s9, s9, 31
	ds_store_b32 v29, v4
	s_waitcnt lgkmcnt(0)
	s_barrier
	buffer_gl0_inv
	v_mul_f32_e32 v9, 0x4f7ffffe, v9
	s_delay_alu instid0(VALU_DEP_1) | instskip(NEXT) | instid1(VALU_DEP_1)
	v_cvt_u32_f32_e32 v9, v9
	v_readfirstlane_b32 s3, v9
	s_delay_alu instid0(VALU_DEP_1) | instskip(NEXT) | instid1(SALU_CYCLE_1)
	s_mul_i32 s8, s8, s3
	s_mul_hi_u32 s8, s3, s8
	s_delay_alu instid0(SALU_CYCLE_1) | instskip(NEXT) | instid1(SALU_CYCLE_1)
	s_add_i32 s3, s3, s8
	s_mul_hi_u32 s3, s13, s3
	s_delay_alu instid0(SALU_CYCLE_1) | instskip(NEXT) | instid1(SALU_CYCLE_1)
	s_mul_i32 s8, s3, s15
	s_sub_i32 s8, s13, s8
	s_add_i32 s13, s3, 1
	s_sub_i32 s22, s8, s15
	s_cmp_ge_u32 s8, s15
	s_cselect_b32 s3, s13, s3
	s_cselect_b32 s8, s22, s8
	s_add_i32 s13, s3, 1
	s_cmp_ge_u32 s8, s15
	s_cselect_b32 s3, s13, s3
	s_delay_alu instid0(SALU_CYCLE_1) | instskip(NEXT) | instid1(SALU_CYCLE_1)
	s_xor_b32 s3, s3, s9
	s_sub_i32 s8, s3, s9
	s_delay_alu instid0(SALU_CYCLE_1) | instskip(NEXT) | instid1(SALU_CYCLE_1)
	s_ashr_i32 s9, s8, 31
	v_cmp_lt_i64_e64 s3, s[8:9], 1
	s_delay_alu instid0(VALU_DEP_1)
	s_and_b32 vcc_lo, exec_lo, s3
	s_cbranch_vccnz .LBB73_46
; %bb.27:
	v_lshrrev_b32_e32 v9, 5, v0
	v_and_b32_e32 v4, 31, v0
	s_ashr_i32 s13, s12, 31
	s_mov_b64 s[22:23], 0
	s_mov_b64 s[24:25], src_shared_base
	v_mul_lo_u32 v19, s20, v9
	v_add_co_u32 v11, s3, v4, 16
	s_delay_alu instid0(VALU_DEP_1) | instskip(SKIP_1) | instid1(VALU_DEP_1)
	v_add_co_ci_u32_e64 v12, null, 0, 0, s3
	v_add_co_u32 v13, s3, v4, 8
	v_add_co_ci_u32_e64 v14, null, 0, 0, s3
	v_add_co_u32 v15, s3, v4, 4
	v_dual_mov_b32 v10, 0 :: v_dual_lshlrev_b32 v21, 2, v19
	v_lshlrev_b32_e32 v22, 2, v4
	v_add_co_ci_u32_e64 v16, null, 0, 0, s3
	v_add_co_u32 v17, s3, v4, 2
	s_delay_alu instid0(VALU_DEP_1) | instskip(SKIP_1) | instid1(VALU_DEP_1)
	v_add_co_ci_u32_e64 v18, null, 0, 0, s3
	v_add_co_u32 v19, s3, v4, 1
	v_add_co_ci_u32_e64 v20, null, 0, 0, s3
	v_add3_u32 v30, v21, v22, 0x80
	s_mul_i32 s3, s20, s15
	s_delay_alu instid0(SALU_CYCLE_1)
	s_lshl_b32 s30, s3, 2
	s_branch .LBB73_30
.LBB73_28:                              ;   in Loop: Header=BB73_30 Depth=1
	s_or_b32 exec_lo, exec_lo, s3
	v_mov_b32_e32 v22, s25
	flat_load_b32 v21, v[21:22] glc dlc
	s_waitcnt vmcnt(0)
.LBB73_29:                              ;   in Loop: Header=BB73_30 Depth=1
	s_or_b32 exec_lo, exec_lo, s24
	s_add_u32 s22, s22, 1
	v_add_nc_u32_e32 v30, s30, v30
	s_addc_u32 s23, s23, 0
	s_delay_alu instid0(SALU_CYCLE_1)
	s_cmp_eq_u64 s[22:23], s[8:9]
	s_cbranch_scc1 .LBB73_46
.LBB73_30:                              ; =>This Loop Header: Depth=1
                                        ;     Child Loop BB73_33 Depth 2
	s_waitcnt lgkmcnt(0)
	v_mad_u64_u32 v[21:22], null, s22, s15, v[9:10]
	s_mov_b32 s24, exec_lo
	s_delay_alu instid0(VALU_DEP_1) | instskip(NEXT) | instid1(VALU_DEP_1)
	v_mad_u64_u32 v[23:24], null, s23, s15, v[22:23]
	v_mov_b32_e32 v22, v23
	s_delay_alu instid0(VALU_DEP_1)
	v_cmpx_gt_i64_e64 s[12:13], v[21:22]
	s_cbranch_execz .LBB73_29
; %bb.31:                               ;   in Loop: Header=BB73_30 Depth=1
	v_mul_lo_u32 v24, v22, s20
	v_mul_lo_u32 v25, v21, s21
	v_mad_u64_u32 v[22:23], null, v21, s20, 0
	s_delay_alu instid0(VALU_DEP_1) | instskip(NEXT) | instid1(VALU_DEP_2)
	v_add3_u32 v23, v23, v25, v24
	v_add_co_u32 v24, vcc_lo, v22, s20
	v_add_co_u32 v31, s3, v22, v4
	s_delay_alu instid0(VALU_DEP_3) | instskip(SKIP_2) | instid1(VALU_DEP_2)
	v_add_co_ci_u32_e32 v25, vcc_lo, s21, v23, vcc_lo
	v_add_co_ci_u32_e64 v21, s3, 0, v23, s3
	s_mov_b32 s3, exec_lo
	v_cmp_gt_i64_e32 vcc_lo, s[18:19], v[24:25]
	v_cndmask_b32_e32 v25, s19, v25, vcc_lo
	v_cndmask_b32_e32 v24, s18, v24, vcc_lo
	v_add_co_u32 v26, vcc_lo, v31, 32
	v_add_co_ci_u32_e32 v27, vcc_lo, 0, v21, vcc_lo
	v_lshlrev_b32_e32 v21, 2, v31
	s_delay_alu instid0(VALU_DEP_2)
	v_cmpx_lt_i64_e64 v[26:27], v[24:25]
	s_cbranch_execz .LBB73_34
; %bb.32:                               ;   in Loop: Header=BB73_30 Depth=1
	ds_load_b32 v33, v21
	v_mov_b32_e32 v32, v30
	s_mov_b32 s31, 0
.LBB73_33:                              ;   Parent Loop BB73_30 Depth=1
                                        ; =>  This Inner Loop Header: Depth=2
	ds_load_b32 v34, v32
	v_add_co_u32 v26, vcc_lo, v26, 32
	v_add_co_ci_u32_e32 v27, vcc_lo, 0, v27, vcc_lo
	s_waitcnt lgkmcnt(1)
	v_dual_max_f32 v33, v33, v33 :: v_dual_add_nc_u32 v32, 0x80, v32
	s_delay_alu instid0(VALU_DEP_2) | instskip(SKIP_3) | instid1(VALU_DEP_1)
	v_cmp_ge_i64_e32 vcc_lo, v[26:27], v[24:25]
	s_or_b32 s31, vcc_lo, s31
	s_waitcnt lgkmcnt(0)
	v_max_f32_e32 v34, v34, v34
	v_max_f32_e32 v33, v33, v34
	ds_store_b32 v21, v33
	s_and_not1_b32 exec_lo, exec_lo, s31
	s_cbranch_execnz .LBB73_33
.LBB73_34:                              ;   in Loop: Header=BB73_30 Depth=1
	s_or_b32 exec_lo, exec_lo, s3
	v_sub_co_u32 v22, vcc_lo, v24, v22
	v_sub_co_ci_u32_e32 v23, vcc_lo, v25, v23, vcc_lo
	s_mov_b32 s3, exec_lo
	s_delay_alu instid0(VALU_DEP_1) | instskip(SKIP_1) | instid1(VALU_DEP_1)
	v_cmp_gt_i64_e32 vcc_lo, 32, v[22:23]
	v_dual_cndmask_b32 v24, 0, v23 :: v_dual_cndmask_b32 v23, 32, v22
	v_cmpx_lt_i64_e64 v[11:12], v[23:24]
	s_cbranch_execz .LBB73_36
; %bb.35:                               ;   in Loop: Header=BB73_30 Depth=1
	v_dual_mov_b32 v22, s25 :: v_dual_add_nc_u32 v25, 64, v21
	v_mov_b32_e32 v26, s25
	flat_load_b32 v27, v[21:22] glc dlc
	s_waitcnt vmcnt(0)
	flat_load_b32 v25, v[25:26] glc dlc
	s_waitcnt vmcnt(0) lgkmcnt(0)
	v_dual_max_f32 v26, v27, v27 :: v_dual_max_f32 v25, v25, v25
	s_delay_alu instid0(VALU_DEP_1)
	v_max_f32_e32 v25, v26, v25
	flat_store_b32 v[21:22], v25 dlc
	s_waitcnt_vscnt null, 0x0
.LBB73_36:                              ;   in Loop: Header=BB73_30 Depth=1
	s_or_b32 exec_lo, exec_lo, s3
	s_delay_alu instid0(SALU_CYCLE_1)
	s_mov_b32 s3, exec_lo
	v_cmpx_lt_i64_e64 v[13:14], v[23:24]
	s_cbranch_execz .LBB73_38
; %bb.37:                               ;   in Loop: Header=BB73_30 Depth=1
	v_dual_mov_b32 v22, s25 :: v_dual_add_nc_u32 v25, 32, v21
	v_mov_b32_e32 v26, s25
	flat_load_b32 v27, v[21:22] glc dlc
	s_waitcnt vmcnt(0)
	flat_load_b32 v25, v[25:26] glc dlc
	s_waitcnt vmcnt(0) lgkmcnt(0)
	v_dual_max_f32 v26, v27, v27 :: v_dual_max_f32 v25, v25, v25
	s_delay_alu instid0(VALU_DEP_1)
	v_max_f32_e32 v25, v26, v25
	flat_store_b32 v[21:22], v25 dlc
	s_waitcnt_vscnt null, 0x0
.LBB73_38:                              ;   in Loop: Header=BB73_30 Depth=1
	s_or_b32 exec_lo, exec_lo, s3
	s_delay_alu instid0(SALU_CYCLE_1)
	s_mov_b32 s3, exec_lo
	v_cmpx_ge_i64_e64 v[15:16], v[23:24]
	s_xor_b32 s3, exec_lo, s3
; %bb.39:                               ;   in Loop: Header=BB73_30 Depth=1
                                        ; implicit-def: $vgpr21
; %bb.40:                               ;   in Loop: Header=BB73_30 Depth=1
	s_delay_alu instid0(SALU_CYCLE_1)
	s_and_not1_saveexec_b32 s3, s3
	s_cbranch_execz .LBB73_42
; %bb.41:                               ;   in Loop: Header=BB73_30 Depth=1
	v_dual_mov_b32 v22, s25 :: v_dual_add_nc_u32 v25, 16, v21
	v_mov_b32_e32 v26, s25
	flat_load_b32 v27, v[21:22] glc dlc
	s_waitcnt vmcnt(0)
	flat_load_b32 v25, v[25:26] glc dlc
	s_waitcnt vmcnt(0) lgkmcnt(0)
	v_dual_max_f32 v26, v27, v27 :: v_dual_max_f32 v25, v25, v25
	s_delay_alu instid0(VALU_DEP_1)
	v_max_f32_e32 v25, v26, v25
	flat_store_b32 v[21:22], v25 dlc
	s_waitcnt_vscnt null, 0x0
.LBB73_42:                              ;   in Loop: Header=BB73_30 Depth=1
	s_or_b32 exec_lo, exec_lo, s3
	v_lshlrev_b32_e32 v21, 2, v31
	s_mov_b32 s3, exec_lo
	v_cmpx_lt_i64_e64 v[17:18], v[23:24]
	s_cbranch_execz .LBB73_44
; %bb.43:                               ;   in Loop: Header=BB73_30 Depth=1
	s_delay_alu instid0(VALU_DEP_2)
	v_dual_mov_b32 v22, s25 :: v_dual_add_nc_u32 v25, 8, v21
	v_mov_b32_e32 v26, s25
	flat_load_b32 v27, v[21:22] glc dlc
	s_waitcnt vmcnt(0)
	flat_load_b32 v25, v[25:26] glc dlc
	s_waitcnt vmcnt(0) lgkmcnt(0)
	v_dual_max_f32 v26, v27, v27 :: v_dual_max_f32 v25, v25, v25
	s_delay_alu instid0(VALU_DEP_1)
	v_max_f32_e32 v25, v26, v25
	flat_store_b32 v[21:22], v25 dlc
	s_waitcnt_vscnt null, 0x0
.LBB73_44:                              ;   in Loop: Header=BB73_30 Depth=1
	s_or_b32 exec_lo, exec_lo, s3
	s_delay_alu instid0(SALU_CYCLE_1)
	s_mov_b32 s3, exec_lo
	v_cmpx_lt_i64_e64 v[19:20], v[23:24]
	s_cbranch_execz .LBB73_28
; %bb.45:                               ;   in Loop: Header=BB73_30 Depth=1
	v_dual_mov_b32 v22, s25 :: v_dual_add_nc_u32 v23, 4, v21
	v_mov_b32_e32 v24, s25
	flat_load_b32 v25, v[21:22] glc dlc
	s_waitcnt vmcnt(0)
	flat_load_b32 v23, v[23:24] glc dlc
	s_waitcnt vmcnt(0) lgkmcnt(0)
	v_dual_max_f32 v24, v25, v25 :: v_dual_max_f32 v23, v23, v23
	s_delay_alu instid0(VALU_DEP_1)
	v_max_f32_e32 v23, v24, v23
	flat_store_b32 v[21:22], v23 dlc
	s_waitcnt_vscnt null, 0x0
	s_branch .LBB73_28
.LBB73_46:
	s_load_b64 s[8:9], s[0:1], 0x40
	v_cmp_lt_i64_e32 vcc_lo, v[7:8], v[5:6]
	v_cmp_eq_u32_e64 s3, 0, v3
	s_waitcnt lgkmcnt(0)
	s_barrier
	buffer_gl0_inv
	s_and_b32 s12, s3, vcc_lo
	s_delay_alu instid0(SALU_CYCLE_1)
	s_and_saveexec_b32 s3, s12
	s_cbranch_execz .LBB73_53
; %bb.47:
	s_load_b64 s[0:1], s[0:1], 0x20
	ds_load_b32 v5, v29
	s_waitcnt lgkmcnt(0)
	s_cmp_eq_u64 s[0:1], 0
	s_cbranch_scc1 .LBB73_49
; %bb.48:
	s_load_b32 s0, s[0:1], 0x0
	v_max_f32_e32 v3, v5, v5
	s_waitcnt lgkmcnt(0)
	v_max_f32_e64 v4, s0, s0
	s_delay_alu instid0(VALU_DEP_1)
	v_min_f32_e32 v5, v3, v4
.LBB73_49:
	s_add_u32 s0, s8, s29
	s_addc_u32 s1, s9, 0
	s_add_u32 s12, s0, -1
	s_addc_u32 s13, s1, -1
	s_delay_alu instid0(SALU_CYCLE_1) | instskip(SKIP_1) | instid1(SALU_CYCLE_1)
	s_or_b64 s[20:21], s[12:13], s[8:9]
	s_mov_b32 s20, 0
	s_cmp_lg_u64 s[20:21], 0
	s_cbranch_scc0 .LBB73_194
; %bb.50:
	s_ashr_i32 s0, s9, 31
	s_delay_alu instid0(SALU_CYCLE_1) | instskip(SKIP_2) | instid1(SALU_CYCLE_1)
	s_add_u32 s22, s8, s0
	s_mov_b32 s1, s0
	s_addc_u32 s23, s9, s0
	s_xor_b64 s[0:1], s[22:23], s[0:1]
	s_delay_alu instid0(SALU_CYCLE_1) | instskip(SKIP_3) | instid1(VALU_DEP_1)
	v_cvt_f32_u32_e32 v3, s0
	v_cvt_f32_u32_e32 v4, s1
	s_sub_u32 s22, 0, s0
	s_subb_u32 s23, 0, s1
	v_fmamk_f32 v3, v4, 0x4f800000, v3
	s_delay_alu instid0(VALU_DEP_1) | instskip(SKIP_2) | instid1(VALU_DEP_1)
	v_rcp_f32_e32 v3, v3
	s_waitcnt_depctr 0xfff
	v_mul_f32_e32 v3, 0x5f7ffffc, v3
	v_mul_f32_e32 v4, 0x2f800000, v3
	s_delay_alu instid0(VALU_DEP_1) | instskip(NEXT) | instid1(VALU_DEP_1)
	v_trunc_f32_e32 v4, v4
	v_fmamk_f32 v3, v4, 0xcf800000, v3
	v_cvt_u32_f32_e32 v4, v4
	s_delay_alu instid0(VALU_DEP_2) | instskip(NEXT) | instid1(VALU_DEP_2)
	v_cvt_u32_f32_e32 v3, v3
	v_readfirstlane_b32 s15, v4
	s_delay_alu instid0(VALU_DEP_2) | instskip(NEXT) | instid1(VALU_DEP_2)
	v_readfirstlane_b32 s21, v3
	s_mul_i32 s24, s22, s15
	s_delay_alu instid0(VALU_DEP_1)
	s_mul_hi_u32 s30, s22, s21
	s_mul_i32 s25, s23, s21
	s_add_i32 s24, s30, s24
	s_mul_i32 s31, s22, s21
	s_add_i32 s24, s24, s25
	s_mul_hi_u32 s30, s21, s31
	s_mul_hi_u32 s33, s15, s31
	s_mul_i32 s25, s15, s31
	s_mul_hi_u32 s31, s21, s24
	s_mul_i32 s21, s21, s24
	s_mul_hi_u32 s34, s15, s24
	s_add_u32 s21, s30, s21
	s_addc_u32 s30, 0, s31
	s_add_u32 s21, s21, s25
	s_mul_i32 s24, s15, s24
	s_addc_u32 s21, s30, s33
	s_addc_u32 s25, s34, 0
	s_add_u32 s21, s21, s24
	s_addc_u32 s24, 0, s25
	v_add_co_u32 v3, s21, v3, s21
	s_delay_alu instid0(VALU_DEP_1) | instskip(SKIP_1) | instid1(VALU_DEP_1)
	s_cmp_lg_u32 s21, 0
	s_addc_u32 s15, s15, s24
	v_readfirstlane_b32 s21, v3
	s_mul_i32 s24, s22, s15
	s_delay_alu instid0(VALU_DEP_1)
	s_mul_hi_u32 s25, s22, s21
	s_mul_i32 s23, s23, s21
	s_add_i32 s24, s25, s24
	s_mul_i32 s22, s22, s21
	s_add_i32 s24, s24, s23
	s_mul_hi_u32 s25, s15, s22
	s_mul_i32 s30, s15, s22
	s_mul_hi_u32 s22, s21, s22
	s_mul_hi_u32 s31, s21, s24
	s_mul_i32 s21, s21, s24
	s_mul_hi_u32 s23, s15, s24
	s_add_u32 s21, s22, s21
	s_addc_u32 s22, 0, s31
	s_add_u32 s21, s21, s30
	s_mul_i32 s24, s15, s24
	s_addc_u32 s21, s22, s25
	s_addc_u32 s22, s23, 0
	s_add_u32 s21, s21, s24
	s_addc_u32 s22, 0, s22
	v_add_co_u32 v3, s21, v3, s21
	s_delay_alu instid0(VALU_DEP_1) | instskip(SKIP_2) | instid1(VALU_DEP_1)
	s_cmp_lg_u32 s21, 0
	s_addc_u32 s15, s15, s22
	s_ashr_i32 s22, s13, 31
	v_readfirstlane_b32 s21, v3
	s_add_u32 s24, s12, s22
	s_mov_b32 s23, s22
	s_addc_u32 s25, s13, s22
	s_delay_alu instid0(SALU_CYCLE_1) | instskip(NEXT) | instid1(SALU_CYCLE_1)
	s_xor_b64 s[24:25], s[24:25], s[22:23]
	s_mul_i32 s30, s24, s15
	s_mul_hi_u32 s31, s24, s21
	s_mul_hi_u32 s23, s24, s15
	;; [unrolled: 1-line block ×3, first 2 shown]
	s_mul_i32 s21, s25, s21
	s_add_u32 s30, s31, s30
	s_addc_u32 s23, 0, s23
	s_mul_hi_u32 s33, s25, s15
	s_add_u32 s21, s30, s21
	s_mul_i32 s15, s25, s15
	s_addc_u32 s21, s23, s34
	s_addc_u32 s23, s33, 0
	s_add_u32 s15, s21, s15
	s_addc_u32 s21, 0, s23
	s_mul_hi_u32 s23, s0, s15
	s_mul_i32 s21, s0, s21
	s_mul_i32 s30, s1, s15
	;; [unrolled: 1-line block ×3, first 2 shown]
	s_add_i32 s21, s23, s21
	v_sub_co_u32 v3, s15, s24, s15
	s_add_i32 s21, s21, s30
	s_delay_alu instid0(SALU_CYCLE_1) | instskip(SKIP_1) | instid1(VALU_DEP_1)
	s_sub_i32 s23, s25, s21
	s_cmp_lg_u32 s15, 0
	v_sub_co_u32 v4, s24, v3, s0
	s_subb_u32 s23, s23, s1
	s_cmp_lg_u32 s24, 0
	s_subb_u32 s30, s23, 0
	s_delay_alu instid0(VALU_DEP_1)
	v_cmp_le_u32_e32 vcc_lo, s0, v4
	s_cmp_ge_u32 s30, s1
	s_cselect_b32 s31, -1, 0
	s_cmp_eq_u32 s30, s1
	v_cndmask_b32_e64 v6, 0, -1, vcc_lo
	s_cselect_b32 vcc_lo, -1, 0
	s_cmp_lg_u32 s24, 0
	v_sub_co_u32 v7, s24, v4, s0
	s_subb_u32 s23, s23, s1
	s_cmp_lg_u32 s24, 0
	v_cndmask_b32_e32 v6, s31, v6, vcc_lo
	s_subb_u32 s23, s23, 0
	s_cmp_lg_u32 s15, 0
	v_cmp_le_u32_e32 vcc_lo, s0, v3
	s_subb_u32 s15, s25, s21
	s_delay_alu instid0(SALU_CYCLE_1)
	s_cmp_ge_u32 s15, s1
	v_cndmask_b32_e64 v8, 0, -1, vcc_lo
	s_cselect_b32 s21, -1, 0
	s_cmp_eq_u32 s15, s1
	v_cmp_ne_u32_e32 vcc_lo, 0, v6
	v_mov_b32_e32 v6, s23
	s_cselect_b32 s0, -1, 0
	s_delay_alu instid0(SALU_CYCLE_1) | instskip(SKIP_1) | instid1(VALU_DEP_3)
	v_cndmask_b32_e64 v8, s21, v8, s0
	v_cndmask_b32_e32 v4, v4, v7, vcc_lo
	v_cndmask_b32_e32 v6, s30, v6, vcc_lo
	s_delay_alu instid0(VALU_DEP_3) | instskip(NEXT) | instid1(VALU_DEP_3)
	v_cmp_ne_u32_e32 vcc_lo, 0, v8
	v_cndmask_b32_e32 v3, v3, v4, vcc_lo
	s_delay_alu instid0(VALU_DEP_3) | instskip(NEXT) | instid1(VALU_DEP_2)
	v_cndmask_b32_e32 v6, s15, v6, vcc_lo
	v_xor_b32_e32 v3, s22, v3
	s_delay_alu instid0(VALU_DEP_2) | instskip(NEXT) | instid1(VALU_DEP_2)
	v_xor_b32_e32 v4, s22, v6
	v_sub_co_u32 v3, vcc_lo, v3, s22
	s_delay_alu instid0(VALU_DEP_2)
	v_subrev_co_ci_u32_e32 v4, vcc_lo, s22, v4, vcc_lo
	s_and_not1_b32 vcc_lo, exec_lo, s20
	s_cbranch_vccnz .LBB73_52
.LBB73_51:
	v_cvt_f32_u32_e32 v3, s8
	s_sub_i32 s0, 0, s8
	s_delay_alu instid0(VALU_DEP_1) | instskip(SKIP_2) | instid1(VALU_DEP_1)
	v_rcp_iflag_f32_e32 v3, v3
	s_waitcnt_depctr 0xfff
	v_mul_f32_e32 v3, 0x4f7ffffe, v3
	v_cvt_u32_f32_e32 v3, v3
	s_delay_alu instid0(VALU_DEP_1) | instskip(NEXT) | instid1(VALU_DEP_1)
	v_mul_lo_u32 v4, s0, v3
	v_mul_hi_u32 v4, v3, v4
	s_delay_alu instid0(VALU_DEP_1) | instskip(NEXT) | instid1(VALU_DEP_1)
	v_add_nc_u32_e32 v3, v3, v4
	v_mul_hi_u32 v3, s12, v3
	s_delay_alu instid0(VALU_DEP_1) | instskip(NEXT) | instid1(VALU_DEP_1)
	v_mul_lo_u32 v3, v3, s8
	v_sub_nc_u32_e32 v3, s12, v3
	s_delay_alu instid0(VALU_DEP_1) | instskip(SKIP_1) | instid1(VALU_DEP_2)
	v_subrev_nc_u32_e32 v4, s8, v3
	v_cmp_le_u32_e32 vcc_lo, s8, v3
	v_cndmask_b32_e32 v3, v3, v4, vcc_lo
	s_delay_alu instid0(VALU_DEP_1) | instskip(SKIP_1) | instid1(VALU_DEP_2)
	v_subrev_nc_u32_e32 v4, s8, v3
	v_cmp_le_u32_e32 vcc_lo, s8, v3
	v_dual_cndmask_b32 v3, v3, v4 :: v_dual_mov_b32 v4, 0
.LBB73_52:
	v_div_scale_f32 v6, null, 0x43600000, 0x43600000, v5
	v_div_scale_f32 v9, vcc_lo, v5, 0x43600000, v5
	s_delay_alu instid0(VALU_DEP_3) | instskip(NEXT) | instid1(VALU_DEP_3)
	v_sub_co_u32 v10, s0, s12, v3
	v_rcp_f32_e32 v7, v6
	v_sub_co_ci_u32_e64 v3, s0, s13, v4, s0
	s_lshl_b64 s[0:1], s[16:17], 2
	s_delay_alu instid0(SALU_CYCLE_1) | instskip(NEXT) | instid1(VALU_DEP_1)
	s_add_u32 s0, s0, s6
	v_mul_lo_u32 v11, v3, v1
	s_addc_u32 s1, s1, s7
	s_waitcnt_depctr 0xfff
	v_fma_f32 v8, -v6, v7, 1.0
	s_delay_alu instid0(VALU_DEP_1) | instskip(NEXT) | instid1(VALU_DEP_1)
	v_fmac_f32_e32 v7, v8, v7
	v_mul_f32_e32 v8, v9, v7
	s_delay_alu instid0(VALU_DEP_1) | instskip(NEXT) | instid1(VALU_DEP_1)
	v_fma_f32 v4, -v6, v8, v9
	v_fmac_f32_e32 v8, v4, v7
	v_mul_lo_u32 v4, v10, v2
	v_mad_u64_u32 v[2:3], null, v10, v1, 0
	s_delay_alu instid0(VALU_DEP_3) | instskip(NEXT) | instid1(VALU_DEP_2)
	v_fma_f32 v1, -v6, v8, v9
	v_add3_u32 v3, v3, v4, v11
	s_delay_alu instid0(VALU_DEP_2) | instskip(NEXT) | instid1(VALU_DEP_1)
	v_div_fmas_f32 v1, v1, v7, v8
	v_div_fixup_f32 v4, v1, 0x43600000, v5
	s_delay_alu instid0(VALU_DEP_3) | instskip(NEXT) | instid1(VALU_DEP_2)
	v_lshlrev_b64 v[1:2], 2, v[2:3]
	v_max_f32_e32 v3, 0x37124925, v4
	s_delay_alu instid0(VALU_DEP_2) | instskip(NEXT) | instid1(VALU_DEP_3)
	v_add_co_u32 v1, vcc_lo, s0, v1
	v_add_co_ci_u32_e32 v2, vcc_lo, s1, v2, vcc_lo
	global_store_b32 v[1:2], v3, off
.LBB73_53:
	s_or_b32 exec_lo, exec_lo, s3
	s_waitcnt_vscnt null, 0x0
	s_barrier
	buffer_gl0_inv
	s_and_saveexec_b32 s0, s2
	s_cbranch_execz .LBB73_193
; %bb.54:
	s_add_u32 s0, s8, s29
	s_addc_u32 s1, s9, 0
	s_add_u32 s2, s0, -1
	s_addc_u32 s3, s1, -1
	s_delay_alu instid0(SALU_CYCLE_1) | instskip(SKIP_1) | instid1(SALU_CYCLE_1)
	s_or_b64 s[12:13], s[2:3], s[8:9]
	s_mov_b32 s12, 0
	s_cmp_lg_u64 s[12:13], 0
	s_cbranch_scc0 .LBB73_195
; %bb.55:
	s_ashr_i32 s0, s9, 31
	s_delay_alu instid0(SALU_CYCLE_1) | instskip(SKIP_2) | instid1(SALU_CYCLE_1)
	s_add_u32 s20, s8, s0
	s_mov_b32 s1, s0
	s_addc_u32 s21, s9, s0
	s_xor_b64 s[0:1], s[20:21], s[0:1]
	s_delay_alu instid0(SALU_CYCLE_1) | instskip(SKIP_3) | instid1(VALU_DEP_1)
	v_cvt_f32_u32_e32 v1, s0
	v_cvt_f32_u32_e32 v2, s1
	s_sub_u32 s15, 0, s0
	s_subb_u32 s20, 0, s1
	v_fmamk_f32 v1, v2, 0x4f800000, v1
	s_delay_alu instid0(VALU_DEP_1) | instskip(SKIP_2) | instid1(VALU_DEP_1)
	v_rcp_f32_e32 v1, v1
	s_waitcnt_depctr 0xfff
	v_mul_f32_e32 v1, 0x5f7ffffc, v1
	v_mul_f32_e32 v2, 0x2f800000, v1
	s_delay_alu instid0(VALU_DEP_1) | instskip(NEXT) | instid1(VALU_DEP_1)
	v_trunc_f32_e32 v2, v2
	v_fmamk_f32 v1, v2, 0xcf800000, v1
	v_cvt_u32_f32_e32 v2, v2
	s_delay_alu instid0(VALU_DEP_2) | instskip(NEXT) | instid1(VALU_DEP_2)
	v_cvt_u32_f32_e32 v1, v1
	v_readfirstlane_b32 s9, v2
	s_delay_alu instid0(VALU_DEP_2) | instskip(NEXT) | instid1(VALU_DEP_2)
	v_readfirstlane_b32 s13, v1
	s_mul_i32 s21, s15, s9
	s_delay_alu instid0(VALU_DEP_1)
	s_mul_hi_u32 s23, s15, s13
	s_mul_i32 s22, s20, s13
	s_add_i32 s21, s23, s21
	s_mul_i32 s24, s15, s13
	s_add_i32 s21, s21, s22
	s_mul_hi_u32 s23, s13, s24
	s_mul_hi_u32 s25, s9, s24
	s_mul_i32 s22, s9, s24
	s_mul_hi_u32 s24, s13, s21
	s_mul_i32 s13, s13, s21
	s_mul_hi_u32 s29, s9, s21
	s_add_u32 s13, s23, s13
	s_addc_u32 s23, 0, s24
	s_add_u32 s13, s13, s22
	s_mul_i32 s21, s9, s21
	s_addc_u32 s13, s23, s25
	s_addc_u32 s22, s29, 0
	s_add_u32 s13, s13, s21
	s_addc_u32 s21, 0, s22
	v_add_co_u32 v1, s13, v1, s13
	s_delay_alu instid0(VALU_DEP_1) | instskip(SKIP_1) | instid1(VALU_DEP_1)
	s_cmp_lg_u32 s13, 0
	s_addc_u32 s9, s9, s21
	v_readfirstlane_b32 s13, v1
	s_mul_i32 s21, s15, s9
	s_delay_alu instid0(VALU_DEP_1)
	s_mul_hi_u32 s22, s15, s13
	s_mul_i32 s20, s20, s13
	s_add_i32 s21, s22, s21
	s_mul_i32 s15, s15, s13
	s_add_i32 s21, s21, s20
	s_mul_hi_u32 s22, s9, s15
	s_mul_i32 s23, s9, s15
	s_mul_hi_u32 s15, s13, s15
	s_mul_hi_u32 s24, s13, s21
	s_mul_i32 s13, s13, s21
	s_mul_hi_u32 s20, s9, s21
	s_add_u32 s13, s15, s13
	s_addc_u32 s15, 0, s24
	s_add_u32 s13, s13, s23
	s_mul_i32 s21, s9, s21
	s_addc_u32 s13, s15, s22
	s_addc_u32 s15, s20, 0
	s_add_u32 s13, s13, s21
	s_addc_u32 s15, 0, s15
	v_add_co_u32 v1, s13, v1, s13
	s_delay_alu instid0(VALU_DEP_1) | instskip(SKIP_2) | instid1(VALU_DEP_1)
	s_cmp_lg_u32 s13, 0
	s_addc_u32 s9, s9, s15
	s_ashr_i32 s20, s3, 31
	v_readfirstlane_b32 s13, v1
	s_add_u32 s22, s2, s20
	s_mov_b32 s21, s20
	s_addc_u32 s23, s3, s20
	s_delay_alu instid0(SALU_CYCLE_1) | instskip(NEXT) | instid1(SALU_CYCLE_1)
	s_xor_b64 s[22:23], s[22:23], s[20:21]
	s_mul_i32 s21, s22, s9
	s_mul_hi_u32 s24, s22, s13
	s_mul_hi_u32 s15, s22, s9
	;; [unrolled: 1-line block ×3, first 2 shown]
	s_mul_i32 s13, s23, s13
	s_add_u32 s21, s24, s21
	s_addc_u32 s15, 0, s15
	s_mul_hi_u32 s25, s23, s9
	s_add_u32 s13, s21, s13
	s_mul_i32 s9, s23, s9
	s_addc_u32 s13, s15, s29
	s_addc_u32 s15, s25, 0
	s_add_u32 s9, s13, s9
	s_addc_u32 s13, 0, s15
	s_mul_hi_u32 s15, s0, s9
	s_mul_i32 s13, s0, s13
	s_mul_i32 s21, s1, s9
	;; [unrolled: 1-line block ×3, first 2 shown]
	s_add_i32 s13, s15, s13
	v_sub_co_u32 v1, s9, s22, s9
	s_add_i32 s13, s13, s21
	s_delay_alu instid0(SALU_CYCLE_1) | instskip(SKIP_1) | instid1(VALU_DEP_1)
	s_sub_i32 s15, s23, s13
	s_cmp_lg_u32 s9, 0
	v_sub_co_u32 v2, s21, v1, s0
	s_subb_u32 s15, s15, s1
	s_cmp_lg_u32 s21, 0
	s_subb_u32 s22, s15, 0
	s_delay_alu instid0(VALU_DEP_1)
	v_cmp_le_u32_e32 vcc_lo, s0, v2
	s_cmp_ge_u32 s22, s1
	s_cselect_b32 s24, -1, 0
	s_cmp_eq_u32 s22, s1
	v_cndmask_b32_e64 v3, 0, -1, vcc_lo
	s_cselect_b32 vcc_lo, -1, 0
	s_cmp_lg_u32 s21, 0
	v_sub_co_u32 v4, s21, v2, s0
	s_subb_u32 s15, s15, s1
	s_cmp_lg_u32 s21, 0
	v_cndmask_b32_e32 v3, s24, v3, vcc_lo
	s_subb_u32 s15, s15, 0
	s_cmp_lg_u32 s9, 0
	v_cmp_le_u32_e32 vcc_lo, s0, v1
	s_subb_u32 s9, s23, s13
	s_delay_alu instid0(SALU_CYCLE_1)
	s_cmp_ge_u32 s9, s1
	v_cndmask_b32_e64 v5, 0, -1, vcc_lo
	s_cselect_b32 s13, -1, 0
	s_cmp_eq_u32 s9, s1
	v_cmp_ne_u32_e32 vcc_lo, 0, v3
	v_mov_b32_e32 v3, s15
	s_cselect_b32 s0, -1, 0
	s_delay_alu instid0(SALU_CYCLE_1) | instskip(SKIP_1) | instid1(VALU_DEP_3)
	v_cndmask_b32_e64 v5, s13, v5, s0
	v_cndmask_b32_e32 v2, v2, v4, vcc_lo
	v_cndmask_b32_e32 v3, s22, v3, vcc_lo
	s_delay_alu instid0(VALU_DEP_3) | instskip(NEXT) | instid1(VALU_DEP_3)
	v_cmp_ne_u32_e32 vcc_lo, 0, v5
	v_cndmask_b32_e32 v1, v1, v2, vcc_lo
	s_delay_alu instid0(VALU_DEP_3) | instskip(NEXT) | instid1(VALU_DEP_2)
	v_cndmask_b32_e32 v3, s9, v3, vcc_lo
	v_xor_b32_e32 v1, s20, v1
	s_delay_alu instid0(VALU_DEP_2) | instskip(NEXT) | instid1(VALU_DEP_2)
	v_xor_b32_e32 v2, s20, v3
	v_sub_co_u32 v1, vcc_lo, v1, s20
	s_delay_alu instid0(VALU_DEP_2)
	v_subrev_co_ci_u32_e32 v2, vcc_lo, s20, v2, vcc_lo
	s_and_not1_b32 vcc_lo, exec_lo, s12
	s_cbranch_vccnz .LBB73_57
.LBB73_56:
	v_cvt_f32_u32_e32 v1, s8
	s_sub_i32 s0, 0, s8
	s_delay_alu instid0(VALU_DEP_1) | instskip(SKIP_2) | instid1(VALU_DEP_1)
	v_rcp_iflag_f32_e32 v1, v1
	s_waitcnt_depctr 0xfff
	v_mul_f32_e32 v1, 0x4f7ffffe, v1
	v_cvt_u32_f32_e32 v1, v1
	s_delay_alu instid0(VALU_DEP_1) | instskip(NEXT) | instid1(VALU_DEP_1)
	v_mul_lo_u32 v2, s0, v1
	v_mul_hi_u32 v2, v1, v2
	s_delay_alu instid0(VALU_DEP_1) | instskip(NEXT) | instid1(VALU_DEP_1)
	v_add_nc_u32_e32 v1, v1, v2
	v_mul_hi_u32 v1, s2, v1
	s_delay_alu instid0(VALU_DEP_1) | instskip(NEXT) | instid1(VALU_DEP_1)
	v_mul_lo_u32 v1, v1, s8
	v_sub_nc_u32_e32 v1, s2, v1
	s_delay_alu instid0(VALU_DEP_1) | instskip(SKIP_1) | instid1(VALU_DEP_2)
	v_subrev_nc_u32_e32 v2, s8, v1
	v_cmp_le_u32_e32 vcc_lo, s8, v1
	v_cndmask_b32_e32 v1, v1, v2, vcc_lo
	s_delay_alu instid0(VALU_DEP_1) | instskip(SKIP_1) | instid1(VALU_DEP_2)
	v_subrev_nc_u32_e32 v2, s8, v1
	v_cmp_le_u32_e32 vcc_lo, s8, v1
	v_dual_cndmask_b32 v1, v1, v2 :: v_dual_mov_b32 v2, 0
.LBB73_57:
	s_mul_i32 s0, s19, s16
	s_mul_hi_u32 s1, s18, s16
	s_mul_i32 s8, s18, s16
	s_add_i32 s1, s1, s0
	v_sub_co_u32 v9, vcc_lo, s2, v1
	s_add_u32 s0, s4, s8
	s_addc_u32 s1, s5, s1
	s_lshl_b64 s[4:5], s[16:17], 2
	v_sub_co_ci_u32_e32 v10, vcc_lo, s3, v2, vcc_lo
	v_mov_b32_e32 v1, 0
	s_add_u32 s4, s6, s4
	s_addc_u32 s5, s7, s5
	s_mul_i32 s2, s28, 3
	s_lshl_b32 s3, s28, 1
	s_mov_b32 s6, 0
	s_mov_b32 s7, 0x43600000
	s_branch .LBB73_63
.LBB73_58:                              ;   in Loop: Header=BB73_63 Depth=1
	s_or_b32 exec_lo, exec_lo, s16
.LBB73_59:                              ;   in Loop: Header=BB73_63 Depth=1
	s_delay_alu instid0(SALU_CYCLE_1)
	s_or_b32 exec_lo, exec_lo, s13
	v_lshlrev_b32_e32 v6, 16, v5
	v_lshlrev_b64 v[4:5], 2, v[0:1]
	v_lshlrev_b32_e32 v8, 8, v11
	s_add_i32 s13, s28, s28
	v_and_b32_e32 v7, 0xff, v7
	v_add3_u32 v0, s13, s28, v2
	v_perm_b32 v6, v3, v6, 0x4020c0c
	v_and_b32_e32 v8, 0xff00, v8
	v_add_co_u32 v2, vcc_lo, s0, v4
	v_add_co_ci_u32_e32 v3, vcc_lo, s1, v5, vcc_lo
	v_cmp_le_u32_e32 vcc_lo, s14, v0
	s_delay_alu instid0(VALU_DEP_4)
	v_or3_b32 v4, v6, v8, v7
	s_or_not1_b32 s13, vcc_lo, exec_lo
	global_store_b32 v[2:3], v4, off
.LBB73_60:                              ;   in Loop: Header=BB73_63 Depth=1
	s_or_b32 exec_lo, exec_lo, s12
	s_delay_alu instid0(SALU_CYCLE_1)
	s_or_not1_b32 s12, s13, exec_lo
.LBB73_61:                              ;   in Loop: Header=BB73_63 Depth=1
	s_or_b32 exec_lo, exec_lo, s9
	s_delay_alu instid0(SALU_CYCLE_1)
	s_or_not1_b32 s9, s12, exec_lo
.LBB73_62:                              ;   in Loop: Header=BB73_63 Depth=1
	s_or_b32 exec_lo, exec_lo, s8
	s_delay_alu instid0(SALU_CYCLE_1) | instskip(NEXT) | instid1(SALU_CYCLE_1)
	s_and_b32 s8, exec_lo, s9
	s_or_b32 s6, s8, s6
	s_delay_alu instid0(SALU_CYCLE_1)
	s_and_not1_b32 exec_lo, exec_lo, s6
	s_cbranch_execz .LBB73_193
.LBB73_63:                              ; =>This Inner Loop Header: Depth=1
	v_lshlrev_b64 v[4:5], 3, v[0:1]
	v_bfe_u32 v8, v0, 5, 25
	s_mov_b32 s8, exec_lo
	s_delay_alu instid0(VALU_DEP_1) | instskip(NEXT) | instid1(VALU_DEP_3)
	v_mad_u64_u32 v[6:7], null, v9, v8, 0
	v_add_co_u32 v2, vcc_lo, s26, v4
	s_delay_alu instid0(VALU_DEP_4)
	v_add_co_ci_u32_e32 v3, vcc_lo, s27, v5, vcc_lo
	v_add_co_u32 v4, vcc_lo, s10, v4
	v_add_co_ci_u32_e32 v5, vcc_lo, s11, v5, vcc_lo
	global_load_b64 v[2:3], v[2:3], off
	v_mad_u64_u32 v[11:12], null, v10, v8, v[7:8]
	global_load_b64 v[4:5], v[4:5], off
	v_mov_b32_e32 v7, v11
	s_delay_alu instid0(VALU_DEP_1) | instskip(NEXT) | instid1(VALU_DEP_1)
	v_lshlrev_b64 v[6:7], 2, v[6:7]
	v_add_co_u32 v6, vcc_lo, s4, v6
	s_delay_alu instid0(VALU_DEP_2)
	v_add_co_ci_u32_e32 v7, vcc_lo, s5, v7, vcc_lo
	global_load_b32 v6, v[6:7], off
	s_waitcnt vmcnt(2)
	v_lshlrev_b32_e32 v7, 16, v2
	s_waitcnt vmcnt(1)
	v_lshlrev_b32_e32 v11, 16, v4
	s_delay_alu instid0(VALU_DEP_2) | instskip(NEXT) | instid1(VALU_DEP_1)
	v_mul_f32_e32 v7, v28, v7
	v_bfe_u32 v8, v7, 16, 1
	v_cmp_o_f32_e32 vcc_lo, v7, v7
	s_delay_alu instid0(VALU_DEP_2) | instskip(NEXT) | instid1(VALU_DEP_1)
	v_add3_u32 v8, v7, v8, 0x7fff
	v_and_b32_e32 v8, 0xffff0000, v8
	s_delay_alu instid0(VALU_DEP_1) | instskip(NEXT) | instid1(VALU_DEP_1)
	v_cndmask_b32_e32 v7, 0x7fc00000, v8, vcc_lo
	v_mul_f32_e32 v7, v7, v11
	s_delay_alu instid0(VALU_DEP_1) | instskip(SKIP_1) | instid1(VALU_DEP_2)
	v_bfe_u32 v8, v7, 16, 1
	v_cmp_o_f32_e32 vcc_lo, v7, v7
	v_add3_u32 v8, v7, v8, 0x7fff
	s_delay_alu instid0(VALU_DEP_1) | instskip(NEXT) | instid1(VALU_DEP_1)
	v_and_b32_e32 v8, 0xffff0000, v8
	v_cndmask_b32_e32 v7, 0x7fc00000, v8, vcc_lo
	s_waitcnt vmcnt(0)
	s_delay_alu instid0(VALU_DEP_1) | instskip(SKIP_1) | instid1(VALU_DEP_2)
	v_div_scale_f32 v8, null, v6, v6, v7
	v_div_scale_f32 v13, vcc_lo, v7, v6, v7
	v_rcp_f32_e32 v11, v8
	s_waitcnt_depctr 0xfff
	v_fma_f32 v12, -v8, v11, 1.0
	s_delay_alu instid0(VALU_DEP_1) | instskip(NEXT) | instid1(VALU_DEP_1)
	v_fmac_f32_e32 v11, v12, v11
	v_mul_f32_e32 v12, v13, v11
	s_delay_alu instid0(VALU_DEP_1) | instskip(NEXT) | instid1(VALU_DEP_1)
	v_fma_f32 v14, -v8, v12, v13
	v_fmac_f32_e32 v12, v14, v11
	s_delay_alu instid0(VALU_DEP_1) | instskip(NEXT) | instid1(VALU_DEP_1)
	v_fma_f32 v8, -v8, v12, v13
	v_div_fmas_f32 v8, v8, v11, v12
	s_delay_alu instid0(VALU_DEP_1) | instskip(SKIP_1) | instid1(VALU_DEP_2)
	v_div_fixup_f32 v7, v8, v6, v7
	v_mov_b32_e32 v8, 0x80
	v_minmax_f32 v11, v7, s7, 0xc3600000
	v_mov_b32_e32 v7, 0x80
	s_delay_alu instid0(VALU_DEP_2) | instskip(NEXT) | instid1(VALU_DEP_1)
	v_and_b32_e32 v12, 0x7fffffff, v11
	v_cmpx_gt_u32_e32 0x43800000, v12
	s_cbranch_execz .LBB73_69
; %bb.64:                               ;   in Loop: Header=BB73_63 Depth=1
	v_cmp_lt_u32_e32 vcc_lo, 0x3bffffff, v12
	s_mov_b32 s9, 0
                                        ; implicit-def: $vgpr12
	s_and_saveexec_b32 s12, vcc_lo
	s_delay_alu instid0(SALU_CYCLE_1)
	s_xor_b32 s12, exec_lo, s12
	s_cbranch_execnz .LBB73_160
; %bb.65:                               ;   in Loop: Header=BB73_63 Depth=1
	s_or_saveexec_b32 s12, s12
                                        ; implicit-def: $sgpr13
	s_delay_alu instid0(SALU_CYCLE_1)
	s_xor_b32 exec_lo, exec_lo, s12
	s_cbranch_execnz .LBB73_161
.LBB73_66:                              ;   in Loop: Header=BB73_63 Depth=1
	s_or_b32 exec_lo, exec_lo, s12
	v_mov_b32_e32 v8, s13
	s_and_saveexec_b32 s12, s9
.LBB73_67:                              ;   in Loop: Header=BB73_63 Depth=1
	v_lshrrev_b32_e32 v8, 24, v11
	s_delay_alu instid0(VALU_DEP_1)
	v_and_or_b32 v8, 0x80, v8, v12
.LBB73_68:                              ;   in Loop: Header=BB73_63 Depth=1
	s_or_b32 exec_lo, exec_lo, s12
.LBB73_69:                              ;   in Loop: Header=BB73_63 Depth=1
	s_delay_alu instid0(SALU_CYCLE_1) | instskip(SKIP_3) | instid1(VALU_DEP_2)
	s_or_b32 exec_lo, exec_lo, s8
	v_and_b32_e32 v11, 0xffff0000, v2
	v_and_b32_e32 v13, 0xffff0000, v4
	s_mov_b32 s8, exec_lo
	v_mul_f32_e32 v11, v28, v11
	s_delay_alu instid0(VALU_DEP_1) | instskip(NEXT) | instid1(VALU_DEP_1)
	v_bfe_u32 v12, v11, 16, 1
	v_add3_u32 v12, v11, v12, 0x7fff
	s_delay_alu instid0(VALU_DEP_1) | instskip(SKIP_1) | instid1(VALU_DEP_2)
	v_and_b32_e32 v12, 0xffff0000, v12
	v_cmp_o_f32_e32 vcc_lo, v11, v11
	v_cndmask_b32_e32 v11, 0x7fc00000, v12, vcc_lo
	s_delay_alu instid0(VALU_DEP_1) | instskip(NEXT) | instid1(VALU_DEP_1)
	v_mul_f32_e32 v11, v11, v13
	v_bfe_u32 v12, v11, 16, 1
	s_delay_alu instid0(VALU_DEP_1) | instskip(NEXT) | instid1(VALU_DEP_1)
	v_add3_u32 v12, v11, v12, 0x7fff
	v_and_b32_e32 v12, 0xffff0000, v12
	v_cmp_o_f32_e32 vcc_lo, v11, v11
	s_delay_alu instid0(VALU_DEP_2) | instskip(NEXT) | instid1(VALU_DEP_1)
	v_cndmask_b32_e32 v11, 0x7fc00000, v12, vcc_lo
	v_div_scale_f32 v12, null, v6, v6, v11
	s_delay_alu instid0(VALU_DEP_1) | instskip(SKIP_2) | instid1(VALU_DEP_1)
	v_rcp_f32_e32 v13, v12
	s_waitcnt_depctr 0xfff
	v_fma_f32 v14, -v12, v13, 1.0
	v_fmac_f32_e32 v13, v14, v13
	v_div_scale_f32 v14, vcc_lo, v11, v6, v11
	s_delay_alu instid0(VALU_DEP_1) | instskip(NEXT) | instid1(VALU_DEP_1)
	v_mul_f32_e32 v15, v14, v13
	v_fma_f32 v16, -v12, v15, v14
	s_delay_alu instid0(VALU_DEP_1) | instskip(NEXT) | instid1(VALU_DEP_1)
	v_fmac_f32_e32 v15, v16, v13
	v_fma_f32 v12, -v12, v15, v14
	s_delay_alu instid0(VALU_DEP_1) | instskip(NEXT) | instid1(VALU_DEP_1)
	v_div_fmas_f32 v12, v12, v13, v15
	v_div_fixup_f32 v11, v12, v6, v11
	s_delay_alu instid0(VALU_DEP_1) | instskip(NEXT) | instid1(VALU_DEP_1)
	v_minmax_f32 v11, v11, s7, 0xc3600000
	v_and_b32_e32 v12, 0x7fffffff, v11
	s_delay_alu instid0(VALU_DEP_1)
	v_cmpx_gt_u32_e32 0x43800000, v12
	s_cbranch_execz .LBB73_75
; %bb.70:                               ;   in Loop: Header=BB73_63 Depth=1
	v_cmp_lt_u32_e32 vcc_lo, 0x3bffffff, v12
	s_mov_b32 s9, 0
                                        ; implicit-def: $vgpr12
	s_and_saveexec_b32 s12, vcc_lo
	s_delay_alu instid0(SALU_CYCLE_1)
	s_xor_b32 s12, exec_lo, s12
	s_cbranch_execnz .LBB73_162
; %bb.71:                               ;   in Loop: Header=BB73_63 Depth=1
	s_or_saveexec_b32 s12, s12
                                        ; implicit-def: $sgpr13
	s_delay_alu instid0(SALU_CYCLE_1)
	s_xor_b32 exec_lo, exec_lo, s12
	s_cbranch_execnz .LBB73_163
.LBB73_72:                              ;   in Loop: Header=BB73_63 Depth=1
	s_or_b32 exec_lo, exec_lo, s12
	v_mov_b32_e32 v7, s13
	s_and_saveexec_b32 s12, s9
.LBB73_73:                              ;   in Loop: Header=BB73_63 Depth=1
	v_lshrrev_b32_e32 v7, 24, v11
	s_delay_alu instid0(VALU_DEP_1)
	v_and_or_b32 v7, 0x80, v7, v12
.LBB73_74:                              ;   in Loop: Header=BB73_63 Depth=1
	s_or_b32 exec_lo, exec_lo, s12
.LBB73_75:                              ;   in Loop: Header=BB73_63 Depth=1
	s_delay_alu instid0(SALU_CYCLE_1) | instskip(SKIP_3) | instid1(VALU_DEP_2)
	s_or_b32 exec_lo, exec_lo, s8
	v_alignbit_b32 v2, v3, v2, 16
	v_alignbit_b32 v4, v5, v4, 16
	s_mov_b32 s8, exec_lo
	v_and_b32_e32 v2, 0xffff0000, v2
	s_delay_alu instid0(VALU_DEP_2) | instskip(NEXT) | instid1(VALU_DEP_2)
	v_and_b32_e32 v4, 0xffff0000, v4
	v_mul_f32_e32 v2, v28, v2
	s_delay_alu instid0(VALU_DEP_1) | instskip(NEXT) | instid1(VALU_DEP_1)
	v_bfe_u32 v11, v2, 16, 1
	v_add3_u32 v11, v2, v11, 0x7fff
	s_delay_alu instid0(VALU_DEP_1) | instskip(SKIP_1) | instid1(VALU_DEP_2)
	v_and_b32_e32 v11, 0xffff0000, v11
	v_cmp_o_f32_e32 vcc_lo, v2, v2
	v_cndmask_b32_e32 v2, 0x7fc00000, v11, vcc_lo
	s_delay_alu instid0(VALU_DEP_1) | instskip(NEXT) | instid1(VALU_DEP_1)
	v_mul_f32_e32 v2, v2, v4
	v_bfe_u32 v4, v2, 16, 1
	v_cmp_o_f32_e32 vcc_lo, v2, v2
	s_delay_alu instid0(VALU_DEP_2) | instskip(NEXT) | instid1(VALU_DEP_1)
	v_add3_u32 v4, v2, v4, 0x7fff
	v_and_b32_e32 v4, 0xffff0000, v4
	s_delay_alu instid0(VALU_DEP_1) | instskip(NEXT) | instid1(VALU_DEP_1)
	v_cndmask_b32_e32 v2, 0x7fc00000, v4, vcc_lo
	v_div_scale_f32 v4, null, v6, v6, v2
	v_div_scale_f32 v13, vcc_lo, v2, v6, v2
	s_delay_alu instid0(VALU_DEP_2) | instskip(SKIP_2) | instid1(VALU_DEP_1)
	v_rcp_f32_e32 v11, v4
	s_waitcnt_depctr 0xfff
	v_fma_f32 v12, -v4, v11, 1.0
	v_fmac_f32_e32 v11, v12, v11
	s_delay_alu instid0(VALU_DEP_1) | instskip(NEXT) | instid1(VALU_DEP_1)
	v_mul_f32_e32 v12, v13, v11
	v_fma_f32 v14, -v4, v12, v13
	s_delay_alu instid0(VALU_DEP_1) | instskip(NEXT) | instid1(VALU_DEP_1)
	v_fmac_f32_e32 v12, v14, v11
	v_fma_f32 v4, -v4, v12, v13
	s_delay_alu instid0(VALU_DEP_1) | instskip(NEXT) | instid1(VALU_DEP_1)
	v_div_fmas_f32 v4, v4, v11, v12
	v_div_fixup_f32 v2, v4, v6, v2
	v_mov_b32_e32 v4, 0x80
	s_delay_alu instid0(VALU_DEP_2) | instskip(SKIP_1) | instid1(VALU_DEP_2)
	v_minmax_f32 v11, v2, s7, 0xc3600000
	v_mov_b32_e32 v2, 0x80
	v_and_b32_e32 v12, 0x7fffffff, v11
	s_delay_alu instid0(VALU_DEP_1)
	v_cmpx_gt_u32_e32 0x43800000, v12
	s_cbranch_execz .LBB73_81
; %bb.76:                               ;   in Loop: Header=BB73_63 Depth=1
	v_cmp_lt_u32_e32 vcc_lo, 0x3bffffff, v12
	s_mov_b32 s9, 0
                                        ; implicit-def: $vgpr12
	s_and_saveexec_b32 s12, vcc_lo
	s_delay_alu instid0(SALU_CYCLE_1)
	s_xor_b32 s12, exec_lo, s12
	s_cbranch_execnz .LBB73_164
; %bb.77:                               ;   in Loop: Header=BB73_63 Depth=1
	s_or_saveexec_b32 s12, s12
                                        ; implicit-def: $sgpr13
	s_delay_alu instid0(SALU_CYCLE_1)
	s_xor_b32 exec_lo, exec_lo, s12
	s_cbranch_execnz .LBB73_165
.LBB73_78:                              ;   in Loop: Header=BB73_63 Depth=1
	s_or_b32 exec_lo, exec_lo, s12
	v_mov_b32_e32 v4, s13
	s_and_saveexec_b32 s12, s9
.LBB73_79:                              ;   in Loop: Header=BB73_63 Depth=1
	v_lshrrev_b32_e32 v4, 24, v11
	s_delay_alu instid0(VALU_DEP_1)
	v_and_or_b32 v4, 0x80, v4, v12
.LBB73_80:                              ;   in Loop: Header=BB73_63 Depth=1
	s_or_b32 exec_lo, exec_lo, s12
.LBB73_81:                              ;   in Loop: Header=BB73_63 Depth=1
	s_delay_alu instid0(SALU_CYCLE_1) | instskip(SKIP_3) | instid1(VALU_DEP_2)
	s_or_b32 exec_lo, exec_lo, s8
	v_and_b32_e32 v3, 0xffff0000, v3
	v_and_b32_e32 v5, 0xffff0000, v5
	s_mov_b32 s8, exec_lo
	v_mul_f32_e32 v3, v28, v3
	s_delay_alu instid0(VALU_DEP_1) | instskip(SKIP_1) | instid1(VALU_DEP_2)
	v_bfe_u32 v11, v3, 16, 1
	v_cmp_o_f32_e32 vcc_lo, v3, v3
	v_add3_u32 v11, v3, v11, 0x7fff
	s_delay_alu instid0(VALU_DEP_1) | instskip(NEXT) | instid1(VALU_DEP_1)
	v_and_b32_e32 v11, 0xffff0000, v11
	v_cndmask_b32_e32 v3, 0x7fc00000, v11, vcc_lo
	s_delay_alu instid0(VALU_DEP_1) | instskip(NEXT) | instid1(VALU_DEP_1)
	v_mul_f32_e32 v3, v3, v5
	v_bfe_u32 v5, v3, 16, 1
	v_cmp_o_f32_e32 vcc_lo, v3, v3
	s_delay_alu instid0(VALU_DEP_2) | instskip(NEXT) | instid1(VALU_DEP_1)
	v_add3_u32 v5, v3, v5, 0x7fff
	v_and_b32_e32 v5, 0xffff0000, v5
	s_delay_alu instid0(VALU_DEP_1) | instskip(NEXT) | instid1(VALU_DEP_1)
	v_cndmask_b32_e32 v3, 0x7fc00000, v5, vcc_lo
	v_div_scale_f32 v5, null, v6, v6, v3
	s_delay_alu instid0(VALU_DEP_1) | instskip(SKIP_2) | instid1(VALU_DEP_1)
	v_rcp_f32_e32 v11, v5
	s_waitcnt_depctr 0xfff
	v_fma_f32 v12, -v5, v11, 1.0
	v_fmac_f32_e32 v11, v12, v11
	v_div_scale_f32 v12, vcc_lo, v3, v6, v3
	s_delay_alu instid0(VALU_DEP_1) | instskip(NEXT) | instid1(VALU_DEP_1)
	v_mul_f32_e32 v13, v12, v11
	v_fma_f32 v14, -v5, v13, v12
	s_delay_alu instid0(VALU_DEP_1) | instskip(NEXT) | instid1(VALU_DEP_1)
	v_fmac_f32_e32 v13, v14, v11
	v_fma_f32 v5, -v5, v13, v12
	s_delay_alu instid0(VALU_DEP_1) | instskip(NEXT) | instid1(VALU_DEP_1)
	v_div_fmas_f32 v5, v5, v11, v13
	v_div_fixup_f32 v3, v5, v6, v3
	s_delay_alu instid0(VALU_DEP_1) | instskip(NEXT) | instid1(VALU_DEP_1)
	v_minmax_f32 v3, v3, s7, 0xc3600000
	v_and_b32_e32 v5, 0x7fffffff, v3
	s_delay_alu instid0(VALU_DEP_1)
	v_cmpx_gt_u32_e32 0x43800000, v5
	s_cbranch_execz .LBB73_87
; %bb.82:                               ;   in Loop: Header=BB73_63 Depth=1
	v_cmp_lt_u32_e32 vcc_lo, 0x3bffffff, v5
	s_mov_b32 s9, 0
                                        ; implicit-def: $vgpr5
	s_and_saveexec_b32 s12, vcc_lo
	s_delay_alu instid0(SALU_CYCLE_1)
	s_xor_b32 s12, exec_lo, s12
	s_cbranch_execnz .LBB73_166
; %bb.83:                               ;   in Loop: Header=BB73_63 Depth=1
	s_or_saveexec_b32 s12, s12
                                        ; implicit-def: $sgpr13
	s_delay_alu instid0(SALU_CYCLE_1)
	s_xor_b32 exec_lo, exec_lo, s12
	s_cbranch_execnz .LBB73_167
.LBB73_84:                              ;   in Loop: Header=BB73_63 Depth=1
	s_or_b32 exec_lo, exec_lo, s12
	v_mov_b32_e32 v2, s13
	s_and_saveexec_b32 s12, s9
.LBB73_85:                              ;   in Loop: Header=BB73_63 Depth=1
	v_lshrrev_b32_e32 v2, 24, v3
	s_delay_alu instid0(VALU_DEP_1)
	v_and_or_b32 v2, 0x80, v2, v5
.LBB73_86:                              ;   in Loop: Header=BB73_63 Depth=1
	s_or_b32 exec_lo, exec_lo, s12
.LBB73_87:                              ;   in Loop: Header=BB73_63 Depth=1
	s_delay_alu instid0(SALU_CYCLE_1)
	s_or_b32 exec_lo, exec_lo, s8
	v_lshlrev_b32_e32 v5, 16, v4
	v_lshlrev_b32_e32 v6, 8, v7
	v_lshlrev_b64 v[3:4], 2, v[0:1]
	v_and_b32_e32 v7, 0xff, v8
	s_mov_b32 s9, -1
	v_perm_b32 v5, v2, v5, 0x4020c0c
	v_and_b32_e32 v6, 0xff00, v6
	v_add_nc_u32_e32 v2, s28, v0
	v_add_co_u32 v3, vcc_lo, s0, v3
	v_add_co_ci_u32_e32 v4, vcc_lo, s1, v4, vcc_lo
	s_delay_alu instid0(VALU_DEP_4)
	v_or3_b32 v5, v5, v6, v7
	s_mov_b32 s8, exec_lo
	global_store_b32 v[3:4], v5, off
	v_cmpx_gt_u32_e64 s14, v2
	s_cbranch_execz .LBB73_62
; %bb.88:                               ;   in Loop: Header=BB73_63 Depth=1
	v_bfe_u32 v14, v2, 5, 25
	s_mov_b32 s9, exec_lo
	s_delay_alu instid0(VALU_DEP_1) | instskip(NEXT) | instid1(VALU_DEP_1)
	v_mad_u64_u32 v[11:12], null, v9, v14, 0
	v_dual_mov_b32 v3, v1 :: v_dual_mov_b32 v8, v12
	s_delay_alu instid0(VALU_DEP_1) | instskip(NEXT) | instid1(VALU_DEP_2)
	v_lshlrev_b64 v[6:7], 3, v[2:3]
	v_mad_u64_u32 v[12:13], null, v10, v14, v[8:9]
	s_delay_alu instid0(VALU_DEP_2) | instskip(NEXT) | instid1(VALU_DEP_3)
	v_add_co_u32 v4, vcc_lo, s26, v6
	v_add_co_ci_u32_e32 v5, vcc_lo, s27, v7, vcc_lo
	v_add_co_u32 v6, vcc_lo, s10, v6
	v_add_co_ci_u32_e32 v7, vcc_lo, s11, v7, vcc_lo
	global_load_b64 v[4:5], v[4:5], off
	v_lshlrev_b64 v[11:12], 2, v[11:12]
	global_load_b64 v[6:7], v[6:7], off
	v_add_co_u32 v11, vcc_lo, s4, v11
	v_add_co_ci_u32_e32 v12, vcc_lo, s5, v12, vcc_lo
	global_load_b32 v8, v[11:12], off
	s_waitcnt vmcnt(2)
	v_lshlrev_b32_e32 v11, 16, v4
	s_waitcnt vmcnt(1)
	v_lshlrev_b32_e32 v13, 16, v6
	s_delay_alu instid0(VALU_DEP_2) | instskip(NEXT) | instid1(VALU_DEP_1)
	v_mul_f32_e32 v11, v28, v11
	v_bfe_u32 v12, v11, 16, 1
	s_delay_alu instid0(VALU_DEP_1) | instskip(NEXT) | instid1(VALU_DEP_1)
	v_add3_u32 v12, v11, v12, 0x7fff
	v_and_b32_e32 v12, 0xffff0000, v12
	v_cmp_o_f32_e32 vcc_lo, v11, v11
	s_delay_alu instid0(VALU_DEP_2) | instskip(NEXT) | instid1(VALU_DEP_1)
	v_cndmask_b32_e32 v11, 0x7fc00000, v12, vcc_lo
	v_mul_f32_e32 v11, v11, v13
	s_delay_alu instid0(VALU_DEP_1) | instskip(NEXT) | instid1(VALU_DEP_1)
	v_bfe_u32 v12, v11, 16, 1
	v_add3_u32 v12, v11, v12, 0x7fff
	s_delay_alu instid0(VALU_DEP_1) | instskip(SKIP_1) | instid1(VALU_DEP_2)
	v_and_b32_e32 v12, 0xffff0000, v12
	v_cmp_o_f32_e32 vcc_lo, v11, v11
	v_cndmask_b32_e32 v11, 0x7fc00000, v12, vcc_lo
	s_waitcnt vmcnt(0)
	s_delay_alu instid0(VALU_DEP_1) | instskip(SKIP_1) | instid1(VALU_DEP_2)
	v_div_scale_f32 v12, null, v8, v8, v11
	v_div_scale_f32 v15, vcc_lo, v11, v8, v11
	v_rcp_f32_e32 v13, v12
	s_waitcnt_depctr 0xfff
	v_fma_f32 v14, -v12, v13, 1.0
	s_delay_alu instid0(VALU_DEP_1) | instskip(NEXT) | instid1(VALU_DEP_1)
	v_fmac_f32_e32 v13, v14, v13
	v_mul_f32_e32 v14, v15, v13
	s_delay_alu instid0(VALU_DEP_1) | instskip(NEXT) | instid1(VALU_DEP_1)
	v_fma_f32 v16, -v12, v14, v15
	v_fmac_f32_e32 v14, v16, v13
	s_delay_alu instid0(VALU_DEP_1) | instskip(NEXT) | instid1(VALU_DEP_1)
	v_fma_f32 v12, -v12, v14, v15
	v_div_fmas_f32 v12, v12, v13, v14
	s_delay_alu instid0(VALU_DEP_1) | instskip(SKIP_1) | instid1(VALU_DEP_2)
	v_div_fixup_f32 v11, v12, v8, v11
	v_mov_b32_e32 v12, 0x80
	v_minmax_f32 v13, v11, s7, 0xc3600000
	v_mov_b32_e32 v11, 0x80
	s_delay_alu instid0(VALU_DEP_2) | instskip(NEXT) | instid1(VALU_DEP_1)
	v_and_b32_e32 v14, 0x7fffffff, v13
	v_cmpx_gt_u32_e32 0x43800000, v14
	s_cbranch_execz .LBB73_94
; %bb.89:                               ;   in Loop: Header=BB73_63 Depth=1
	v_cmp_lt_u32_e32 vcc_lo, 0x3bffffff, v14
	s_mov_b32 s12, 0
                                        ; implicit-def: $vgpr14
	s_and_saveexec_b32 s13, vcc_lo
	s_delay_alu instid0(SALU_CYCLE_1)
	s_xor_b32 s13, exec_lo, s13
	s_cbranch_execnz .LBB73_168
; %bb.90:                               ;   in Loop: Header=BB73_63 Depth=1
	s_or_saveexec_b32 s13, s13
                                        ; implicit-def: $sgpr15
	s_delay_alu instid0(SALU_CYCLE_1)
	s_xor_b32 exec_lo, exec_lo, s13
	s_cbranch_execnz .LBB73_169
.LBB73_91:                              ;   in Loop: Header=BB73_63 Depth=1
	s_or_b32 exec_lo, exec_lo, s13
	v_mov_b32_e32 v11, s15
	s_and_saveexec_b32 s13, s12
.LBB73_92:                              ;   in Loop: Header=BB73_63 Depth=1
	v_lshrrev_b32_e32 v11, 24, v13
	s_delay_alu instid0(VALU_DEP_1)
	v_and_or_b32 v11, 0x80, v11, v14
.LBB73_93:                              ;   in Loop: Header=BB73_63 Depth=1
	s_or_b32 exec_lo, exec_lo, s13
.LBB73_94:                              ;   in Loop: Header=BB73_63 Depth=1
	s_delay_alu instid0(SALU_CYCLE_1) | instskip(SKIP_3) | instid1(VALU_DEP_2)
	s_or_b32 exec_lo, exec_lo, s9
	v_and_b32_e32 v13, 0xffff0000, v4
	v_and_b32_e32 v15, 0xffff0000, v6
	s_mov_b32 s9, exec_lo
	v_mul_f32_e32 v13, v28, v13
	s_delay_alu instid0(VALU_DEP_1) | instskip(NEXT) | instid1(VALU_DEP_1)
	v_bfe_u32 v14, v13, 16, 1
	v_add3_u32 v14, v13, v14, 0x7fff
	s_delay_alu instid0(VALU_DEP_1) | instskip(SKIP_1) | instid1(VALU_DEP_2)
	v_and_b32_e32 v14, 0xffff0000, v14
	v_cmp_o_f32_e32 vcc_lo, v13, v13
	v_cndmask_b32_e32 v13, 0x7fc00000, v14, vcc_lo
	s_delay_alu instid0(VALU_DEP_1) | instskip(NEXT) | instid1(VALU_DEP_1)
	v_mul_f32_e32 v13, v13, v15
	v_bfe_u32 v14, v13, 16, 1
	s_delay_alu instid0(VALU_DEP_1) | instskip(NEXT) | instid1(VALU_DEP_1)
	v_add3_u32 v14, v13, v14, 0x7fff
	v_and_b32_e32 v14, 0xffff0000, v14
	v_cmp_o_f32_e32 vcc_lo, v13, v13
	s_delay_alu instid0(VALU_DEP_2) | instskip(NEXT) | instid1(VALU_DEP_1)
	v_cndmask_b32_e32 v13, 0x7fc00000, v14, vcc_lo
	v_div_scale_f32 v14, null, v8, v8, v13
	s_delay_alu instid0(VALU_DEP_1) | instskip(SKIP_2) | instid1(VALU_DEP_1)
	v_rcp_f32_e32 v15, v14
	s_waitcnt_depctr 0xfff
	v_fma_f32 v16, -v14, v15, 1.0
	v_fmac_f32_e32 v15, v16, v15
	v_div_scale_f32 v16, vcc_lo, v13, v8, v13
	s_delay_alu instid0(VALU_DEP_1) | instskip(NEXT) | instid1(VALU_DEP_1)
	v_mul_f32_e32 v17, v16, v15
	v_fma_f32 v18, -v14, v17, v16
	s_delay_alu instid0(VALU_DEP_1) | instskip(NEXT) | instid1(VALU_DEP_1)
	v_fmac_f32_e32 v17, v18, v15
	v_fma_f32 v14, -v14, v17, v16
	s_delay_alu instid0(VALU_DEP_1) | instskip(NEXT) | instid1(VALU_DEP_1)
	v_div_fmas_f32 v14, v14, v15, v17
	v_div_fixup_f32 v13, v14, v8, v13
	s_delay_alu instid0(VALU_DEP_1) | instskip(NEXT) | instid1(VALU_DEP_1)
	v_minmax_f32 v13, v13, s7, 0xc3600000
	v_and_b32_e32 v14, 0x7fffffff, v13
	s_delay_alu instid0(VALU_DEP_1)
	v_cmpx_gt_u32_e32 0x43800000, v14
	s_cbranch_execz .LBB73_100
; %bb.95:                               ;   in Loop: Header=BB73_63 Depth=1
	v_cmp_lt_u32_e32 vcc_lo, 0x3bffffff, v14
	s_mov_b32 s12, 0
                                        ; implicit-def: $vgpr14
	s_and_saveexec_b32 s13, vcc_lo
	s_delay_alu instid0(SALU_CYCLE_1)
	s_xor_b32 s13, exec_lo, s13
	s_cbranch_execnz .LBB73_170
; %bb.96:                               ;   in Loop: Header=BB73_63 Depth=1
	s_or_saveexec_b32 s13, s13
                                        ; implicit-def: $sgpr15
	s_delay_alu instid0(SALU_CYCLE_1)
	s_xor_b32 exec_lo, exec_lo, s13
	s_cbranch_execnz .LBB73_171
.LBB73_97:                              ;   in Loop: Header=BB73_63 Depth=1
	s_or_b32 exec_lo, exec_lo, s13
	v_mov_b32_e32 v12, s15
	s_and_saveexec_b32 s13, s12
.LBB73_98:                              ;   in Loop: Header=BB73_63 Depth=1
	v_lshrrev_b32_e32 v12, 24, v13
	s_delay_alu instid0(VALU_DEP_1)
	v_and_or_b32 v12, 0x80, v12, v14
.LBB73_99:                              ;   in Loop: Header=BB73_63 Depth=1
	s_or_b32 exec_lo, exec_lo, s13
.LBB73_100:                             ;   in Loop: Header=BB73_63 Depth=1
	s_delay_alu instid0(SALU_CYCLE_1) | instskip(SKIP_3) | instid1(VALU_DEP_2)
	s_or_b32 exec_lo, exec_lo, s9
	v_alignbit_b32 v4, v5, v4, 16
	v_alignbit_b32 v6, v7, v6, 16
	s_mov_b32 s9, exec_lo
	v_and_b32_e32 v4, 0xffff0000, v4
	s_delay_alu instid0(VALU_DEP_2) | instskip(NEXT) | instid1(VALU_DEP_2)
	v_and_b32_e32 v6, 0xffff0000, v6
	v_mul_f32_e32 v4, v28, v4
	s_delay_alu instid0(VALU_DEP_1) | instskip(NEXT) | instid1(VALU_DEP_1)
	v_bfe_u32 v13, v4, 16, 1
	v_add3_u32 v13, v4, v13, 0x7fff
	s_delay_alu instid0(VALU_DEP_1) | instskip(SKIP_1) | instid1(VALU_DEP_2)
	v_and_b32_e32 v13, 0xffff0000, v13
	v_cmp_o_f32_e32 vcc_lo, v4, v4
	v_cndmask_b32_e32 v4, 0x7fc00000, v13, vcc_lo
	s_delay_alu instid0(VALU_DEP_1) | instskip(NEXT) | instid1(VALU_DEP_1)
	v_mul_f32_e32 v4, v4, v6
	v_bfe_u32 v6, v4, 16, 1
	v_cmp_o_f32_e32 vcc_lo, v4, v4
	s_delay_alu instid0(VALU_DEP_2) | instskip(NEXT) | instid1(VALU_DEP_1)
	v_add3_u32 v6, v4, v6, 0x7fff
	v_and_b32_e32 v6, 0xffff0000, v6
	s_delay_alu instid0(VALU_DEP_1) | instskip(NEXT) | instid1(VALU_DEP_1)
	v_cndmask_b32_e32 v4, 0x7fc00000, v6, vcc_lo
	v_div_scale_f32 v6, null, v8, v8, v4
	v_div_scale_f32 v15, vcc_lo, v4, v8, v4
	s_delay_alu instid0(VALU_DEP_2) | instskip(SKIP_2) | instid1(VALU_DEP_1)
	v_rcp_f32_e32 v13, v6
	s_waitcnt_depctr 0xfff
	v_fma_f32 v14, -v6, v13, 1.0
	v_fmac_f32_e32 v13, v14, v13
	s_delay_alu instid0(VALU_DEP_1) | instskip(NEXT) | instid1(VALU_DEP_1)
	v_mul_f32_e32 v14, v15, v13
	v_fma_f32 v16, -v6, v14, v15
	s_delay_alu instid0(VALU_DEP_1) | instskip(NEXT) | instid1(VALU_DEP_1)
	v_fmac_f32_e32 v14, v16, v13
	v_fma_f32 v6, -v6, v14, v15
	s_delay_alu instid0(VALU_DEP_1) | instskip(NEXT) | instid1(VALU_DEP_1)
	v_div_fmas_f32 v6, v6, v13, v14
	v_div_fixup_f32 v4, v6, v8, v4
	v_mov_b32_e32 v6, 0x80
	s_delay_alu instid0(VALU_DEP_2) | instskip(SKIP_1) | instid1(VALU_DEP_2)
	v_minmax_f32 v13, v4, s7, 0xc3600000
	v_mov_b32_e32 v4, 0x80
	v_and_b32_e32 v14, 0x7fffffff, v13
	s_delay_alu instid0(VALU_DEP_1)
	v_cmpx_gt_u32_e32 0x43800000, v14
	s_cbranch_execz .LBB73_106
; %bb.101:                              ;   in Loop: Header=BB73_63 Depth=1
	v_cmp_lt_u32_e32 vcc_lo, 0x3bffffff, v14
	s_mov_b32 s12, 0
                                        ; implicit-def: $vgpr14
	s_and_saveexec_b32 s13, vcc_lo
	s_delay_alu instid0(SALU_CYCLE_1)
	s_xor_b32 s13, exec_lo, s13
	s_cbranch_execnz .LBB73_172
; %bb.102:                              ;   in Loop: Header=BB73_63 Depth=1
	s_or_saveexec_b32 s13, s13
                                        ; implicit-def: $sgpr15
	s_delay_alu instid0(SALU_CYCLE_1)
	s_xor_b32 exec_lo, exec_lo, s13
	s_cbranch_execnz .LBB73_173
.LBB73_103:                             ;   in Loop: Header=BB73_63 Depth=1
	s_or_b32 exec_lo, exec_lo, s13
	v_mov_b32_e32 v6, s15
	s_and_saveexec_b32 s13, s12
.LBB73_104:                             ;   in Loop: Header=BB73_63 Depth=1
	v_lshrrev_b32_e32 v6, 24, v13
	s_delay_alu instid0(VALU_DEP_1)
	v_and_or_b32 v6, 0x80, v6, v14
.LBB73_105:                             ;   in Loop: Header=BB73_63 Depth=1
	s_or_b32 exec_lo, exec_lo, s13
.LBB73_106:                             ;   in Loop: Header=BB73_63 Depth=1
	s_delay_alu instid0(SALU_CYCLE_1) | instskip(SKIP_3) | instid1(VALU_DEP_2)
	s_or_b32 exec_lo, exec_lo, s9
	v_and_b32_e32 v5, 0xffff0000, v5
	v_and_b32_e32 v7, 0xffff0000, v7
	s_mov_b32 s9, exec_lo
	v_mul_f32_e32 v5, v28, v5
	s_delay_alu instid0(VALU_DEP_1) | instskip(SKIP_1) | instid1(VALU_DEP_2)
	v_bfe_u32 v13, v5, 16, 1
	v_cmp_o_f32_e32 vcc_lo, v5, v5
	v_add3_u32 v13, v5, v13, 0x7fff
	s_delay_alu instid0(VALU_DEP_1) | instskip(NEXT) | instid1(VALU_DEP_1)
	v_and_b32_e32 v13, 0xffff0000, v13
	v_cndmask_b32_e32 v5, 0x7fc00000, v13, vcc_lo
	s_delay_alu instid0(VALU_DEP_1) | instskip(NEXT) | instid1(VALU_DEP_1)
	v_mul_f32_e32 v5, v5, v7
	v_bfe_u32 v7, v5, 16, 1
	v_cmp_o_f32_e32 vcc_lo, v5, v5
	s_delay_alu instid0(VALU_DEP_2) | instskip(NEXT) | instid1(VALU_DEP_1)
	v_add3_u32 v7, v5, v7, 0x7fff
	v_and_b32_e32 v7, 0xffff0000, v7
	s_delay_alu instid0(VALU_DEP_1) | instskip(NEXT) | instid1(VALU_DEP_1)
	v_cndmask_b32_e32 v5, 0x7fc00000, v7, vcc_lo
	v_div_scale_f32 v7, null, v8, v8, v5
	s_delay_alu instid0(VALU_DEP_1) | instskip(SKIP_2) | instid1(VALU_DEP_1)
	v_rcp_f32_e32 v13, v7
	s_waitcnt_depctr 0xfff
	v_fma_f32 v14, -v7, v13, 1.0
	v_fmac_f32_e32 v13, v14, v13
	v_div_scale_f32 v14, vcc_lo, v5, v8, v5
	s_delay_alu instid0(VALU_DEP_1) | instskip(NEXT) | instid1(VALU_DEP_1)
	v_mul_f32_e32 v15, v14, v13
	v_fma_f32 v16, -v7, v15, v14
	s_delay_alu instid0(VALU_DEP_1) | instskip(NEXT) | instid1(VALU_DEP_1)
	v_fmac_f32_e32 v15, v16, v13
	v_fma_f32 v7, -v7, v15, v14
	s_delay_alu instid0(VALU_DEP_1) | instskip(NEXT) | instid1(VALU_DEP_1)
	v_div_fmas_f32 v7, v7, v13, v15
	v_div_fixup_f32 v5, v7, v8, v5
	s_delay_alu instid0(VALU_DEP_1) | instskip(NEXT) | instid1(VALU_DEP_1)
	v_minmax_f32 v5, v5, s7, 0xc3600000
	v_and_b32_e32 v7, 0x7fffffff, v5
	s_delay_alu instid0(VALU_DEP_1)
	v_cmpx_gt_u32_e32 0x43800000, v7
	s_cbranch_execz .LBB73_112
; %bb.107:                              ;   in Loop: Header=BB73_63 Depth=1
	v_cmp_lt_u32_e32 vcc_lo, 0x3bffffff, v7
	s_mov_b32 s12, 0
                                        ; implicit-def: $vgpr7
	s_and_saveexec_b32 s13, vcc_lo
	s_delay_alu instid0(SALU_CYCLE_1)
	s_xor_b32 s13, exec_lo, s13
	s_cbranch_execnz .LBB73_174
; %bb.108:                              ;   in Loop: Header=BB73_63 Depth=1
	s_or_saveexec_b32 s13, s13
                                        ; implicit-def: $sgpr15
	s_delay_alu instid0(SALU_CYCLE_1)
	s_xor_b32 exec_lo, exec_lo, s13
	s_cbranch_execnz .LBB73_175
.LBB73_109:                             ;   in Loop: Header=BB73_63 Depth=1
	s_or_b32 exec_lo, exec_lo, s13
	v_mov_b32_e32 v4, s15
	s_and_saveexec_b32 s13, s12
.LBB73_110:                             ;   in Loop: Header=BB73_63 Depth=1
	v_lshrrev_b32_e32 v4, 24, v5
	s_delay_alu instid0(VALU_DEP_1)
	v_and_or_b32 v4, 0x80, v4, v7
.LBB73_111:                             ;   in Loop: Header=BB73_63 Depth=1
	s_or_b32 exec_lo, exec_lo, s13
.LBB73_112:                             ;   in Loop: Header=BB73_63 Depth=1
	s_delay_alu instid0(SALU_CYCLE_1)
	s_or_b32 exec_lo, exec_lo, s9
	v_lshlrev_b32_e32 v7, 16, v6
	v_lshlrev_b32_e32 v8, 8, v12
	v_lshlrev_b64 v[5:6], 2, v[2:3]
	v_and_b32_e32 v11, 0xff, v11
	v_add_nc_u32_e32 v3, s3, v0
	v_perm_b32 v7, v4, v7, 0x4020c0c
	v_and_b32_e32 v8, 0xff00, v8
	s_mov_b32 s12, -1
	v_add_co_u32 v4, vcc_lo, s0, v5
	v_add_co_ci_u32_e32 v5, vcc_lo, s1, v6, vcc_lo
	s_delay_alu instid0(VALU_DEP_3)
	v_or3_b32 v6, v7, v8, v11
	s_mov_b32 s9, exec_lo
	global_store_b32 v[4:5], v6, off
	v_cmpx_gt_u32_e64 s14, v3
	s_cbranch_execz .LBB73_61
; %bb.113:                              ;   in Loop: Header=BB73_63 Depth=1
	v_mov_b32_e32 v4, v1
	v_bfe_u32 v15, v3, 5, 25
	s_mov_b32 s12, exec_lo
	s_delay_alu instid0(VALU_DEP_2) | instskip(NEXT) | instid1(VALU_DEP_2)
	v_lshlrev_b64 v[7:8], 3, v[3:4]
	v_mad_u64_u32 v[11:12], null, v9, v15, 0
	s_delay_alu instid0(VALU_DEP_2) | instskip(NEXT) | instid1(VALU_DEP_3)
	v_add_co_u32 v5, vcc_lo, s26, v7
	v_add_co_ci_u32_e32 v6, vcc_lo, s27, v8, vcc_lo
	v_add_co_u32 v7, vcc_lo, s10, v7
	v_add_co_ci_u32_e32 v8, vcc_lo, s11, v8, vcc_lo
	global_load_b64 v[5:6], v[5:6], off
	v_mad_u64_u32 v[13:14], null, v10, v15, v[12:13]
	global_load_b64 v[7:8], v[7:8], off
	v_mov_b32_e32 v12, v13
	s_delay_alu instid0(VALU_DEP_1) | instskip(NEXT) | instid1(VALU_DEP_1)
	v_lshlrev_b64 v[11:12], 2, v[11:12]
	v_add_co_u32 v11, vcc_lo, s4, v11
	s_delay_alu instid0(VALU_DEP_2)
	v_add_co_ci_u32_e32 v12, vcc_lo, s5, v12, vcc_lo
	global_load_b32 v11, v[11:12], off
	s_waitcnt vmcnt(2)
	v_lshlrev_b32_e32 v12, 16, v5
	s_waitcnt vmcnt(1)
	v_lshlrev_b32_e32 v14, 16, v7
	s_delay_alu instid0(VALU_DEP_2) | instskip(NEXT) | instid1(VALU_DEP_1)
	v_mul_f32_e32 v12, v28, v12
	v_bfe_u32 v13, v12, 16, 1
	v_cmp_o_f32_e32 vcc_lo, v12, v12
	s_delay_alu instid0(VALU_DEP_2) | instskip(NEXT) | instid1(VALU_DEP_1)
	v_add3_u32 v13, v12, v13, 0x7fff
	v_and_b32_e32 v13, 0xffff0000, v13
	s_delay_alu instid0(VALU_DEP_1) | instskip(NEXT) | instid1(VALU_DEP_1)
	v_cndmask_b32_e32 v12, 0x7fc00000, v13, vcc_lo
	v_mul_f32_e32 v12, v12, v14
	s_delay_alu instid0(VALU_DEP_1) | instskip(SKIP_1) | instid1(VALU_DEP_2)
	v_bfe_u32 v13, v12, 16, 1
	v_cmp_o_f32_e32 vcc_lo, v12, v12
	v_add3_u32 v13, v12, v13, 0x7fff
	s_delay_alu instid0(VALU_DEP_1) | instskip(NEXT) | instid1(VALU_DEP_1)
	v_and_b32_e32 v13, 0xffff0000, v13
	v_cndmask_b32_e32 v12, 0x7fc00000, v13, vcc_lo
	s_waitcnt vmcnt(0)
	s_delay_alu instid0(VALU_DEP_1) | instskip(SKIP_1) | instid1(VALU_DEP_2)
	v_div_scale_f32 v13, null, v11, v11, v12
	v_div_scale_f32 v16, vcc_lo, v12, v11, v12
	v_rcp_f32_e32 v14, v13
	s_waitcnt_depctr 0xfff
	v_fma_f32 v15, -v13, v14, 1.0
	s_delay_alu instid0(VALU_DEP_1) | instskip(NEXT) | instid1(VALU_DEP_1)
	v_fmac_f32_e32 v14, v15, v14
	v_mul_f32_e32 v15, v16, v14
	s_delay_alu instid0(VALU_DEP_1) | instskip(NEXT) | instid1(VALU_DEP_1)
	v_fma_f32 v17, -v13, v15, v16
	v_fmac_f32_e32 v15, v17, v14
	s_delay_alu instid0(VALU_DEP_1) | instskip(NEXT) | instid1(VALU_DEP_1)
	v_fma_f32 v13, -v13, v15, v16
	v_div_fmas_f32 v13, v13, v14, v15
	s_delay_alu instid0(VALU_DEP_1) | instskip(SKIP_1) | instid1(VALU_DEP_2)
	v_div_fixup_f32 v12, v13, v11, v12
	v_mov_b32_e32 v13, 0x80
	v_minmax_f32 v14, v12, s7, 0xc3600000
	v_mov_b32_e32 v12, 0x80
	s_delay_alu instid0(VALU_DEP_2) | instskip(NEXT) | instid1(VALU_DEP_1)
	v_and_b32_e32 v15, 0x7fffffff, v14
	v_cmpx_gt_u32_e32 0x43800000, v15
	s_cbranch_execz .LBB73_119
; %bb.114:                              ;   in Loop: Header=BB73_63 Depth=1
	v_cmp_lt_u32_e32 vcc_lo, 0x3bffffff, v15
	s_mov_b32 s13, 0
                                        ; implicit-def: $vgpr15
	s_and_saveexec_b32 s15, vcc_lo
	s_delay_alu instid0(SALU_CYCLE_1)
	s_xor_b32 s15, exec_lo, s15
	s_cbranch_execnz .LBB73_176
; %bb.115:                              ;   in Loop: Header=BB73_63 Depth=1
	s_or_saveexec_b32 s15, s15
                                        ; implicit-def: $sgpr16
	s_delay_alu instid0(SALU_CYCLE_1)
	s_xor_b32 exec_lo, exec_lo, s15
	s_cbranch_execnz .LBB73_177
.LBB73_116:                             ;   in Loop: Header=BB73_63 Depth=1
	s_or_b32 exec_lo, exec_lo, s15
	v_mov_b32_e32 v12, s16
	s_and_saveexec_b32 s15, s13
.LBB73_117:                             ;   in Loop: Header=BB73_63 Depth=1
	v_lshrrev_b32_e32 v12, 24, v14
	s_delay_alu instid0(VALU_DEP_1)
	v_and_or_b32 v12, 0x80, v12, v15
.LBB73_118:                             ;   in Loop: Header=BB73_63 Depth=1
	s_or_b32 exec_lo, exec_lo, s15
.LBB73_119:                             ;   in Loop: Header=BB73_63 Depth=1
	s_delay_alu instid0(SALU_CYCLE_1) | instskip(SKIP_3) | instid1(VALU_DEP_2)
	s_or_b32 exec_lo, exec_lo, s12
	v_and_b32_e32 v14, 0xffff0000, v5
	v_and_b32_e32 v16, 0xffff0000, v7
	s_mov_b32 s12, exec_lo
	v_mul_f32_e32 v14, v28, v14
	s_delay_alu instid0(VALU_DEP_1) | instskip(NEXT) | instid1(VALU_DEP_1)
	v_bfe_u32 v15, v14, 16, 1
	v_add3_u32 v15, v14, v15, 0x7fff
	s_delay_alu instid0(VALU_DEP_1) | instskip(SKIP_1) | instid1(VALU_DEP_2)
	v_and_b32_e32 v15, 0xffff0000, v15
	v_cmp_o_f32_e32 vcc_lo, v14, v14
	v_cndmask_b32_e32 v14, 0x7fc00000, v15, vcc_lo
	s_delay_alu instid0(VALU_DEP_1) | instskip(NEXT) | instid1(VALU_DEP_1)
	v_mul_f32_e32 v14, v14, v16
	v_bfe_u32 v15, v14, 16, 1
	s_delay_alu instid0(VALU_DEP_1) | instskip(NEXT) | instid1(VALU_DEP_1)
	v_add3_u32 v15, v14, v15, 0x7fff
	v_and_b32_e32 v15, 0xffff0000, v15
	v_cmp_o_f32_e32 vcc_lo, v14, v14
	s_delay_alu instid0(VALU_DEP_2) | instskip(NEXT) | instid1(VALU_DEP_1)
	v_cndmask_b32_e32 v14, 0x7fc00000, v15, vcc_lo
	v_div_scale_f32 v15, null, v11, v11, v14
	s_delay_alu instid0(VALU_DEP_1) | instskip(SKIP_2) | instid1(VALU_DEP_1)
	v_rcp_f32_e32 v16, v15
	s_waitcnt_depctr 0xfff
	v_fma_f32 v17, -v15, v16, 1.0
	v_fmac_f32_e32 v16, v17, v16
	v_div_scale_f32 v17, vcc_lo, v14, v11, v14
	s_delay_alu instid0(VALU_DEP_1) | instskip(NEXT) | instid1(VALU_DEP_1)
	v_mul_f32_e32 v18, v17, v16
	v_fma_f32 v19, -v15, v18, v17
	s_delay_alu instid0(VALU_DEP_1) | instskip(NEXT) | instid1(VALU_DEP_1)
	v_fmac_f32_e32 v18, v19, v16
	v_fma_f32 v15, -v15, v18, v17
	s_delay_alu instid0(VALU_DEP_1) | instskip(NEXT) | instid1(VALU_DEP_1)
	v_div_fmas_f32 v15, v15, v16, v18
	v_div_fixup_f32 v14, v15, v11, v14
	s_delay_alu instid0(VALU_DEP_1) | instskip(NEXT) | instid1(VALU_DEP_1)
	v_minmax_f32 v14, v14, s7, 0xc3600000
	v_and_b32_e32 v15, 0x7fffffff, v14
	s_delay_alu instid0(VALU_DEP_1)
	v_cmpx_gt_u32_e32 0x43800000, v15
	s_cbranch_execz .LBB73_125
; %bb.120:                              ;   in Loop: Header=BB73_63 Depth=1
	v_cmp_lt_u32_e32 vcc_lo, 0x3bffffff, v15
	s_mov_b32 s13, 0
                                        ; implicit-def: $vgpr15
	s_and_saveexec_b32 s15, vcc_lo
	s_delay_alu instid0(SALU_CYCLE_1)
	s_xor_b32 s15, exec_lo, s15
	s_cbranch_execnz .LBB73_178
; %bb.121:                              ;   in Loop: Header=BB73_63 Depth=1
	s_or_saveexec_b32 s15, s15
                                        ; implicit-def: $sgpr16
	s_delay_alu instid0(SALU_CYCLE_1)
	s_xor_b32 exec_lo, exec_lo, s15
	s_cbranch_execnz .LBB73_179
.LBB73_122:                             ;   in Loop: Header=BB73_63 Depth=1
	s_or_b32 exec_lo, exec_lo, s15
	v_mov_b32_e32 v13, s16
	s_and_saveexec_b32 s15, s13
.LBB73_123:                             ;   in Loop: Header=BB73_63 Depth=1
	v_lshrrev_b32_e32 v13, 24, v14
	s_delay_alu instid0(VALU_DEP_1)
	v_and_or_b32 v13, 0x80, v13, v15
.LBB73_124:                             ;   in Loop: Header=BB73_63 Depth=1
	s_or_b32 exec_lo, exec_lo, s15
.LBB73_125:                             ;   in Loop: Header=BB73_63 Depth=1
	s_delay_alu instid0(SALU_CYCLE_1) | instskip(SKIP_3) | instid1(VALU_DEP_2)
	s_or_b32 exec_lo, exec_lo, s12
	v_alignbit_b32 v5, v6, v5, 16
	v_alignbit_b32 v7, v8, v7, 16
	s_mov_b32 s12, exec_lo
	v_and_b32_e32 v5, 0xffff0000, v5
	s_delay_alu instid0(VALU_DEP_2) | instskip(NEXT) | instid1(VALU_DEP_2)
	v_and_b32_e32 v7, 0xffff0000, v7
	v_mul_f32_e32 v5, v28, v5
	s_delay_alu instid0(VALU_DEP_1) | instskip(NEXT) | instid1(VALU_DEP_1)
	v_bfe_u32 v14, v5, 16, 1
	v_add3_u32 v14, v5, v14, 0x7fff
	s_delay_alu instid0(VALU_DEP_1) | instskip(SKIP_1) | instid1(VALU_DEP_2)
	v_and_b32_e32 v14, 0xffff0000, v14
	v_cmp_o_f32_e32 vcc_lo, v5, v5
	v_cndmask_b32_e32 v5, 0x7fc00000, v14, vcc_lo
	s_delay_alu instid0(VALU_DEP_1) | instskip(NEXT) | instid1(VALU_DEP_1)
	v_mul_f32_e32 v5, v5, v7
	v_bfe_u32 v7, v5, 16, 1
	v_cmp_o_f32_e32 vcc_lo, v5, v5
	s_delay_alu instid0(VALU_DEP_2) | instskip(NEXT) | instid1(VALU_DEP_1)
	v_add3_u32 v7, v5, v7, 0x7fff
	v_and_b32_e32 v7, 0xffff0000, v7
	s_delay_alu instid0(VALU_DEP_1) | instskip(NEXT) | instid1(VALU_DEP_1)
	v_cndmask_b32_e32 v5, 0x7fc00000, v7, vcc_lo
	v_div_scale_f32 v7, null, v11, v11, v5
	v_div_scale_f32 v16, vcc_lo, v5, v11, v5
	s_delay_alu instid0(VALU_DEP_2) | instskip(SKIP_2) | instid1(VALU_DEP_1)
	v_rcp_f32_e32 v14, v7
	s_waitcnt_depctr 0xfff
	v_fma_f32 v15, -v7, v14, 1.0
	v_fmac_f32_e32 v14, v15, v14
	s_delay_alu instid0(VALU_DEP_1) | instskip(NEXT) | instid1(VALU_DEP_1)
	v_mul_f32_e32 v15, v16, v14
	v_fma_f32 v17, -v7, v15, v16
	s_delay_alu instid0(VALU_DEP_1) | instskip(NEXT) | instid1(VALU_DEP_1)
	v_fmac_f32_e32 v15, v17, v14
	v_fma_f32 v7, -v7, v15, v16
	s_delay_alu instid0(VALU_DEP_1) | instskip(NEXT) | instid1(VALU_DEP_1)
	v_div_fmas_f32 v7, v7, v14, v15
	v_div_fixup_f32 v5, v7, v11, v5
	v_mov_b32_e32 v7, 0x80
	s_delay_alu instid0(VALU_DEP_2) | instskip(SKIP_1) | instid1(VALU_DEP_2)
	v_minmax_f32 v14, v5, s7, 0xc3600000
	v_mov_b32_e32 v5, 0x80
	v_and_b32_e32 v15, 0x7fffffff, v14
	s_delay_alu instid0(VALU_DEP_1)
	v_cmpx_gt_u32_e32 0x43800000, v15
	s_cbranch_execz .LBB73_131
; %bb.126:                              ;   in Loop: Header=BB73_63 Depth=1
	v_cmp_lt_u32_e32 vcc_lo, 0x3bffffff, v15
	s_mov_b32 s13, 0
                                        ; implicit-def: $vgpr15
	s_and_saveexec_b32 s15, vcc_lo
	s_delay_alu instid0(SALU_CYCLE_1)
	s_xor_b32 s15, exec_lo, s15
	s_cbranch_execnz .LBB73_180
; %bb.127:                              ;   in Loop: Header=BB73_63 Depth=1
	s_or_saveexec_b32 s15, s15
                                        ; implicit-def: $sgpr16
	s_delay_alu instid0(SALU_CYCLE_1)
	s_xor_b32 exec_lo, exec_lo, s15
	s_cbranch_execnz .LBB73_181
.LBB73_128:                             ;   in Loop: Header=BB73_63 Depth=1
	s_or_b32 exec_lo, exec_lo, s15
	v_mov_b32_e32 v7, s16
	s_and_saveexec_b32 s15, s13
.LBB73_129:                             ;   in Loop: Header=BB73_63 Depth=1
	v_lshrrev_b32_e32 v7, 24, v14
	s_delay_alu instid0(VALU_DEP_1)
	v_and_or_b32 v7, 0x80, v7, v15
.LBB73_130:                             ;   in Loop: Header=BB73_63 Depth=1
	s_or_b32 exec_lo, exec_lo, s15
.LBB73_131:                             ;   in Loop: Header=BB73_63 Depth=1
	s_delay_alu instid0(SALU_CYCLE_1) | instskip(SKIP_3) | instid1(VALU_DEP_2)
	s_or_b32 exec_lo, exec_lo, s12
	v_and_b32_e32 v6, 0xffff0000, v6
	v_and_b32_e32 v8, 0xffff0000, v8
	s_mov_b32 s12, exec_lo
	v_mul_f32_e32 v6, v28, v6
	s_delay_alu instid0(VALU_DEP_1) | instskip(SKIP_1) | instid1(VALU_DEP_2)
	v_bfe_u32 v14, v6, 16, 1
	v_cmp_o_f32_e32 vcc_lo, v6, v6
	v_add3_u32 v14, v6, v14, 0x7fff
	s_delay_alu instid0(VALU_DEP_1) | instskip(NEXT) | instid1(VALU_DEP_1)
	v_and_b32_e32 v14, 0xffff0000, v14
	v_cndmask_b32_e32 v6, 0x7fc00000, v14, vcc_lo
	s_delay_alu instid0(VALU_DEP_1) | instskip(NEXT) | instid1(VALU_DEP_1)
	v_mul_f32_e32 v6, v6, v8
	v_bfe_u32 v8, v6, 16, 1
	v_cmp_o_f32_e32 vcc_lo, v6, v6
	s_delay_alu instid0(VALU_DEP_2) | instskip(NEXT) | instid1(VALU_DEP_1)
	v_add3_u32 v8, v6, v8, 0x7fff
	v_and_b32_e32 v8, 0xffff0000, v8
	s_delay_alu instid0(VALU_DEP_1) | instskip(NEXT) | instid1(VALU_DEP_1)
	v_cndmask_b32_e32 v6, 0x7fc00000, v8, vcc_lo
	v_div_scale_f32 v8, null, v11, v11, v6
	s_delay_alu instid0(VALU_DEP_1) | instskip(SKIP_2) | instid1(VALU_DEP_1)
	v_rcp_f32_e32 v14, v8
	s_waitcnt_depctr 0xfff
	v_fma_f32 v15, -v8, v14, 1.0
	v_fmac_f32_e32 v14, v15, v14
	v_div_scale_f32 v15, vcc_lo, v6, v11, v6
	s_delay_alu instid0(VALU_DEP_1) | instskip(NEXT) | instid1(VALU_DEP_1)
	v_mul_f32_e32 v16, v15, v14
	v_fma_f32 v17, -v8, v16, v15
	s_delay_alu instid0(VALU_DEP_1) | instskip(NEXT) | instid1(VALU_DEP_1)
	v_fmac_f32_e32 v16, v17, v14
	v_fma_f32 v8, -v8, v16, v15
	s_delay_alu instid0(VALU_DEP_1) | instskip(NEXT) | instid1(VALU_DEP_1)
	v_div_fmas_f32 v8, v8, v14, v16
	v_div_fixup_f32 v6, v8, v11, v6
	s_delay_alu instid0(VALU_DEP_1) | instskip(NEXT) | instid1(VALU_DEP_1)
	v_minmax_f32 v6, v6, s7, 0xc3600000
	v_and_b32_e32 v8, 0x7fffffff, v6
	s_delay_alu instid0(VALU_DEP_1)
	v_cmpx_gt_u32_e32 0x43800000, v8
	s_cbranch_execz .LBB73_137
; %bb.132:                              ;   in Loop: Header=BB73_63 Depth=1
	v_cmp_lt_u32_e32 vcc_lo, 0x3bffffff, v8
	s_mov_b32 s13, 0
                                        ; implicit-def: $vgpr8
	s_and_saveexec_b32 s15, vcc_lo
	s_delay_alu instid0(SALU_CYCLE_1)
	s_xor_b32 s15, exec_lo, s15
	s_cbranch_execnz .LBB73_182
; %bb.133:                              ;   in Loop: Header=BB73_63 Depth=1
	s_or_saveexec_b32 s15, s15
                                        ; implicit-def: $sgpr16
	s_delay_alu instid0(SALU_CYCLE_1)
	s_xor_b32 exec_lo, exec_lo, s15
	s_cbranch_execnz .LBB73_183
.LBB73_134:                             ;   in Loop: Header=BB73_63 Depth=1
	s_or_b32 exec_lo, exec_lo, s15
	v_mov_b32_e32 v5, s16
	s_and_saveexec_b32 s15, s13
.LBB73_135:                             ;   in Loop: Header=BB73_63 Depth=1
	v_lshrrev_b32_e32 v5, 24, v6
	s_delay_alu instid0(VALU_DEP_1)
	v_and_or_b32 v5, 0x80, v5, v8
.LBB73_136:                             ;   in Loop: Header=BB73_63 Depth=1
	s_or_b32 exec_lo, exec_lo, s15
.LBB73_137:                             ;   in Loop: Header=BB73_63 Depth=1
	s_delay_alu instid0(SALU_CYCLE_1)
	s_or_b32 exec_lo, exec_lo, s12
	v_lshlrev_b32_e32 v6, 16, v7
	v_lshlrev_b32_e32 v7, 8, v13
	v_lshlrev_b64 v[3:4], 2, v[3:4]
	v_and_b32_e32 v8, 0xff, v12
	v_add_nc_u32_e32 v0, s2, v0
	v_perm_b32 v5, v5, v6, 0x4020c0c
	v_and_b32_e32 v6, 0xff00, v7
	s_mov_b32 s13, -1
	v_add_co_u32 v3, vcc_lo, s0, v3
	v_add_co_ci_u32_e32 v4, vcc_lo, s1, v4, vcc_lo
	s_delay_alu instid0(VALU_DEP_3)
	v_or3_b32 v5, v5, v6, v8
	s_mov_b32 s12, exec_lo
	global_store_b32 v[3:4], v5, off
	v_cmpx_gt_u32_e64 s14, v0
	s_cbranch_execz .LBB73_60
; %bb.138:                              ;   in Loop: Header=BB73_63 Depth=1
	v_lshlrev_b64 v[5:6], 3, v[0:1]
	v_bfe_u32 v13, v0, 5, 25
	s_mov_b32 s13, exec_lo
	s_delay_alu instid0(VALU_DEP_1) | instskip(NEXT) | instid1(VALU_DEP_3)
	v_mad_u64_u32 v[7:8], null, v9, v13, 0
	v_add_co_u32 v3, vcc_lo, s26, v5
	s_delay_alu instid0(VALU_DEP_4)
	v_add_co_ci_u32_e32 v4, vcc_lo, s27, v6, vcc_lo
	v_add_co_u32 v5, vcc_lo, s10, v5
	v_add_co_ci_u32_e32 v6, vcc_lo, s11, v6, vcc_lo
	global_load_b64 v[3:4], v[3:4], off
	v_mad_u64_u32 v[11:12], null, v10, v13, v[8:9]
	global_load_b64 v[5:6], v[5:6], off
	v_mov_b32_e32 v8, v11
	s_delay_alu instid0(VALU_DEP_1) | instskip(NEXT) | instid1(VALU_DEP_1)
	v_lshlrev_b64 v[7:8], 2, v[7:8]
	v_add_co_u32 v7, vcc_lo, s4, v7
	s_delay_alu instid0(VALU_DEP_2) | instskip(SKIP_4) | instid1(VALU_DEP_1)
	v_add_co_ci_u32_e32 v8, vcc_lo, s5, v8, vcc_lo
	global_load_b32 v8, v[7:8], off
	s_waitcnt vmcnt(2)
	v_lshlrev_b32_e32 v7, 16, v3
	s_waitcnt vmcnt(1)
	v_dual_mul_f32 v7, v28, v7 :: v_dual_lshlrev_b32 v12, 16, v5
	s_delay_alu instid0(VALU_DEP_1) | instskip(SKIP_1) | instid1(VALU_DEP_2)
	v_bfe_u32 v11, v7, 16, 1
	v_cmp_o_f32_e32 vcc_lo, v7, v7
	v_add3_u32 v11, v7, v11, 0x7fff
	s_delay_alu instid0(VALU_DEP_1) | instskip(NEXT) | instid1(VALU_DEP_1)
	v_and_b32_e32 v11, 0xffff0000, v11
	v_cndmask_b32_e32 v7, 0x7fc00000, v11, vcc_lo
	s_delay_alu instid0(VALU_DEP_1) | instskip(NEXT) | instid1(VALU_DEP_1)
	v_mul_f32_e32 v7, v7, v12
	v_bfe_u32 v11, v7, 16, 1
	v_cmp_o_f32_e32 vcc_lo, v7, v7
	s_delay_alu instid0(VALU_DEP_2) | instskip(NEXT) | instid1(VALU_DEP_1)
	v_add3_u32 v11, v7, v11, 0x7fff
	v_and_b32_e32 v11, 0xffff0000, v11
	s_delay_alu instid0(VALU_DEP_1) | instskip(SKIP_1) | instid1(VALU_DEP_1)
	v_cndmask_b32_e32 v7, 0x7fc00000, v11, vcc_lo
	s_waitcnt vmcnt(0)
	v_div_scale_f32 v11, null, v8, v8, v7
	v_div_scale_f32 v14, vcc_lo, v7, v8, v7
	s_delay_alu instid0(VALU_DEP_2) | instskip(SKIP_2) | instid1(VALU_DEP_1)
	v_rcp_f32_e32 v12, v11
	s_waitcnt_depctr 0xfff
	v_fma_f32 v13, -v11, v12, 1.0
	v_fmac_f32_e32 v12, v13, v12
	s_delay_alu instid0(VALU_DEP_1) | instskip(NEXT) | instid1(VALU_DEP_1)
	v_mul_f32_e32 v13, v14, v12
	v_fma_f32 v15, -v11, v13, v14
	s_delay_alu instid0(VALU_DEP_1) | instskip(NEXT) | instid1(VALU_DEP_1)
	v_fmac_f32_e32 v13, v15, v12
	v_fma_f32 v11, -v11, v13, v14
	s_delay_alu instid0(VALU_DEP_1) | instskip(NEXT) | instid1(VALU_DEP_1)
	v_div_fmas_f32 v11, v11, v12, v13
	v_div_fixup_f32 v7, v11, v8, v7
	v_mov_b32_e32 v11, 0x80
	s_delay_alu instid0(VALU_DEP_2) | instskip(SKIP_1) | instid1(VALU_DEP_2)
	v_minmax_f32 v12, v7, s7, 0xc3600000
	v_mov_b32_e32 v7, 0x80
	v_and_b32_e32 v13, 0x7fffffff, v12
	s_delay_alu instid0(VALU_DEP_1)
	v_cmpx_gt_u32_e32 0x43800000, v13
	s_cbranch_execz .LBB73_144
; %bb.139:                              ;   in Loop: Header=BB73_63 Depth=1
	v_cmp_lt_u32_e32 vcc_lo, 0x3bffffff, v13
	s_mov_b32 s15, 0
                                        ; implicit-def: $vgpr13
	s_and_saveexec_b32 s16, vcc_lo
	s_delay_alu instid0(SALU_CYCLE_1)
	s_xor_b32 s16, exec_lo, s16
	s_cbranch_execnz .LBB73_184
; %bb.140:                              ;   in Loop: Header=BB73_63 Depth=1
	s_or_saveexec_b32 s16, s16
                                        ; implicit-def: $sgpr17
	s_delay_alu instid0(SALU_CYCLE_1)
	s_xor_b32 exec_lo, exec_lo, s16
	s_cbranch_execnz .LBB73_185
.LBB73_141:                             ;   in Loop: Header=BB73_63 Depth=1
	s_or_b32 exec_lo, exec_lo, s16
	v_mov_b32_e32 v7, s17
	s_and_saveexec_b32 s16, s15
.LBB73_142:                             ;   in Loop: Header=BB73_63 Depth=1
	v_lshrrev_b32_e32 v7, 24, v12
	s_delay_alu instid0(VALU_DEP_1)
	v_and_or_b32 v7, 0x80, v7, v13
.LBB73_143:                             ;   in Loop: Header=BB73_63 Depth=1
	s_or_b32 exec_lo, exec_lo, s16
.LBB73_144:                             ;   in Loop: Header=BB73_63 Depth=1
	s_delay_alu instid0(SALU_CYCLE_1) | instskip(SKIP_3) | instid1(VALU_DEP_2)
	s_or_b32 exec_lo, exec_lo, s13
	v_and_b32_e32 v12, 0xffff0000, v3
	v_and_b32_e32 v14, 0xffff0000, v5
	s_mov_b32 s13, exec_lo
	v_mul_f32_e32 v12, v28, v12
	s_delay_alu instid0(VALU_DEP_1) | instskip(NEXT) | instid1(VALU_DEP_1)
	v_bfe_u32 v13, v12, 16, 1
	v_add3_u32 v13, v12, v13, 0x7fff
	s_delay_alu instid0(VALU_DEP_1) | instskip(SKIP_1) | instid1(VALU_DEP_2)
	v_and_b32_e32 v13, 0xffff0000, v13
	v_cmp_o_f32_e32 vcc_lo, v12, v12
	v_cndmask_b32_e32 v12, 0x7fc00000, v13, vcc_lo
	s_delay_alu instid0(VALU_DEP_1) | instskip(NEXT) | instid1(VALU_DEP_1)
	v_mul_f32_e32 v12, v12, v14
	v_bfe_u32 v13, v12, 16, 1
	s_delay_alu instid0(VALU_DEP_1) | instskip(NEXT) | instid1(VALU_DEP_1)
	v_add3_u32 v13, v12, v13, 0x7fff
	v_and_b32_e32 v13, 0xffff0000, v13
	v_cmp_o_f32_e32 vcc_lo, v12, v12
	s_delay_alu instid0(VALU_DEP_2) | instskip(NEXT) | instid1(VALU_DEP_1)
	v_cndmask_b32_e32 v12, 0x7fc00000, v13, vcc_lo
	v_div_scale_f32 v13, null, v8, v8, v12
	s_delay_alu instid0(VALU_DEP_1) | instskip(SKIP_2) | instid1(VALU_DEP_1)
	v_rcp_f32_e32 v14, v13
	s_waitcnt_depctr 0xfff
	v_fma_f32 v15, -v13, v14, 1.0
	v_fmac_f32_e32 v14, v15, v14
	v_div_scale_f32 v15, vcc_lo, v12, v8, v12
	s_delay_alu instid0(VALU_DEP_1) | instskip(NEXT) | instid1(VALU_DEP_1)
	v_mul_f32_e32 v16, v15, v14
	v_fma_f32 v17, -v13, v16, v15
	s_delay_alu instid0(VALU_DEP_1) | instskip(NEXT) | instid1(VALU_DEP_1)
	v_fmac_f32_e32 v16, v17, v14
	v_fma_f32 v13, -v13, v16, v15
	s_delay_alu instid0(VALU_DEP_1) | instskip(NEXT) | instid1(VALU_DEP_1)
	v_div_fmas_f32 v13, v13, v14, v16
	v_div_fixup_f32 v12, v13, v8, v12
	s_delay_alu instid0(VALU_DEP_1) | instskip(NEXT) | instid1(VALU_DEP_1)
	v_minmax_f32 v12, v12, s7, 0xc3600000
	v_and_b32_e32 v13, 0x7fffffff, v12
	s_delay_alu instid0(VALU_DEP_1)
	v_cmpx_gt_u32_e32 0x43800000, v13
	s_cbranch_execz .LBB73_150
; %bb.145:                              ;   in Loop: Header=BB73_63 Depth=1
	v_cmp_lt_u32_e32 vcc_lo, 0x3bffffff, v13
	s_mov_b32 s15, 0
                                        ; implicit-def: $vgpr13
	s_and_saveexec_b32 s16, vcc_lo
	s_delay_alu instid0(SALU_CYCLE_1)
	s_xor_b32 s16, exec_lo, s16
	s_cbranch_execnz .LBB73_186
; %bb.146:                              ;   in Loop: Header=BB73_63 Depth=1
	s_or_saveexec_b32 s16, s16
                                        ; implicit-def: $sgpr17
	s_delay_alu instid0(SALU_CYCLE_1)
	s_xor_b32 exec_lo, exec_lo, s16
	s_cbranch_execnz .LBB73_187
.LBB73_147:                             ;   in Loop: Header=BB73_63 Depth=1
	s_or_b32 exec_lo, exec_lo, s16
	v_mov_b32_e32 v11, s17
	s_and_saveexec_b32 s16, s15
.LBB73_148:                             ;   in Loop: Header=BB73_63 Depth=1
	v_lshrrev_b32_e32 v11, 24, v12
	s_delay_alu instid0(VALU_DEP_1)
	v_and_or_b32 v11, 0x80, v11, v13
.LBB73_149:                             ;   in Loop: Header=BB73_63 Depth=1
	s_or_b32 exec_lo, exec_lo, s16
.LBB73_150:                             ;   in Loop: Header=BB73_63 Depth=1
	s_delay_alu instid0(SALU_CYCLE_1) | instskip(SKIP_3) | instid1(VALU_DEP_2)
	s_or_b32 exec_lo, exec_lo, s13
	v_alignbit_b32 v3, v4, v3, 16
	v_alignbit_b32 v5, v6, v5, 16
	s_mov_b32 s13, exec_lo
	v_and_b32_e32 v3, 0xffff0000, v3
	s_delay_alu instid0(VALU_DEP_2) | instskip(NEXT) | instid1(VALU_DEP_2)
	v_and_b32_e32 v5, 0xffff0000, v5
	v_mul_f32_e32 v3, v28, v3
	s_delay_alu instid0(VALU_DEP_1) | instskip(NEXT) | instid1(VALU_DEP_1)
	v_bfe_u32 v12, v3, 16, 1
	v_add3_u32 v12, v3, v12, 0x7fff
	s_delay_alu instid0(VALU_DEP_1) | instskip(SKIP_1) | instid1(VALU_DEP_2)
	v_and_b32_e32 v12, 0xffff0000, v12
	v_cmp_o_f32_e32 vcc_lo, v3, v3
	v_cndmask_b32_e32 v3, 0x7fc00000, v12, vcc_lo
	s_delay_alu instid0(VALU_DEP_1) | instskip(NEXT) | instid1(VALU_DEP_1)
	v_mul_f32_e32 v3, v3, v5
	v_bfe_u32 v5, v3, 16, 1
	v_cmp_o_f32_e32 vcc_lo, v3, v3
	s_delay_alu instid0(VALU_DEP_2) | instskip(NEXT) | instid1(VALU_DEP_1)
	v_add3_u32 v5, v3, v5, 0x7fff
	v_and_b32_e32 v5, 0xffff0000, v5
	s_delay_alu instid0(VALU_DEP_1) | instskip(NEXT) | instid1(VALU_DEP_1)
	v_cndmask_b32_e32 v3, 0x7fc00000, v5, vcc_lo
	v_div_scale_f32 v5, null, v8, v8, v3
	v_div_scale_f32 v14, vcc_lo, v3, v8, v3
	s_delay_alu instid0(VALU_DEP_2) | instskip(SKIP_2) | instid1(VALU_DEP_1)
	v_rcp_f32_e32 v12, v5
	s_waitcnt_depctr 0xfff
	v_fma_f32 v13, -v5, v12, 1.0
	v_fmac_f32_e32 v12, v13, v12
	s_delay_alu instid0(VALU_DEP_1) | instskip(NEXT) | instid1(VALU_DEP_1)
	v_mul_f32_e32 v13, v14, v12
	v_fma_f32 v15, -v5, v13, v14
	s_delay_alu instid0(VALU_DEP_1) | instskip(NEXT) | instid1(VALU_DEP_1)
	v_fmac_f32_e32 v13, v15, v12
	v_fma_f32 v5, -v5, v13, v14
	s_delay_alu instid0(VALU_DEP_1) | instskip(NEXT) | instid1(VALU_DEP_1)
	v_div_fmas_f32 v5, v5, v12, v13
	v_div_fixup_f32 v3, v5, v8, v3
	v_mov_b32_e32 v5, 0x80
	s_delay_alu instid0(VALU_DEP_2) | instskip(SKIP_1) | instid1(VALU_DEP_2)
	v_minmax_f32 v12, v3, s7, 0xc3600000
	v_mov_b32_e32 v3, 0x80
	v_and_b32_e32 v13, 0x7fffffff, v12
	s_delay_alu instid0(VALU_DEP_1)
	v_cmpx_gt_u32_e32 0x43800000, v13
	s_cbranch_execz .LBB73_156
; %bb.151:                              ;   in Loop: Header=BB73_63 Depth=1
	v_cmp_lt_u32_e32 vcc_lo, 0x3bffffff, v13
	s_mov_b32 s15, 0
                                        ; implicit-def: $vgpr13
	s_and_saveexec_b32 s16, vcc_lo
	s_delay_alu instid0(SALU_CYCLE_1)
	s_xor_b32 s16, exec_lo, s16
	s_cbranch_execnz .LBB73_188
; %bb.152:                              ;   in Loop: Header=BB73_63 Depth=1
	s_or_saveexec_b32 s16, s16
                                        ; implicit-def: $sgpr17
	s_delay_alu instid0(SALU_CYCLE_1)
	s_xor_b32 exec_lo, exec_lo, s16
	s_cbranch_execnz .LBB73_189
.LBB73_153:                             ;   in Loop: Header=BB73_63 Depth=1
	s_or_b32 exec_lo, exec_lo, s16
	v_mov_b32_e32 v5, s17
	s_and_saveexec_b32 s16, s15
.LBB73_154:                             ;   in Loop: Header=BB73_63 Depth=1
	v_lshrrev_b32_e32 v5, 24, v12
	s_delay_alu instid0(VALU_DEP_1)
	v_and_or_b32 v5, 0x80, v5, v13
.LBB73_155:                             ;   in Loop: Header=BB73_63 Depth=1
	s_or_b32 exec_lo, exec_lo, s16
.LBB73_156:                             ;   in Loop: Header=BB73_63 Depth=1
	s_delay_alu instid0(SALU_CYCLE_1) | instskip(SKIP_3) | instid1(VALU_DEP_2)
	s_or_b32 exec_lo, exec_lo, s13
	v_and_b32_e32 v4, 0xffff0000, v4
	v_and_b32_e32 v6, 0xffff0000, v6
	s_mov_b32 s13, exec_lo
	v_mul_f32_e32 v4, v28, v4
	s_delay_alu instid0(VALU_DEP_1) | instskip(SKIP_1) | instid1(VALU_DEP_2)
	v_bfe_u32 v12, v4, 16, 1
	v_cmp_o_f32_e32 vcc_lo, v4, v4
	v_add3_u32 v12, v4, v12, 0x7fff
	s_delay_alu instid0(VALU_DEP_1) | instskip(NEXT) | instid1(VALU_DEP_1)
	v_and_b32_e32 v12, 0xffff0000, v12
	v_cndmask_b32_e32 v4, 0x7fc00000, v12, vcc_lo
	s_delay_alu instid0(VALU_DEP_1) | instskip(NEXT) | instid1(VALU_DEP_1)
	v_mul_f32_e32 v4, v4, v6
	v_bfe_u32 v6, v4, 16, 1
	v_cmp_o_f32_e32 vcc_lo, v4, v4
	s_delay_alu instid0(VALU_DEP_2) | instskip(NEXT) | instid1(VALU_DEP_1)
	v_add3_u32 v6, v4, v6, 0x7fff
	v_and_b32_e32 v6, 0xffff0000, v6
	s_delay_alu instid0(VALU_DEP_1) | instskip(NEXT) | instid1(VALU_DEP_1)
	v_cndmask_b32_e32 v4, 0x7fc00000, v6, vcc_lo
	v_div_scale_f32 v6, null, v8, v8, v4
	s_delay_alu instid0(VALU_DEP_1) | instskip(SKIP_2) | instid1(VALU_DEP_1)
	v_rcp_f32_e32 v12, v6
	s_waitcnt_depctr 0xfff
	v_fma_f32 v13, -v6, v12, 1.0
	v_fmac_f32_e32 v12, v13, v12
	v_div_scale_f32 v13, vcc_lo, v4, v8, v4
	s_delay_alu instid0(VALU_DEP_1) | instskip(NEXT) | instid1(VALU_DEP_1)
	v_mul_f32_e32 v14, v13, v12
	v_fma_f32 v15, -v6, v14, v13
	s_delay_alu instid0(VALU_DEP_1) | instskip(NEXT) | instid1(VALU_DEP_1)
	v_fmac_f32_e32 v14, v15, v12
	v_fma_f32 v6, -v6, v14, v13
	s_delay_alu instid0(VALU_DEP_1) | instskip(NEXT) | instid1(VALU_DEP_1)
	v_div_fmas_f32 v6, v6, v12, v14
	v_div_fixup_f32 v4, v6, v8, v4
	s_delay_alu instid0(VALU_DEP_1) | instskip(NEXT) | instid1(VALU_DEP_1)
	v_minmax_f32 v4, v4, s7, 0xc3600000
	v_and_b32_e32 v6, 0x7fffffff, v4
	s_delay_alu instid0(VALU_DEP_1)
	v_cmpx_gt_u32_e32 0x43800000, v6
	s_cbranch_execz .LBB73_59
; %bb.157:                              ;   in Loop: Header=BB73_63 Depth=1
	v_cmp_lt_u32_e32 vcc_lo, 0x3bffffff, v6
	s_mov_b32 s15, 0
                                        ; implicit-def: $vgpr6
	s_and_saveexec_b32 s16, vcc_lo
	s_delay_alu instid0(SALU_CYCLE_1)
	s_xor_b32 s16, exec_lo, s16
	s_cbranch_execnz .LBB73_190
; %bb.158:                              ;   in Loop: Header=BB73_63 Depth=1
	s_or_saveexec_b32 s16, s16
                                        ; implicit-def: $sgpr17
	s_delay_alu instid0(SALU_CYCLE_1)
	s_xor_b32 exec_lo, exec_lo, s16
	s_cbranch_execnz .LBB73_191
.LBB73_159:                             ;   in Loop: Header=BB73_63 Depth=1
	s_or_b32 exec_lo, exec_lo, s16
	v_mov_b32_e32 v3, s17
	s_and_saveexec_b32 s16, s15
	s_cbranch_execz .LBB73_58
	s_branch .LBB73_192
.LBB73_160:                             ;   in Loop: Header=BB73_63 Depth=1
	v_bfe_u32 v8, v11, 20, 1
	s_mov_b32 s9, exec_lo
	s_delay_alu instid0(VALU_DEP_1) | instskip(NEXT) | instid1(VALU_DEP_1)
	v_add3_u32 v8, v11, v8, 0x487ffff
	v_lshrrev_b32_e32 v12, 20, v8
	s_or_saveexec_b32 s12, s12
                                        ; implicit-def: $sgpr13
	s_delay_alu instid0(SALU_CYCLE_1)
	s_xor_b32 exec_lo, exec_lo, s12
	s_cbranch_execz .LBB73_66
.LBB73_161:                             ;   in Loop: Header=BB73_63 Depth=1
	v_add_f32_e64 v8, 0x46000000, |v11|
	s_and_not1_b32 s9, s9, exec_lo
	s_mov_b32 s13, 0
	s_delay_alu instid0(VALU_DEP_1) | instskip(NEXT) | instid1(VALU_DEP_1)
	v_and_b32_e32 v12, 0xff, v8
	v_cmp_ne_u32_e32 vcc_lo, 0, v12
	s_and_b32 s15, vcc_lo, exec_lo
	s_delay_alu instid0(SALU_CYCLE_1)
	s_or_b32 s9, s9, s15
	s_or_b32 exec_lo, exec_lo, s12
	v_mov_b32_e32 v8, s13
	s_and_saveexec_b32 s12, s9
	s_cbranch_execnz .LBB73_67
	s_branch .LBB73_68
.LBB73_162:                             ;   in Loop: Header=BB73_63 Depth=1
	v_bfe_u32 v7, v11, 20, 1
	s_mov_b32 s9, exec_lo
	s_delay_alu instid0(VALU_DEP_1) | instskip(NEXT) | instid1(VALU_DEP_1)
	v_add3_u32 v7, v11, v7, 0x487ffff
	v_lshrrev_b32_e32 v12, 20, v7
	s_or_saveexec_b32 s12, s12
                                        ; implicit-def: $sgpr13
	s_delay_alu instid0(SALU_CYCLE_1)
	s_xor_b32 exec_lo, exec_lo, s12
	s_cbranch_execz .LBB73_72
.LBB73_163:                             ;   in Loop: Header=BB73_63 Depth=1
	v_add_f32_e64 v7, 0x46000000, |v11|
	s_and_not1_b32 s9, s9, exec_lo
	s_mov_b32 s13, 0
	s_delay_alu instid0(VALU_DEP_1) | instskip(NEXT) | instid1(VALU_DEP_1)
	v_and_b32_e32 v12, 0xff, v7
	v_cmp_ne_u32_e32 vcc_lo, 0, v12
	s_and_b32 s15, vcc_lo, exec_lo
	s_delay_alu instid0(SALU_CYCLE_1)
	s_or_b32 s9, s9, s15
	s_or_b32 exec_lo, exec_lo, s12
	v_mov_b32_e32 v7, s13
	s_and_saveexec_b32 s12, s9
	s_cbranch_execnz .LBB73_73
	s_branch .LBB73_74
.LBB73_164:                             ;   in Loop: Header=BB73_63 Depth=1
	v_bfe_u32 v4, v11, 20, 1
	s_mov_b32 s9, exec_lo
	s_delay_alu instid0(VALU_DEP_1) | instskip(NEXT) | instid1(VALU_DEP_1)
	v_add3_u32 v4, v11, v4, 0x487ffff
	v_lshrrev_b32_e32 v12, 20, v4
	s_or_saveexec_b32 s12, s12
                                        ; implicit-def: $sgpr13
	s_delay_alu instid0(SALU_CYCLE_1)
	s_xor_b32 exec_lo, exec_lo, s12
	s_cbranch_execz .LBB73_78
.LBB73_165:                             ;   in Loop: Header=BB73_63 Depth=1
	v_add_f32_e64 v4, 0x46000000, |v11|
	s_and_not1_b32 s9, s9, exec_lo
	s_mov_b32 s13, 0
	s_delay_alu instid0(VALU_DEP_1) | instskip(NEXT) | instid1(VALU_DEP_1)
	v_and_b32_e32 v12, 0xff, v4
	v_cmp_ne_u32_e32 vcc_lo, 0, v12
	s_and_b32 s15, vcc_lo, exec_lo
	s_delay_alu instid0(SALU_CYCLE_1)
	s_or_b32 s9, s9, s15
	s_or_b32 exec_lo, exec_lo, s12
	v_mov_b32_e32 v4, s13
	s_and_saveexec_b32 s12, s9
	s_cbranch_execnz .LBB73_79
	s_branch .LBB73_80
.LBB73_166:                             ;   in Loop: Header=BB73_63 Depth=1
	v_bfe_u32 v2, v3, 20, 1
	s_mov_b32 s9, exec_lo
	s_delay_alu instid0(VALU_DEP_1) | instskip(NEXT) | instid1(VALU_DEP_1)
	v_add3_u32 v2, v3, v2, 0x487ffff
	v_lshrrev_b32_e32 v5, 20, v2
	s_or_saveexec_b32 s12, s12
                                        ; implicit-def: $sgpr13
	s_delay_alu instid0(SALU_CYCLE_1)
	s_xor_b32 exec_lo, exec_lo, s12
	s_cbranch_execz .LBB73_84
.LBB73_167:                             ;   in Loop: Header=BB73_63 Depth=1
	v_add_f32_e64 v2, 0x46000000, |v3|
	s_and_not1_b32 s9, s9, exec_lo
	s_mov_b32 s13, 0
	s_delay_alu instid0(VALU_DEP_1) | instskip(NEXT) | instid1(VALU_DEP_1)
	v_and_b32_e32 v5, 0xff, v2
	v_cmp_ne_u32_e32 vcc_lo, 0, v5
	s_and_b32 s15, vcc_lo, exec_lo
	s_delay_alu instid0(SALU_CYCLE_1)
	s_or_b32 s9, s9, s15
	s_or_b32 exec_lo, exec_lo, s12
	v_mov_b32_e32 v2, s13
	s_and_saveexec_b32 s12, s9
	s_cbranch_execnz .LBB73_85
	s_branch .LBB73_86
.LBB73_168:                             ;   in Loop: Header=BB73_63 Depth=1
	v_bfe_u32 v11, v13, 20, 1
	s_mov_b32 s12, exec_lo
	s_delay_alu instid0(VALU_DEP_1) | instskip(NEXT) | instid1(VALU_DEP_1)
	v_add3_u32 v11, v13, v11, 0x487ffff
	v_lshrrev_b32_e32 v14, 20, v11
	s_or_saveexec_b32 s13, s13
                                        ; implicit-def: $sgpr15
	s_delay_alu instid0(SALU_CYCLE_1)
	s_xor_b32 exec_lo, exec_lo, s13
	s_cbranch_execz .LBB73_91
.LBB73_169:                             ;   in Loop: Header=BB73_63 Depth=1
	v_add_f32_e64 v11, 0x46000000, |v13|
	s_and_not1_b32 s12, s12, exec_lo
	s_mov_b32 s15, 0
	s_delay_alu instid0(VALU_DEP_1) | instskip(NEXT) | instid1(VALU_DEP_1)
	v_and_b32_e32 v14, 0xff, v11
	v_cmp_ne_u32_e32 vcc_lo, 0, v14
	s_and_b32 s16, vcc_lo, exec_lo
	s_delay_alu instid0(SALU_CYCLE_1)
	s_or_b32 s12, s12, s16
	s_or_b32 exec_lo, exec_lo, s13
	v_mov_b32_e32 v11, s15
	s_and_saveexec_b32 s13, s12
	s_cbranch_execnz .LBB73_92
	s_branch .LBB73_93
.LBB73_170:                             ;   in Loop: Header=BB73_63 Depth=1
	v_bfe_u32 v12, v13, 20, 1
	s_mov_b32 s12, exec_lo
	s_delay_alu instid0(VALU_DEP_1) | instskip(NEXT) | instid1(VALU_DEP_1)
	v_add3_u32 v12, v13, v12, 0x487ffff
	v_lshrrev_b32_e32 v14, 20, v12
	s_or_saveexec_b32 s13, s13
                                        ; implicit-def: $sgpr15
	s_delay_alu instid0(SALU_CYCLE_1)
	s_xor_b32 exec_lo, exec_lo, s13
	s_cbranch_execz .LBB73_97
.LBB73_171:                             ;   in Loop: Header=BB73_63 Depth=1
	v_add_f32_e64 v12, 0x46000000, |v13|
	s_and_not1_b32 s12, s12, exec_lo
	s_mov_b32 s15, 0
	s_delay_alu instid0(VALU_DEP_1) | instskip(NEXT) | instid1(VALU_DEP_1)
	v_and_b32_e32 v14, 0xff, v12
	v_cmp_ne_u32_e32 vcc_lo, 0, v14
	s_and_b32 s16, vcc_lo, exec_lo
	s_delay_alu instid0(SALU_CYCLE_1)
	s_or_b32 s12, s12, s16
	s_or_b32 exec_lo, exec_lo, s13
	v_mov_b32_e32 v12, s15
	s_and_saveexec_b32 s13, s12
	s_cbranch_execnz .LBB73_98
	s_branch .LBB73_99
.LBB73_172:                             ;   in Loop: Header=BB73_63 Depth=1
	v_bfe_u32 v6, v13, 20, 1
	s_mov_b32 s12, exec_lo
	s_delay_alu instid0(VALU_DEP_1) | instskip(NEXT) | instid1(VALU_DEP_1)
	v_add3_u32 v6, v13, v6, 0x487ffff
	v_lshrrev_b32_e32 v14, 20, v6
	s_or_saveexec_b32 s13, s13
                                        ; implicit-def: $sgpr15
	s_delay_alu instid0(SALU_CYCLE_1)
	s_xor_b32 exec_lo, exec_lo, s13
	s_cbranch_execz .LBB73_103
.LBB73_173:                             ;   in Loop: Header=BB73_63 Depth=1
	v_add_f32_e64 v6, 0x46000000, |v13|
	s_and_not1_b32 s12, s12, exec_lo
	s_mov_b32 s15, 0
	s_delay_alu instid0(VALU_DEP_1) | instskip(NEXT) | instid1(VALU_DEP_1)
	v_and_b32_e32 v14, 0xff, v6
	v_cmp_ne_u32_e32 vcc_lo, 0, v14
	s_and_b32 s16, vcc_lo, exec_lo
	s_delay_alu instid0(SALU_CYCLE_1)
	s_or_b32 s12, s12, s16
	s_or_b32 exec_lo, exec_lo, s13
	v_mov_b32_e32 v6, s15
	s_and_saveexec_b32 s13, s12
	s_cbranch_execnz .LBB73_104
	s_branch .LBB73_105
.LBB73_174:                             ;   in Loop: Header=BB73_63 Depth=1
	v_bfe_u32 v4, v5, 20, 1
	s_mov_b32 s12, exec_lo
	s_delay_alu instid0(VALU_DEP_1) | instskip(NEXT) | instid1(VALU_DEP_1)
	v_add3_u32 v4, v5, v4, 0x487ffff
	v_lshrrev_b32_e32 v7, 20, v4
	s_or_saveexec_b32 s13, s13
                                        ; implicit-def: $sgpr15
	s_delay_alu instid0(SALU_CYCLE_1)
	s_xor_b32 exec_lo, exec_lo, s13
	s_cbranch_execz .LBB73_109
.LBB73_175:                             ;   in Loop: Header=BB73_63 Depth=1
	v_add_f32_e64 v4, 0x46000000, |v5|
	s_and_not1_b32 s12, s12, exec_lo
	s_mov_b32 s15, 0
	s_delay_alu instid0(VALU_DEP_1) | instskip(NEXT) | instid1(VALU_DEP_1)
	v_and_b32_e32 v7, 0xff, v4
	v_cmp_ne_u32_e32 vcc_lo, 0, v7
	s_and_b32 s16, vcc_lo, exec_lo
	s_delay_alu instid0(SALU_CYCLE_1)
	s_or_b32 s12, s12, s16
	s_or_b32 exec_lo, exec_lo, s13
	v_mov_b32_e32 v4, s15
	s_and_saveexec_b32 s13, s12
	s_cbranch_execnz .LBB73_110
	s_branch .LBB73_111
.LBB73_176:                             ;   in Loop: Header=BB73_63 Depth=1
	v_bfe_u32 v12, v14, 20, 1
	s_mov_b32 s13, exec_lo
	s_delay_alu instid0(VALU_DEP_1) | instskip(NEXT) | instid1(VALU_DEP_1)
	v_add3_u32 v12, v14, v12, 0x487ffff
	v_lshrrev_b32_e32 v15, 20, v12
	s_or_saveexec_b32 s15, s15
                                        ; implicit-def: $sgpr16
	s_delay_alu instid0(SALU_CYCLE_1)
	s_xor_b32 exec_lo, exec_lo, s15
	s_cbranch_execz .LBB73_116
.LBB73_177:                             ;   in Loop: Header=BB73_63 Depth=1
	v_add_f32_e64 v12, 0x46000000, |v14|
	s_and_not1_b32 s13, s13, exec_lo
	s_mov_b32 s16, 0
	s_delay_alu instid0(VALU_DEP_1) | instskip(NEXT) | instid1(VALU_DEP_1)
	v_and_b32_e32 v15, 0xff, v12
	v_cmp_ne_u32_e32 vcc_lo, 0, v15
	s_and_b32 s17, vcc_lo, exec_lo
	s_delay_alu instid0(SALU_CYCLE_1)
	s_or_b32 s13, s13, s17
	s_or_b32 exec_lo, exec_lo, s15
	v_mov_b32_e32 v12, s16
	s_and_saveexec_b32 s15, s13
	s_cbranch_execnz .LBB73_117
	s_branch .LBB73_118
.LBB73_178:                             ;   in Loop: Header=BB73_63 Depth=1
	v_bfe_u32 v13, v14, 20, 1
	s_mov_b32 s13, exec_lo
	s_delay_alu instid0(VALU_DEP_1) | instskip(NEXT) | instid1(VALU_DEP_1)
	v_add3_u32 v13, v14, v13, 0x487ffff
	v_lshrrev_b32_e32 v15, 20, v13
	s_or_saveexec_b32 s15, s15
                                        ; implicit-def: $sgpr16
	s_delay_alu instid0(SALU_CYCLE_1)
	s_xor_b32 exec_lo, exec_lo, s15
	s_cbranch_execz .LBB73_122
.LBB73_179:                             ;   in Loop: Header=BB73_63 Depth=1
	v_add_f32_e64 v13, 0x46000000, |v14|
	s_and_not1_b32 s13, s13, exec_lo
	s_mov_b32 s16, 0
	s_delay_alu instid0(VALU_DEP_1) | instskip(NEXT) | instid1(VALU_DEP_1)
	v_and_b32_e32 v15, 0xff, v13
	v_cmp_ne_u32_e32 vcc_lo, 0, v15
	s_and_b32 s17, vcc_lo, exec_lo
	s_delay_alu instid0(SALU_CYCLE_1)
	s_or_b32 s13, s13, s17
	s_or_b32 exec_lo, exec_lo, s15
	v_mov_b32_e32 v13, s16
	s_and_saveexec_b32 s15, s13
	s_cbranch_execnz .LBB73_123
	s_branch .LBB73_124
.LBB73_180:                             ;   in Loop: Header=BB73_63 Depth=1
	v_bfe_u32 v7, v14, 20, 1
	s_mov_b32 s13, exec_lo
	s_delay_alu instid0(VALU_DEP_1) | instskip(NEXT) | instid1(VALU_DEP_1)
	v_add3_u32 v7, v14, v7, 0x487ffff
	v_lshrrev_b32_e32 v15, 20, v7
	s_or_saveexec_b32 s15, s15
                                        ; implicit-def: $sgpr16
	s_delay_alu instid0(SALU_CYCLE_1)
	s_xor_b32 exec_lo, exec_lo, s15
	s_cbranch_execz .LBB73_128
.LBB73_181:                             ;   in Loop: Header=BB73_63 Depth=1
	v_add_f32_e64 v7, 0x46000000, |v14|
	s_and_not1_b32 s13, s13, exec_lo
	s_mov_b32 s16, 0
	s_delay_alu instid0(VALU_DEP_1) | instskip(NEXT) | instid1(VALU_DEP_1)
	v_and_b32_e32 v15, 0xff, v7
	v_cmp_ne_u32_e32 vcc_lo, 0, v15
	s_and_b32 s17, vcc_lo, exec_lo
	s_delay_alu instid0(SALU_CYCLE_1)
	s_or_b32 s13, s13, s17
	s_or_b32 exec_lo, exec_lo, s15
	v_mov_b32_e32 v7, s16
	s_and_saveexec_b32 s15, s13
	s_cbranch_execnz .LBB73_129
	s_branch .LBB73_130
.LBB73_182:                             ;   in Loop: Header=BB73_63 Depth=1
	v_bfe_u32 v5, v6, 20, 1
	s_mov_b32 s13, exec_lo
	s_delay_alu instid0(VALU_DEP_1) | instskip(NEXT) | instid1(VALU_DEP_1)
	v_add3_u32 v5, v6, v5, 0x487ffff
	v_lshrrev_b32_e32 v8, 20, v5
	s_or_saveexec_b32 s15, s15
                                        ; implicit-def: $sgpr16
	s_delay_alu instid0(SALU_CYCLE_1)
	s_xor_b32 exec_lo, exec_lo, s15
	s_cbranch_execz .LBB73_134
.LBB73_183:                             ;   in Loop: Header=BB73_63 Depth=1
	v_add_f32_e64 v5, 0x46000000, |v6|
	s_and_not1_b32 s13, s13, exec_lo
	s_mov_b32 s16, 0
	s_delay_alu instid0(VALU_DEP_1) | instskip(NEXT) | instid1(VALU_DEP_1)
	v_and_b32_e32 v8, 0xff, v5
	v_cmp_ne_u32_e32 vcc_lo, 0, v8
	s_and_b32 s17, vcc_lo, exec_lo
	s_delay_alu instid0(SALU_CYCLE_1)
	s_or_b32 s13, s13, s17
	s_or_b32 exec_lo, exec_lo, s15
	v_mov_b32_e32 v5, s16
	s_and_saveexec_b32 s15, s13
	s_cbranch_execnz .LBB73_135
	s_branch .LBB73_136
.LBB73_184:                             ;   in Loop: Header=BB73_63 Depth=1
	v_bfe_u32 v7, v12, 20, 1
	s_mov_b32 s15, exec_lo
	s_delay_alu instid0(VALU_DEP_1) | instskip(NEXT) | instid1(VALU_DEP_1)
	v_add3_u32 v7, v12, v7, 0x487ffff
	v_lshrrev_b32_e32 v13, 20, v7
	s_or_saveexec_b32 s16, s16
                                        ; implicit-def: $sgpr17
	s_delay_alu instid0(SALU_CYCLE_1)
	s_xor_b32 exec_lo, exec_lo, s16
	s_cbranch_execz .LBB73_141
.LBB73_185:                             ;   in Loop: Header=BB73_63 Depth=1
	v_add_f32_e64 v7, 0x46000000, |v12|
	s_and_not1_b32 s15, s15, exec_lo
	s_mov_b32 s17, 0
	s_delay_alu instid0(VALU_DEP_1) | instskip(NEXT) | instid1(VALU_DEP_1)
	v_and_b32_e32 v13, 0xff, v7
	v_cmp_ne_u32_e32 vcc_lo, 0, v13
	s_and_b32 s18, vcc_lo, exec_lo
	s_delay_alu instid0(SALU_CYCLE_1)
	s_or_b32 s15, s15, s18
	s_or_b32 exec_lo, exec_lo, s16
	v_mov_b32_e32 v7, s17
	s_and_saveexec_b32 s16, s15
	s_cbranch_execnz .LBB73_142
	s_branch .LBB73_143
.LBB73_186:                             ;   in Loop: Header=BB73_63 Depth=1
	v_bfe_u32 v11, v12, 20, 1
	s_mov_b32 s15, exec_lo
	s_delay_alu instid0(VALU_DEP_1) | instskip(NEXT) | instid1(VALU_DEP_1)
	v_add3_u32 v11, v12, v11, 0x487ffff
	v_lshrrev_b32_e32 v13, 20, v11
	s_or_saveexec_b32 s16, s16
                                        ; implicit-def: $sgpr17
	s_delay_alu instid0(SALU_CYCLE_1)
	s_xor_b32 exec_lo, exec_lo, s16
	s_cbranch_execz .LBB73_147
.LBB73_187:                             ;   in Loop: Header=BB73_63 Depth=1
	v_add_f32_e64 v11, 0x46000000, |v12|
	s_and_not1_b32 s15, s15, exec_lo
	s_mov_b32 s17, 0
	s_delay_alu instid0(VALU_DEP_1) | instskip(NEXT) | instid1(VALU_DEP_1)
	v_and_b32_e32 v13, 0xff, v11
	v_cmp_ne_u32_e32 vcc_lo, 0, v13
	s_and_b32 s18, vcc_lo, exec_lo
	s_delay_alu instid0(SALU_CYCLE_1)
	s_or_b32 s15, s15, s18
	s_or_b32 exec_lo, exec_lo, s16
	v_mov_b32_e32 v11, s17
	s_and_saveexec_b32 s16, s15
	s_cbranch_execnz .LBB73_148
	s_branch .LBB73_149
.LBB73_188:                             ;   in Loop: Header=BB73_63 Depth=1
	v_bfe_u32 v5, v12, 20, 1
	s_mov_b32 s15, exec_lo
	s_delay_alu instid0(VALU_DEP_1) | instskip(NEXT) | instid1(VALU_DEP_1)
	v_add3_u32 v5, v12, v5, 0x487ffff
	v_lshrrev_b32_e32 v13, 20, v5
	s_or_saveexec_b32 s16, s16
                                        ; implicit-def: $sgpr17
	s_delay_alu instid0(SALU_CYCLE_1)
	s_xor_b32 exec_lo, exec_lo, s16
	s_cbranch_execz .LBB73_153
.LBB73_189:                             ;   in Loop: Header=BB73_63 Depth=1
	v_add_f32_e64 v5, 0x46000000, |v12|
	s_and_not1_b32 s15, s15, exec_lo
	s_mov_b32 s17, 0
	s_delay_alu instid0(VALU_DEP_1) | instskip(NEXT) | instid1(VALU_DEP_1)
	v_and_b32_e32 v13, 0xff, v5
	v_cmp_ne_u32_e32 vcc_lo, 0, v13
	s_and_b32 s18, vcc_lo, exec_lo
	s_delay_alu instid0(SALU_CYCLE_1)
	s_or_b32 s15, s15, s18
	s_or_b32 exec_lo, exec_lo, s16
	v_mov_b32_e32 v5, s17
	s_and_saveexec_b32 s16, s15
	s_cbranch_execnz .LBB73_154
	s_branch .LBB73_155
.LBB73_190:                             ;   in Loop: Header=BB73_63 Depth=1
	v_bfe_u32 v3, v4, 20, 1
	s_mov_b32 s15, exec_lo
	s_delay_alu instid0(VALU_DEP_1) | instskip(NEXT) | instid1(VALU_DEP_1)
	v_add3_u32 v3, v4, v3, 0x487ffff
	v_lshrrev_b32_e32 v6, 20, v3
	s_or_saveexec_b32 s16, s16
                                        ; implicit-def: $sgpr17
	s_delay_alu instid0(SALU_CYCLE_1)
	s_xor_b32 exec_lo, exec_lo, s16
	s_cbranch_execz .LBB73_159
.LBB73_191:                             ;   in Loop: Header=BB73_63 Depth=1
	v_add_f32_e64 v3, 0x46000000, |v4|
	s_and_not1_b32 s15, s15, exec_lo
	s_mov_b32 s17, 0
	s_delay_alu instid0(VALU_DEP_1) | instskip(NEXT) | instid1(VALU_DEP_1)
	v_and_b32_e32 v6, 0xff, v3
	v_cmp_ne_u32_e32 vcc_lo, 0, v6
	s_and_b32 s18, vcc_lo, exec_lo
	s_delay_alu instid0(SALU_CYCLE_1)
	s_or_b32 s15, s15, s18
	s_or_b32 exec_lo, exec_lo, s16
	v_mov_b32_e32 v3, s17
	s_and_saveexec_b32 s16, s15
	s_cbranch_execz .LBB73_58
.LBB73_192:                             ;   in Loop: Header=BB73_63 Depth=1
	v_lshrrev_b32_e32 v3, 24, v4
	s_delay_alu instid0(VALU_DEP_1)
	v_and_or_b32 v3, 0x80, v3, v6
	s_branch .LBB73_58
.LBB73_193:
	s_nop 0
	s_sendmsg sendmsg(MSG_DEALLOC_VGPRS)
	s_endpgm
.LBB73_194:
                                        ; implicit-def: $vgpr3_vgpr4
	s_branch .LBB73_51
.LBB73_195:
                                        ; implicit-def: $vgpr1_vgpr2
	s_branch .LBB73_56
	.section	.rodata,"a",@progbits
	.p2align	6, 0x0
	.amdhsa_kernel _ZN4vllm31rms_norm_per_block_quant_kernelIN3c108BFloat16ENS1_15Float8_e4m3fnuzELb0ELb1ELi128EEEvPT0_PfPKT_S9_PKffiiPS7_l
		.amdhsa_group_segment_fixed_size 4228
		.amdhsa_private_segment_fixed_size 0
		.amdhsa_kernarg_size 328
		.amdhsa_user_sgpr_count 15
		.amdhsa_user_sgpr_dispatch_ptr 0
		.amdhsa_user_sgpr_queue_ptr 0
		.amdhsa_user_sgpr_kernarg_segment_ptr 1
		.amdhsa_user_sgpr_dispatch_id 0
		.amdhsa_user_sgpr_private_segment_size 0
		.amdhsa_wavefront_size32 1
		.amdhsa_uses_dynamic_stack 0
		.amdhsa_enable_private_segment 0
		.amdhsa_system_sgpr_workgroup_id_x 1
		.amdhsa_system_sgpr_workgroup_id_y 0
		.amdhsa_system_sgpr_workgroup_id_z 0
		.amdhsa_system_sgpr_workgroup_info 0
		.amdhsa_system_vgpr_workitem_id 0
		.amdhsa_next_free_vgpr 46
		.amdhsa_next_free_sgpr 36
		.amdhsa_reserve_vcc 1
		.amdhsa_float_round_mode_32 0
		.amdhsa_float_round_mode_16_64 0
		.amdhsa_float_denorm_mode_32 3
		.amdhsa_float_denorm_mode_16_64 3
		.amdhsa_dx10_clamp 1
		.amdhsa_ieee_mode 1
		.amdhsa_fp16_overflow 0
		.amdhsa_workgroup_processor_mode 1
		.amdhsa_memory_ordered 1
		.amdhsa_forward_progress 0
		.amdhsa_shared_vgpr_count 0
		.amdhsa_exception_fp_ieee_invalid_op 0
		.amdhsa_exception_fp_denorm_src 0
		.amdhsa_exception_fp_ieee_div_zero 0
		.amdhsa_exception_fp_ieee_overflow 0
		.amdhsa_exception_fp_ieee_underflow 0
		.amdhsa_exception_fp_ieee_inexact 0
		.amdhsa_exception_int_div_zero 0
	.end_amdhsa_kernel
	.section	.text._ZN4vllm31rms_norm_per_block_quant_kernelIN3c108BFloat16ENS1_15Float8_e4m3fnuzELb0ELb1ELi128EEEvPT0_PfPKT_S9_PKffiiPS7_l,"axG",@progbits,_ZN4vllm31rms_norm_per_block_quant_kernelIN3c108BFloat16ENS1_15Float8_e4m3fnuzELb0ELb1ELi128EEEvPT0_PfPKT_S9_PKffiiPS7_l,comdat
.Lfunc_end73:
	.size	_ZN4vllm31rms_norm_per_block_quant_kernelIN3c108BFloat16ENS1_15Float8_e4m3fnuzELb0ELb1ELi128EEEvPT0_PfPKT_S9_PKffiiPS7_l, .Lfunc_end73-_ZN4vllm31rms_norm_per_block_quant_kernelIN3c108BFloat16ENS1_15Float8_e4m3fnuzELb0ELb1ELi128EEEvPT0_PfPKT_S9_PKffiiPS7_l
                                        ; -- End function
	.section	.AMDGPU.csdata,"",@progbits
; Kernel info:
; codeLenInByte = 16564
; NumSgprs: 38
; NumVgprs: 46
; ScratchSize: 0
; MemoryBound: 0
; FloatMode: 240
; IeeeMode: 1
; LDSByteSize: 4228 bytes/workgroup (compile time only)
; SGPRBlocks: 4
; VGPRBlocks: 5
; NumSGPRsForWavesPerEU: 38
; NumVGPRsForWavesPerEU: 46
; Occupancy: 16
; WaveLimiterHint : 0
; COMPUTE_PGM_RSRC2:SCRATCH_EN: 0
; COMPUTE_PGM_RSRC2:USER_SGPR: 15
; COMPUTE_PGM_RSRC2:TRAP_HANDLER: 0
; COMPUTE_PGM_RSRC2:TGID_X_EN: 1
; COMPUTE_PGM_RSRC2:TGID_Y_EN: 0
; COMPUTE_PGM_RSRC2:TGID_Z_EN: 0
; COMPUTE_PGM_RSRC2:TIDIG_COMP_CNT: 0
	.section	.text._ZN4vllm31rms_norm_per_block_quant_kernelIN3c108BFloat16EaLb0ELb1ELi128EEEvPT0_PfPKT_S8_PKffiiPS6_l,"axG",@progbits,_ZN4vllm31rms_norm_per_block_quant_kernelIN3c108BFloat16EaLb0ELb1ELi128EEEvPT0_PfPKT_S8_PKffiiPS6_l,comdat
	.protected	_ZN4vllm31rms_norm_per_block_quant_kernelIN3c108BFloat16EaLb0ELb1ELi128EEEvPT0_PfPKT_S8_PKffiiPS6_l ; -- Begin function _ZN4vllm31rms_norm_per_block_quant_kernelIN3c108BFloat16EaLb0ELb1ELi128EEEvPT0_PfPKT_S8_PKffiiPS6_l
	.globl	_ZN4vllm31rms_norm_per_block_quant_kernelIN3c108BFloat16EaLb0ELb1ELi128EEEvPT0_PfPKT_S8_PKffiiPS6_l
	.p2align	8
	.type	_ZN4vllm31rms_norm_per_block_quant_kernelIN3c108BFloat16EaLb0ELb1ELi128EEEvPT0_PfPKT_S8_PKffiiPS6_l,@function
_ZN4vllm31rms_norm_per_block_quant_kernelIN3c108BFloat16EaLb0ELb1ELi128EEEvPT0_PfPKT_S8_PKffiiPS6_l: ; @_ZN4vllm31rms_norm_per_block_quant_kernelIN3c108BFloat16EaLb0ELb1ELi128EEEvPT0_PfPKT_S8_PKffiiPS6_l
; %bb.0:
	s_mov_b32 s16, s15
	s_clause 0x2
	s_load_b128 s[12:15], s[0:1], 0x28
	s_load_b256 s[4:11], s[0:1], 0x0
	s_load_b32 s29, s[0:1], 0x48
	v_mov_b32_e32 v6, 0
	s_mov_b32 s17, 0
	s_waitcnt lgkmcnt(0)
	s_ashr_i32 s2, s14, 31
	s_mul_hi_u32 s3, s14, s16
	s_mul_i32 s15, s2, s16
	s_mul_i32 s2, s14, s16
	s_add_i32 s3, s3, s15
	s_mov_b32 s18, s13
	s_lshl_b64 s[22:23], s[2:3], 1
	s_delay_alu instid0(SALU_CYCLE_1)
	s_add_u32 s26, s8, s22
	s_addc_u32 s27, s9, s23
	s_ashr_i32 s14, s13, 2
	s_add_u32 s20, s0, 0x48
	v_cmp_gt_u32_e64 s2, s14, v0
	s_addc_u32 s21, s1, 0
	s_delay_alu instid0(VALU_DEP_1)
	s_and_saveexec_b32 s3, s2
	s_cbranch_execz .LBB74_10
; %bb.1:
	s_cmp_lt_u32 s16, s29
	v_mov_b32_e32 v2, 0
	s_cselect_b32 s15, 12, 18
                                        ; implicit-def: $sgpr19
	v_mov_b32_e32 v1, v0
	s_add_u32 s24, s20, s15
	s_addc_u32 s25, s21, 0
	s_mov_b32 s15, s17
	global_load_u16 v7, v2, s[24:25]
	s_waitcnt vmcnt(0)
	v_lshlrev_b32_e32 v9, 1, v7
	v_mul_lo_u32 v8, v7, 3
	v_add_nc_u32_e32 v10, v7, v7
	v_mov_b32_e32 v6, v2
	s_branch .LBB74_5
.LBB74_2:                               ;   in Loop: Header=BB74_5 Depth=1
	s_or_b32 exec_lo, exec_lo, s28
	s_delay_alu instid0(SALU_CYCLE_1)
	s_or_not1_b32 s28, s30, exec_lo
.LBB74_3:                               ;   in Loop: Header=BB74_5 Depth=1
	s_or_b32 exec_lo, exec_lo, s25
	s_delay_alu instid0(SALU_CYCLE_1) | instskip(SKIP_1) | instid1(SALU_CYCLE_1)
	s_and_not1_b32 s19, s19, exec_lo
	s_and_b32 s25, s28, exec_lo
	s_or_b32 s19, s19, s25
.LBB74_4:                               ;   in Loop: Header=BB74_5 Depth=1
	s_or_b32 exec_lo, exec_lo, s24
	s_delay_alu instid0(SALU_CYCLE_1) | instskip(NEXT) | instid1(SALU_CYCLE_1)
	s_and_b32 s24, exec_lo, s19
	s_or_b32 s15, s24, s15
	s_delay_alu instid0(SALU_CYCLE_1)
	s_and_not1_b32 exec_lo, exec_lo, s15
	s_cbranch_execz .LBB74_9
.LBB74_5:                               ; =>This Inner Loop Header: Depth=1
	v_lshlrev_b64 v[3:4], 3, v[1:2]
	s_or_b32 s19, s19, exec_lo
	s_mov_b32 s24, exec_lo
	s_delay_alu instid0(VALU_DEP_1) | instskip(NEXT) | instid1(VALU_DEP_2)
	v_add_co_u32 v3, vcc_lo, s26, v3
	v_add_co_ci_u32_e32 v4, vcc_lo, s27, v4, vcc_lo
	global_load_b64 v[3:4], v[3:4], off
	s_waitcnt vmcnt(0)
	v_lshlrev_b32_e32 v5, 16, v3
	v_and_b32_e32 v11, 0xffff0000, v3
	v_alignbit_b32 v3, v4, v3, 16
	v_and_b32_e32 v4, 0xffff0000, v4
	s_delay_alu instid0(VALU_DEP_2) | instskip(NEXT) | instid1(VALU_DEP_1)
	v_dual_fmac_f32 v6, v5, v5 :: v_dual_and_b32 v3, 0xffff0000, v3
	v_fmac_f32_e32 v6, v11, v11
	s_delay_alu instid0(VALU_DEP_1) | instskip(NEXT) | instid1(VALU_DEP_1)
	v_fmac_f32_e32 v6, v3, v3
	v_dual_fmac_f32 v6, v4, v4 :: v_dual_add_nc_u32 v3, v1, v7
	s_delay_alu instid0(VALU_DEP_1)
	v_cmpx_gt_u32_e64 s14, v3
	s_cbranch_execz .LBB74_4
; %bb.6:                                ;   in Loop: Header=BB74_5 Depth=1
	v_mov_b32_e32 v4, v2
	s_mov_b32 s28, -1
	s_mov_b32 s25, exec_lo
	s_delay_alu instid0(VALU_DEP_1) | instskip(NEXT) | instid1(VALU_DEP_1)
	v_lshlrev_b64 v[4:5], 3, v[3:4]
	v_add_co_u32 v4, vcc_lo, s26, v4
	s_delay_alu instid0(VALU_DEP_2)
	v_add_co_ci_u32_e32 v5, vcc_lo, s27, v5, vcc_lo
	global_load_b64 v[4:5], v[4:5], off
	s_waitcnt vmcnt(0)
	v_lshlrev_b32_e32 v11, 16, v4
	v_and_b32_e32 v12, 0xffff0000, v4
	v_alignbit_b32 v4, v5, v4, 16
	s_delay_alu instid0(VALU_DEP_3) | instskip(NEXT) | instid1(VALU_DEP_2)
	v_dual_fmac_f32 v6, v11, v11 :: v_dual_and_b32 v5, 0xffff0000, v5
	v_and_b32_e32 v4, 0xffff0000, v4
	s_delay_alu instid0(VALU_DEP_2) | instskip(NEXT) | instid1(VALU_DEP_1)
	v_fmac_f32_e32 v6, v12, v12
	v_fmac_f32_e32 v6, v4, v4
	v_add_nc_u32_e32 v4, v9, v1
	s_delay_alu instid0(VALU_DEP_2) | instskip(NEXT) | instid1(VALU_DEP_2)
	v_fmac_f32_e32 v6, v5, v5
	v_cmpx_gt_u32_e64 s14, v4
	s_cbranch_execz .LBB74_3
; %bb.7:                                ;   in Loop: Header=BB74_5 Depth=1
	v_mov_b32_e32 v5, v2
	v_add_nc_u32_e32 v1, v8, v1
	s_mov_b32 s30, -1
	s_mov_b32 s28, exec_lo
	s_delay_alu instid0(VALU_DEP_2) | instskip(NEXT) | instid1(VALU_DEP_1)
	v_lshlrev_b64 v[4:5], 3, v[4:5]
	v_add_co_u32 v4, vcc_lo, s26, v4
	s_delay_alu instid0(VALU_DEP_2)
	v_add_co_ci_u32_e32 v5, vcc_lo, s27, v5, vcc_lo
	global_load_b64 v[4:5], v[4:5], off
	s_waitcnt vmcnt(0)
	v_and_b32_e32 v12, 0xffff0000, v4
	v_lshlrev_b32_e32 v11, 16, v4
	v_alignbit_b32 v4, v5, v4, 16
	s_delay_alu instid0(VALU_DEP_2) | instskip(NEXT) | instid1(VALU_DEP_2)
	v_dual_fmac_f32 v6, v11, v11 :: v_dual_and_b32 v5, 0xffff0000, v5
	v_and_b32_e32 v4, 0xffff0000, v4
	s_delay_alu instid0(VALU_DEP_2) | instskip(NEXT) | instid1(VALU_DEP_1)
	v_fmac_f32_e32 v6, v12, v12
	v_fmac_f32_e32 v6, v4, v4
	s_delay_alu instid0(VALU_DEP_1)
	v_fmac_f32_e32 v6, v5, v5
	v_cmpx_gt_u32_e64 s14, v1
	s_xor_b32 s28, exec_lo, s28
	s_cbranch_execz .LBB74_2
; %bb.8:                                ;   in Loop: Header=BB74_5 Depth=1
	v_lshlrev_b64 v[4:5], 3, v[1:2]
	s_delay_alu instid0(VALU_DEP_1) | instskip(NEXT) | instid1(VALU_DEP_2)
	v_add_co_u32 v4, vcc_lo, s26, v4
	v_add_co_ci_u32_e32 v5, vcc_lo, s27, v5, vcc_lo
	global_load_b64 v[4:5], v[4:5], off
	s_waitcnt vmcnt(0)
	v_and_b32_e32 v11, 0xffff0000, v4
	v_lshlrev_b32_e32 v1, 16, v4
	v_alignbit_b32 v4, v5, v4, 16
	s_delay_alu instid0(VALU_DEP_2) | instskip(NEXT) | instid1(VALU_DEP_2)
	v_fmac_f32_e32 v6, v1, v1
	v_and_b32_e32 v4, 0xffff0000, v4
	v_add3_u32 v1, v10, v7, v3
	s_delay_alu instid0(VALU_DEP_3) | instskip(NEXT) | instid1(VALU_DEP_2)
	v_dual_fmac_f32 v6, v11, v11 :: v_dual_and_b32 v3, 0xffff0000, v5
	v_cmp_le_u32_e32 vcc_lo, s14, v1
	s_delay_alu instid0(VALU_DEP_2) | instskip(SKIP_1) | instid1(VALU_DEP_1)
	v_fmac_f32_e32 v6, v4, v4
	s_or_not1_b32 s30, vcc_lo, exec_lo
	v_fmac_f32_e32 v6, v3, v3
	s_branch .LBB74_2
.LBB74_9:
	s_or_b32 exec_lo, exec_lo, s15
.LBB74_10:
	s_delay_alu instid0(SALU_CYCLE_1) | instskip(SKIP_4) | instid1(VALU_DEP_2)
	s_or_b32 exec_lo, exec_lo, s3
	v_mbcnt_lo_u32_b32 v1, -1, 0
	s_load_b32 s3, s[20:21], 0xc
	v_and_b32_e32 v7, 0x3e0, v0
	s_mov_b32 s15, exec_lo
	v_cmp_ne_u32_e32 vcc_lo, 31, v1
	v_add_nc_u32_e32 v3, 1, v1
	v_add_co_ci_u32_e32 v2, vcc_lo, 0, v1, vcc_lo
	v_cmp_gt_u32_e32 vcc_lo, 30, v1
	s_delay_alu instid0(VALU_DEP_2)
	v_lshlrev_b32_e32 v2, 2, v2
	v_cndmask_b32_e64 v5, 0, 1, vcc_lo
	ds_bpermute_b32 v4, v2, v6
	s_waitcnt lgkmcnt(0)
	s_and_b32 s3, s3, 0xffff
	v_lshlrev_b32_e32 v5, 1, v5
	v_sub_nc_u32_e64 v12, s3, v7 clamp
	s_delay_alu instid0(VALU_DEP_1) | instskip(SKIP_1) | instid1(VALU_DEP_4)
	v_cmp_lt_u32_e32 vcc_lo, v3, v12
	v_add_f32_e32 v7, v6, v4
	v_add_lshl_u32 v4, v5, v1, 2
	s_delay_alu instid0(VALU_DEP_2) | instskip(SKIP_2) | instid1(VALU_DEP_1)
	v_cndmask_b32_e32 v7, v6, v7, vcc_lo
	v_cmp_gt_u32_e32 vcc_lo, 28, v1
	v_cndmask_b32_e64 v5, 0, 1, vcc_lo
	v_lshlrev_b32_e32 v8, 2, v5
	ds_bpermute_b32 v6, v4, v7
	v_add_nc_u32_e32 v5, 2, v1
	s_delay_alu instid0(VALU_DEP_1) | instskip(SKIP_3) | instid1(VALU_DEP_2)
	v_cmp_lt_u32_e32 vcc_lo, v5, v12
	s_waitcnt lgkmcnt(0)
	v_add_f32_e32 v9, v7, v6
	v_add_lshl_u32 v6, v8, v1, 2
	v_cndmask_b32_e32 v9, v7, v9, vcc_lo
	v_cmp_gt_u32_e32 vcc_lo, 24, v1
	ds_bpermute_b32 v8, v6, v9
	v_cndmask_b32_e64 v7, 0, 1, vcc_lo
	s_delay_alu instid0(VALU_DEP_1) | instskip(SKIP_1) | instid1(VALU_DEP_1)
	v_lshlrev_b32_e32 v10, 3, v7
	v_add_nc_u32_e32 v7, 4, v1
	v_cmp_lt_u32_e32 vcc_lo, v7, v12
	s_waitcnt lgkmcnt(0)
	v_add_f32_e32 v11, v9, v8
	v_add_lshl_u32 v8, v10, v1, 2
	s_delay_alu instid0(VALU_DEP_2) | instskip(SKIP_3) | instid1(VALU_DEP_1)
	v_cndmask_b32_e32 v11, v9, v11, vcc_lo
	v_cmp_gt_u32_e32 vcc_lo, 16, v1
	ds_bpermute_b32 v10, v8, v11
	v_cndmask_b32_e64 v9, 0, 1, vcc_lo
	v_lshlrev_b32_e32 v13, 4, v9
	v_add_nc_u32_e32 v9, 8, v1
	s_delay_alu instid0(VALU_DEP_1) | instskip(SKIP_3) | instid1(VALU_DEP_2)
	v_cmp_lt_u32_e32 vcc_lo, v9, v12
	s_waitcnt lgkmcnt(0)
	v_add_f32_e32 v14, v11, v10
	v_add_lshl_u32 v10, v13, v1, 2
	v_cndmask_b32_e32 v13, v11, v14, vcc_lo
	v_add_nc_u32_e32 v11, 16, v1
	ds_bpermute_b32 v14, v10, v13
	v_cmp_lt_u32_e32 vcc_lo, v11, v12
	s_waitcnt lgkmcnt(0)
	v_add_f32_e32 v14, v13, v14
	s_delay_alu instid0(VALU_DEP_1)
	v_cndmask_b32_e32 v12, v13, v14, vcc_lo
	v_cmpx_eq_u32_e32 0, v1
	s_cbranch_execz .LBB74_12
; %bb.11:
	v_lshrrev_b32_e32 v13, 3, v0
	s_delay_alu instid0(VALU_DEP_1)
	v_and_b32_e32 v13, 0x7c, v13
	ds_store_b32 v13, v12 offset:4096
.LBB74_12:
	s_or_b32 exec_lo, exec_lo, s15
	s_delay_alu instid0(SALU_CYCLE_1)
	s_mov_b32 s15, exec_lo
	s_waitcnt lgkmcnt(0)
	s_barrier
	buffer_gl0_inv
	v_cmpx_gt_u32_e32 32, v0
	s_cbranch_execz .LBB74_14
; %bb.13:
	v_lshlrev_b32_e32 v1, 2, v1
	s_add_i32 s3, s3, 31
	s_delay_alu instid0(SALU_CYCLE_1) | instskip(NEXT) | instid1(SALU_CYCLE_1)
	s_lshr_b32 s3, s3, 5
	v_cmp_gt_u32_e32 vcc_lo, s3, v3
	ds_load_b32 v1, v1 offset:4096
	s_waitcnt lgkmcnt(0)
	ds_bpermute_b32 v2, v2, v1
	s_waitcnt lgkmcnt(0)
	v_add_f32_e32 v2, v1, v2
	s_delay_alu instid0(VALU_DEP_1) | instskip(SKIP_4) | instid1(VALU_DEP_1)
	v_cndmask_b32_e32 v1, v1, v2, vcc_lo
	v_cmp_gt_u32_e32 vcc_lo, s3, v5
	ds_bpermute_b32 v2, v4, v1
	s_waitcnt lgkmcnt(0)
	v_add_f32_e32 v2, v1, v2
	v_cndmask_b32_e32 v1, v1, v2, vcc_lo
	v_cmp_gt_u32_e32 vcc_lo, s3, v7
	ds_bpermute_b32 v2, v6, v1
	s_waitcnt lgkmcnt(0)
	v_add_f32_e32 v2, v1, v2
	s_delay_alu instid0(VALU_DEP_1) | instskip(SKIP_4) | instid1(VALU_DEP_1)
	v_cndmask_b32_e32 v1, v1, v2, vcc_lo
	v_cmp_gt_u32_e32 vcc_lo, s3, v9
	ds_bpermute_b32 v2, v8, v1
	s_waitcnt lgkmcnt(0)
	v_add_f32_e32 v2, v1, v2
	v_cndmask_b32_e32 v1, v1, v2, vcc_lo
	v_cmp_gt_u32_e32 vcc_lo, s3, v11
	ds_bpermute_b32 v2, v10, v1
	s_waitcnt lgkmcnt(0)
	v_add_f32_e32 v2, v1, v2
	s_delay_alu instid0(VALU_DEP_1)
	v_cndmask_b32_e32 v12, v1, v2, vcc_lo
.LBB74_14:
	s_or_b32 exec_lo, exec_lo, s15
	s_delay_alu instid0(SALU_CYCLE_1)
	s_mov_b32 s3, exec_lo
	v_cmpx_eq_u32_e32 0, v0
	s_cbranch_execz .LBB74_16
; %bb.15:
	v_cvt_f32_i32_e32 v1, s13
	s_delay_alu instid0(VALU_DEP_1) | instskip(SKIP_1) | instid1(VALU_DEP_2)
	v_div_scale_f32 v2, null, v1, v1, v12
	v_div_scale_f32 v5, vcc_lo, v12, v1, v12
	v_rcp_f32_e32 v3, v2
	s_waitcnt_depctr 0xfff
	v_fma_f32 v4, -v2, v3, 1.0
	s_delay_alu instid0(VALU_DEP_1) | instskip(NEXT) | instid1(VALU_DEP_1)
	v_fmac_f32_e32 v3, v4, v3
	v_mul_f32_e32 v4, v5, v3
	s_delay_alu instid0(VALU_DEP_1) | instskip(NEXT) | instid1(VALU_DEP_1)
	v_fma_f32 v6, -v2, v4, v5
	v_fmac_f32_e32 v4, v6, v3
	s_delay_alu instid0(VALU_DEP_1) | instskip(NEXT) | instid1(VALU_DEP_1)
	v_fma_f32 v2, -v2, v4, v5
	v_div_fmas_f32 v2, v2, v3, v4
	s_delay_alu instid0(VALU_DEP_1) | instskip(NEXT) | instid1(VALU_DEP_1)
	v_div_fixup_f32 v1, v2, v1, v12
	v_add_f32_e32 v1, s12, v1
	s_delay_alu instid0(VALU_DEP_1) | instskip(SKIP_1) | instid1(VALU_DEP_2)
	v_mul_f32_e32 v2, 0x4b800000, v1
	v_cmp_gt_f32_e32 vcc_lo, 0x800000, v1
	v_cndmask_b32_e32 v1, v1, v2, vcc_lo
	s_delay_alu instid0(VALU_DEP_1) | instskip(SKIP_2) | instid1(VALU_DEP_1)
	v_rsq_f32_e32 v1, v1
	s_waitcnt_depctr 0xfff
	v_mul_f32_e32 v2, 0x45800000, v1
	v_dual_cndmask_b32 v1, v1, v2 :: v_dual_mov_b32 v2, 0
	ds_store_b32 v2, v1 offset:4224
.LBB74_16:
	s_or_b32 exec_lo, exec_lo, s3
	s_ashr_i32 s19, s13, 31
	v_mov_b32_e32 v4, 0
	s_lshr_b32 s3, s19, 25
	s_waitcnt lgkmcnt(0)
	s_add_i32 s3, s13, s3
	s_barrier
	s_ashr_i32 s12, s3, 7
	s_cmp_lt_u32 s16, s29
	buffer_gl0_inv
	s_cselect_b32 s13, 12, 18
	ds_load_b32 v28, v4 offset:4224
	s_add_u32 s20, s20, s13
	s_addc_u32 s21, s21, 0
	s_abs_i32 s13, s12
	global_load_u16 v1, v4, s[20:21]
	v_cvt_f32_u32_e32 v2, s13
	s_sub_i32 s20, 0, s13
	s_ashr_i32 s3, s3, 31
	s_delay_alu instid0(VALU_DEP_1) | instskip(SKIP_2) | instid1(VALU_DEP_1)
	v_rcp_iflag_f32_e32 v2, v2
	s_waitcnt_depctr 0xfff
	v_mul_f32_e32 v2, 0x4f7ffffe, v2
	v_cvt_u32_f32_e32 v2, v2
	s_delay_alu instid0(VALU_DEP_1) | instskip(NEXT) | instid1(VALU_DEP_1)
	v_readfirstlane_b32 s15, v2
	s_mul_i32 s20, s20, s15
	s_delay_alu instid0(SALU_CYCLE_1) | instskip(NEXT) | instid1(SALU_CYCLE_1)
	s_mul_hi_u32 s20, s15, s20
	s_add_i32 s15, s15, s20
	s_waitcnt vmcnt(0)
	v_readfirstlane_b32 s28, v1
	s_delay_alu instid0(VALU_DEP_1) | instskip(NEXT) | instid1(SALU_CYCLE_1)
	s_mul_hi_u32 s15, s28, s15
	s_mul_i32 s20, s15, s13
	s_add_i32 s21, s15, 1
	s_sub_i32 s20, s28, s20
	s_delay_alu instid0(SALU_CYCLE_1)
	s_sub_i32 s24, s20, s13
	s_cmp_ge_u32 s20, s13
	s_cselect_b32 s15, s21, s15
	s_cselect_b32 s20, s24, s20
	s_add_i32 s21, s15, 1
	s_cmp_ge_u32 s20, s13
	s_cselect_b32 s13, s21, s15
	s_ashr_i32 s15, s14, 31
	s_xor_b32 s13, s13, s3
	s_delay_alu instid0(SALU_CYCLE_1) | instskip(NEXT) | instid1(SALU_CYCLE_1)
	s_sub_i32 s20, s13, s3
	s_abs_i32 s3, s20
	s_ashr_i32 s21, s20, 31
	v_cvt_f32_u32_e32 v1, s3
	s_sub_i32 s13, 0, s3
	s_delay_alu instid0(VALU_DEP_1) | instskip(SKIP_2) | instid1(VALU_DEP_1)
	v_rcp_iflag_f32_e32 v1, v1
	s_waitcnt_depctr 0xfff
	v_mul_f32_e32 v1, 0x4f7ffffe, v1
	v_cvt_u32_f32_e32 v1, v1
	s_delay_alu instid0(VALU_DEP_1) | instskip(SKIP_1) | instid1(VALU_DEP_1)
	v_mul_lo_u32 v2, s13, v1
	s_mov_b32 s13, exec_lo
	v_mul_hi_u32 v2, v1, v2
	s_delay_alu instid0(VALU_DEP_1) | instskip(NEXT) | instid1(VALU_DEP_1)
	v_add_nc_u32_e32 v1, v1, v2
	v_mul_hi_u32 v1, v0, v1
	s_delay_alu instid0(VALU_DEP_1) | instskip(SKIP_1) | instid1(VALU_DEP_2)
	v_mul_lo_u32 v2, v1, s3
	v_add_nc_u32_e32 v3, 1, v1
	v_sub_nc_u32_e32 v2, v0, v2
	s_delay_alu instid0(VALU_DEP_1) | instskip(SKIP_1) | instid1(VALU_DEP_2)
	v_subrev_nc_u32_e32 v5, s3, v2
	v_cmp_le_u32_e32 vcc_lo, s3, v2
	v_dual_cndmask_b32 v2, v2, v5 :: v_dual_cndmask_b32 v1, v1, v3
	s_delay_alu instid0(VALU_DEP_1) | instskip(NEXT) | instid1(VALU_DEP_2)
	v_cmp_le_u32_e32 vcc_lo, s3, v2
	v_add_nc_u32_e32 v3, 1, v1
	s_delay_alu instid0(VALU_DEP_1) | instskip(NEXT) | instid1(VALU_DEP_1)
	v_cndmask_b32_e32 v1, v1, v3, vcc_lo
	v_xor_b32_e32 v1, s21, v1
	s_delay_alu instid0(VALU_DEP_1) | instskip(NEXT) | instid1(VALU_DEP_1)
	v_subrev_nc_u32_e32 v1, s21, v1
	v_ashrrev_i32_e32 v2, 31, v1
	v_mul_lo_u32 v3, v1, s20
	s_delay_alu instid0(VALU_DEP_2) | instskip(NEXT) | instid1(VALU_DEP_2)
	v_lshlrev_b64 v[7:8], 5, v[1:2]
	v_sub_nc_u32_e32 v3, v0, v3
	s_delay_alu instid0(VALU_DEP_2) | instskip(NEXT) | instid1(VALU_DEP_3)
	v_add_co_u32 v5, vcc_lo, v7, 32
	v_add_co_ci_u32_e32 v6, vcc_lo, 0, v8, vcc_lo
	s_delay_alu instid0(VALU_DEP_1) | instskip(SKIP_4) | instid1(VALU_DEP_3)
	v_cmp_gt_i64_e32 vcc_lo, s[14:15], v[5:6]
	v_cndmask_b32_e32 v6, s15, v6, vcc_lo
	v_cndmask_b32_e32 v5, s14, v5, vcc_lo
	v_add_co_u32 v7, vcc_lo, v7, v3
	v_add_co_ci_u32_e32 v8, vcc_lo, 0, v8, vcc_lo
	v_ashrrev_i32_e32 v10, 31, v5
	v_mov_b32_e32 v9, v5
	s_delay_alu instid0(VALU_DEP_1)
	v_cmpx_lt_i64_e64 v[7:8], v[9:10]
	s_cbranch_execz .LBB74_26
; %bb.17:
	v_lshlrev_b64 v[13:14], 8, v[1:2]
	v_lshlrev_b64 v[11:12], 3, v[3:4]
	s_mul_i32 s3, s20, 24
	s_mul_hi_i32 s15, s20, 24
	s_add_u32 s24, s8, s3
	s_delay_alu instid0(VALU_DEP_2) | instskip(SKIP_2) | instid1(VALU_DEP_2)
	v_add_co_u32 v4, vcc_lo, s22, v13
	v_add_co_ci_u32_e32 v15, vcc_lo, s23, v14, vcc_lo
	s_addc_u32 s22, s9, s15
	v_add_co_u32 v17, vcc_lo, s24, v4
	s_lshl_b64 s[24:25], s[20:21], 4
	s_delay_alu instid0(VALU_DEP_2)
	v_add_co_ci_u32_e32 v18, vcc_lo, s22, v15, vcc_lo
	s_lshl_b64 s[22:23], s[20:21], 5
	s_add_u32 s33, s8, s24
	s_addc_u32 s34, s9, s25
	s_lshl_b64 s[30:31], s[20:21], 3
	v_add_co_u32 v19, vcc_lo, s33, v4
	s_add_u32 s33, s8, s30
	v_add_co_ci_u32_e32 v20, vcc_lo, s34, v15, vcc_lo
	s_addc_u32 s34, s9, s31
	v_add_co_u32 v21, vcc_lo, s33, v4
	v_add_co_ci_u32_e32 v22, vcc_lo, s34, v15, vcc_lo
	v_add_co_u32 v23, vcc_lo, s8, v4
	s_add_u32 s3, s10, s3
	v_add_co_ci_u32_e32 v24, vcc_lo, s9, v15, vcc_lo
	s_addc_u32 s8, s11, s15
	v_add_co_u32 v25, vcc_lo, s3, v13
	s_add_u32 s3, s10, s24
	v_add_co_ci_u32_e32 v26, vcc_lo, s8, v14, vcc_lo
	s_addc_u32 s8, s11, s25
	;; [unrolled: 4-line block ×3, first 2 shown]
	v_add_co_u32 v30, vcc_lo, s3, v13
	v_add_co_ci_u32_e32 v31, vcc_lo, s8, v14, vcc_lo
	v_add_co_u32 v32, vcc_lo, s10, v13
	v_add_co_ci_u32_e32 v33, vcc_lo, s11, v14, vcc_lo
	v_mov_b32_e32 v14, v8
	v_dual_mov_b32 v4, 0 :: v_dual_mov_b32 v13, v7
	s_mul_hi_i32 s15, s20, 3
	s_mul_i32 s24, s20, 3
	s_lshl_b64 s[8:9], s[20:21], 1
	s_mov_b32 s25, 0
                                        ; implicit-def: $sgpr30
	s_branch .LBB74_21
.LBB74_18:                              ;   in Loop: Header=BB74_21 Depth=1
	s_or_b32 exec_lo, exec_lo, s34
	s_delay_alu instid0(SALU_CYCLE_1)
	s_or_not1_b32 s3, s3, exec_lo
.LBB74_19:                              ;   in Loop: Header=BB74_21 Depth=1
	s_or_b32 exec_lo, exec_lo, s33
	s_delay_alu instid0(SALU_CYCLE_1) | instskip(SKIP_1) | instid1(SALU_CYCLE_1)
	s_and_not1_b32 s30, s30, exec_lo
	s_and_b32 s3, s3, exec_lo
	s_or_b32 s30, s30, s3
.LBB74_20:                              ;   in Loop: Header=BB74_21 Depth=1
	s_or_b32 exec_lo, exec_lo, s31
	s_delay_alu instid0(SALU_CYCLE_1) | instskip(NEXT) | instid1(SALU_CYCLE_1)
	s_and_b32 s3, exec_lo, s30
	s_or_b32 s25, s3, s25
	s_delay_alu instid0(SALU_CYCLE_1)
	s_and_not1_b32 exec_lo, exec_lo, s25
	s_cbranch_execz .LBB74_25
.LBB74_21:                              ; =>This Inner Loop Header: Depth=1
	v_add_co_u32 v15, vcc_lo, v23, v11
	v_add_co_ci_u32_e32 v16, vcc_lo, v24, v12, vcc_lo
	v_add_co_u32 v34, vcc_lo, v32, v11
	v_add_co_ci_u32_e32 v35, vcc_lo, v33, v12, vcc_lo
	s_or_b32 s30, s30, exec_lo
	global_load_b64 v[15:16], v[15:16], off
	global_load_b64 v[34:35], v[34:35], off
	s_mov_b32 s31, exec_lo
	s_waitcnt vmcnt(1)
	v_lshlrev_b32_e32 v37, 16, v15
	v_and_b32_e32 v36, 0xffff0000, v15
	v_alignbit_b32 v15, v16, v15, 16
	s_waitcnt vmcnt(0)
	v_lshlrev_b32_e32 v39, 16, v34
	s_waitcnt lgkmcnt(0)
	v_mul_f32_e32 v37, v28, v37
	v_mul_f32_e32 v36, v28, v36
	s_delay_alu instid0(VALU_DEP_2) | instskip(NEXT) | instid1(VALU_DEP_2)
	v_bfe_u32 v40, v37, 16, 1
	v_bfe_u32 v41, v36, 16, 1
	v_cmp_o_f32_e32 vcc_lo, v37, v37
	s_delay_alu instid0(VALU_DEP_3) | instskip(NEXT) | instid1(VALU_DEP_3)
	v_add3_u32 v40, v37, v40, 0x7fff
	v_add3_u32 v41, v36, v41, 0x7fff
	s_delay_alu instid0(VALU_DEP_2) | instskip(NEXT) | instid1(VALU_DEP_2)
	v_and_b32_e32 v40, 0xffff0000, v40
	v_and_b32_e32 v41, 0xffff0000, v41
	s_delay_alu instid0(VALU_DEP_2) | instskip(SKIP_2) | instid1(VALU_DEP_2)
	v_cndmask_b32_e32 v37, 0x7fc00000, v40, vcc_lo
	v_and_b32_e32 v16, 0xffff0000, v16
	v_cmp_o_f32_e32 vcc_lo, v36, v36
	v_dual_mul_f32 v37, v37, v39 :: v_dual_mul_f32 v16, v28, v16
	v_cndmask_b32_e32 v36, 0x7fc00000, v41, vcc_lo
	v_and_b32_e32 v15, 0xffff0000, v15
	v_and_b32_e32 v38, 0xffff0000, v34
	v_alignbit_b32 v34, v35, v34, 16
	v_bfe_u32 v42, v16, 16, 1
	v_cmp_o_f32_e32 vcc_lo, v16, v16
	v_mul_f32_e32 v15, v28, v15
	v_mul_f32_e32 v36, v36, v38
	v_bfe_u32 v38, v37, 16, 1
	v_add3_u32 v42, v16, v42, 0x7fff
	s_delay_alu instid0(VALU_DEP_4) | instskip(NEXT) | instid1(VALU_DEP_2)
	v_bfe_u32 v43, v15, 16, 1
	v_and_b32_e32 v42, 0xffff0000, v42
	s_delay_alu instid0(VALU_DEP_2) | instskip(NEXT) | instid1(VALU_DEP_2)
	v_add3_u32 v43, v15, v43, 0x7fff
	v_cndmask_b32_e32 v16, 0x7fc00000, v42, vcc_lo
	v_cmp_o_f32_e32 vcc_lo, v15, v15
	s_delay_alu instid0(VALU_DEP_3) | instskip(SKIP_1) | instid1(VALU_DEP_2)
	v_and_b32_e32 v40, 0xffff0000, v43
	v_and_b32_e32 v34, 0xffff0000, v34
	v_cndmask_b32_e32 v15, 0x7fc00000, v40, vcc_lo
	v_and_b32_e32 v35, 0xffff0000, v35
	v_cmp_o_f32_e32 vcc_lo, v37, v37
	s_delay_alu instid0(VALU_DEP_2) | instskip(SKIP_2) | instid1(VALU_DEP_3)
	v_dual_mul_f32 v34, v15, v34 :: v_dual_mul_f32 v35, v16, v35
	v_bfe_u32 v16, v36, 16, 1
	v_add3_u32 v15, v37, v38, 0x7fff
	v_bfe_u32 v39, v34, 16, 1
	s_delay_alu instid0(VALU_DEP_4) | instskip(NEXT) | instid1(VALU_DEP_4)
	v_bfe_u32 v38, v35, 16, 1
	v_add3_u32 v16, v36, v16, 0x7fff
	s_delay_alu instid0(VALU_DEP_4) | instskip(NEXT) | instid1(VALU_DEP_4)
	v_and_b32_e32 v15, 0xffff0000, v15
	v_add3_u32 v39, v34, v39, 0x7fff
	s_delay_alu instid0(VALU_DEP_4) | instskip(NEXT) | instid1(VALU_DEP_4)
	v_add3_u32 v38, v35, v38, 0x7fff
	v_and_b32_e32 v16, 0xffff0000, v16
	s_delay_alu instid0(VALU_DEP_4)
	v_cndmask_b32_e64 v37, 0x7fc00000, |v15|, vcc_lo
	v_cmp_o_f32_e32 vcc_lo, v36, v36
	v_and_b32_e32 v39, 0xffff0000, v39
	v_and_b32_e32 v38, 0xffff0000, v38
	v_cndmask_b32_e64 v36, 0x7fc00000, |v16|, vcc_lo
	v_add_co_u32 v15, vcc_lo, v13, s20
	v_add_co_ci_u32_e32 v16, vcc_lo, s21, v14, vcc_lo
	v_cmp_o_f32_e32 vcc_lo, v34, v34
	s_delay_alu instid0(VALU_DEP_4) | instskip(SKIP_3) | instid1(VALU_DEP_1)
	v_max3_f32 v4, v4, v37, v36
	v_cndmask_b32_e64 v34, 0x7fc00000, |v39|, vcc_lo
	v_cmp_o_f32_e32 vcc_lo, v35, v35
	v_cndmask_b32_e64 v35, 0x7fc00000, |v38|, vcc_lo
	v_max3_f32 v4, v4, v34, v35
	v_cmpx_lt_i64_e64 v[15:16], v[9:10]
	s_cbranch_execz .LBB74_20
; %bb.22:                               ;   in Loop: Header=BB74_21 Depth=1
	v_add_co_u32 v34, vcc_lo, v21, v11
	v_add_co_ci_u32_e32 v35, vcc_lo, v22, v12, vcc_lo
	v_add_co_u32 v36, vcc_lo, v30, v11
	v_add_co_ci_u32_e32 v37, vcc_lo, v31, v12, vcc_lo
	s_mov_b32 s3, -1
	global_load_b64 v[34:35], v[34:35], off
	global_load_b64 v[36:37], v[36:37], off
	s_mov_b32 s33, exec_lo
	s_waitcnt vmcnt(1)
	v_lshlrev_b32_e32 v39, 16, v34
	v_and_b32_e32 v38, 0xffff0000, v34
	v_alignbit_b32 v34, v35, v34, 16
	s_delay_alu instid0(VALU_DEP_3) | instskip(NEXT) | instid1(VALU_DEP_3)
	v_mul_f32_e32 v39, v28, v39
	v_dual_mul_f32 v38, v28, v38 :: v_dual_and_b32 v35, 0xffff0000, v35
	s_waitcnt vmcnt(0)
	v_and_b32_e32 v40, 0xffff0000, v36
	s_delay_alu instid0(VALU_DEP_3) | instskip(NEXT) | instid1(VALU_DEP_3)
	v_bfe_u32 v42, v39, 16, 1
	v_mul_f32_e32 v35, v28, v35
	v_cmp_o_f32_e32 vcc_lo, v39, v39
	v_bfe_u32 v43, v38, 16, 1
	s_delay_alu instid0(VALU_DEP_4) | instskip(NEXT) | instid1(VALU_DEP_4)
	v_add3_u32 v42, v39, v42, 0x7fff
	v_bfe_u32 v44, v35, 16, 1
	s_delay_alu instid0(VALU_DEP_3) | instskip(NEXT) | instid1(VALU_DEP_3)
	v_add3_u32 v43, v38, v43, 0x7fff
	v_and_b32_e32 v42, 0xffff0000, v42
	s_delay_alu instid0(VALU_DEP_3) | instskip(NEXT) | instid1(VALU_DEP_3)
	v_add3_u32 v44, v35, v44, 0x7fff
	v_and_b32_e32 v43, 0xffff0000, v43
	s_delay_alu instid0(VALU_DEP_3)
	v_cndmask_b32_e32 v39, 0x7fc00000, v42, vcc_lo
	v_and_b32_e32 v34, 0xffff0000, v34
	v_lshlrev_b32_e32 v41, 16, v36
	v_cmp_o_f32_e32 vcc_lo, v38, v38
	v_and_b32_e32 v44, 0xffff0000, v44
	v_alignbit_b32 v36, v37, v36, 16
	s_delay_alu instid0(VALU_DEP_4) | instskip(SKIP_3) | instid1(VALU_DEP_4)
	v_dual_mul_f32 v34, v28, v34 :: v_dual_mul_f32 v39, v39, v41
	v_cndmask_b32_e32 v38, 0x7fc00000, v43, vcc_lo
	v_cmp_o_f32_e32 vcc_lo, v35, v35
	v_and_b32_e32 v37, 0xffff0000, v37
	v_bfe_u32 v45, v34, 16, 1
	s_delay_alu instid0(VALU_DEP_4) | instskip(SKIP_2) | instid1(VALU_DEP_4)
	v_mul_f32_e32 v38, v38, v40
	v_cndmask_b32_e32 v35, 0x7fc00000, v44, vcc_lo
	v_cmp_o_f32_e32 vcc_lo, v34, v34
	v_add3_u32 v45, v34, v45, 0x7fff
	v_and_b32_e32 v36, 0xffff0000, v36
	v_bfe_u32 v40, v39, 16, 1
	v_mul_f32_e32 v37, v35, v37
	v_bfe_u32 v35, v38, 16, 1
	v_and_b32_e32 v42, 0xffff0000, v45
	s_delay_alu instid0(VALU_DEP_2) | instskip(NEXT) | instid1(VALU_DEP_2)
	v_add3_u32 v35, v38, v35, 0x7fff
	v_cndmask_b32_e32 v34, 0x7fc00000, v42, vcc_lo
	v_cmp_o_f32_e32 vcc_lo, v39, v39
	s_delay_alu instid0(VALU_DEP_2) | instskip(SKIP_2) | instid1(VALU_DEP_3)
	v_dual_mul_f32 v36, v34, v36 :: v_dual_and_b32 v35, 0xffff0000, v35
	v_add3_u32 v34, v39, v40, 0x7fff
	v_bfe_u32 v40, v37, 16, 1
	v_bfe_u32 v41, v36, 16, 1
	s_delay_alu instid0(VALU_DEP_3) | instskip(NEXT) | instid1(VALU_DEP_3)
	v_and_b32_e32 v34, 0xffff0000, v34
	v_add3_u32 v40, v37, v40, 0x7fff
	s_delay_alu instid0(VALU_DEP_3) | instskip(NEXT) | instid1(VALU_DEP_3)
	v_add3_u32 v41, v36, v41, 0x7fff
	v_cndmask_b32_e64 v39, 0x7fc00000, |v34|, vcc_lo
	v_cmp_o_f32_e32 vcc_lo, v38, v38
	s_delay_alu instid0(VALU_DEP_4) | instskip(NEXT) | instid1(VALU_DEP_4)
	v_and_b32_e32 v40, 0xffff0000, v40
	v_and_b32_e32 v41, 0xffff0000, v41
	v_cndmask_b32_e64 v38, 0x7fc00000, |v35|, vcc_lo
	v_add_co_u32 v34, vcc_lo, s8, v13
	v_add_co_ci_u32_e32 v35, vcc_lo, s9, v14, vcc_lo
	v_cmp_o_f32_e32 vcc_lo, v36, v36
	s_delay_alu instid0(VALU_DEP_4) | instskip(SKIP_3) | instid1(VALU_DEP_1)
	v_max3_f32 v4, v4, v39, v38
	v_cndmask_b32_e64 v36, 0x7fc00000, |v41|, vcc_lo
	v_cmp_o_f32_e32 vcc_lo, v37, v37
	v_cndmask_b32_e64 v37, 0x7fc00000, |v40|, vcc_lo
	v_max3_f32 v4, v4, v36, v37
	v_cmpx_lt_i64_e64 v[34:35], v[9:10]
	s_cbranch_execz .LBB74_19
; %bb.23:                               ;   in Loop: Header=BB74_21 Depth=1
	v_add_co_u32 v34, vcc_lo, v19, v11
	v_add_co_ci_u32_e32 v35, vcc_lo, v20, v12, vcc_lo
	v_add_co_u32 v36, vcc_lo, v27, v11
	v_add_co_ci_u32_e32 v37, vcc_lo, v29, v12, vcc_lo
	global_load_b64 v[34:35], v[34:35], off
	global_load_b64 v[36:37], v[36:37], off
	s_waitcnt vmcnt(1)
	v_lshlrev_b32_e32 v39, 16, v34
	v_and_b32_e32 v38, 0xffff0000, v34
	v_alignbit_b32 v34, v35, v34, 16
	s_delay_alu instid0(VALU_DEP_3) | instskip(NEXT) | instid1(VALU_DEP_3)
	v_mul_f32_e32 v39, v28, v39
	v_dual_mul_f32 v38, v28, v38 :: v_dual_and_b32 v35, 0xffff0000, v35
	s_waitcnt vmcnt(0)
	v_and_b32_e32 v40, 0xffff0000, v36
	s_delay_alu instid0(VALU_DEP_3) | instskip(NEXT) | instid1(VALU_DEP_3)
	v_bfe_u32 v42, v39, 16, 1
	v_mul_f32_e32 v35, v28, v35
	v_cmp_o_f32_e32 vcc_lo, v39, v39
	v_bfe_u32 v43, v38, 16, 1
	s_delay_alu instid0(VALU_DEP_4) | instskip(NEXT) | instid1(VALU_DEP_4)
	v_add3_u32 v42, v39, v42, 0x7fff
	v_bfe_u32 v44, v35, 16, 1
	s_delay_alu instid0(VALU_DEP_3) | instskip(NEXT) | instid1(VALU_DEP_3)
	v_add3_u32 v43, v38, v43, 0x7fff
	v_and_b32_e32 v42, 0xffff0000, v42
	s_delay_alu instid0(VALU_DEP_3) | instskip(NEXT) | instid1(VALU_DEP_3)
	v_add3_u32 v44, v35, v44, 0x7fff
	v_and_b32_e32 v43, 0xffff0000, v43
	s_delay_alu instid0(VALU_DEP_3)
	v_cndmask_b32_e32 v39, 0x7fc00000, v42, vcc_lo
	v_and_b32_e32 v34, 0xffff0000, v34
	v_lshlrev_b32_e32 v41, 16, v36
	v_cmp_o_f32_e32 vcc_lo, v38, v38
	v_and_b32_e32 v44, 0xffff0000, v44
	v_alignbit_b32 v36, v37, v36, 16
	s_delay_alu instid0(VALU_DEP_4) | instskip(SKIP_3) | instid1(VALU_DEP_4)
	v_dual_mul_f32 v34, v28, v34 :: v_dual_mul_f32 v39, v39, v41
	v_cndmask_b32_e32 v38, 0x7fc00000, v43, vcc_lo
	v_cmp_o_f32_e32 vcc_lo, v35, v35
	v_and_b32_e32 v37, 0xffff0000, v37
	v_bfe_u32 v45, v34, 16, 1
	s_delay_alu instid0(VALU_DEP_4) | instskip(SKIP_2) | instid1(VALU_DEP_4)
	v_mul_f32_e32 v38, v38, v40
	v_cndmask_b32_e32 v35, 0x7fc00000, v44, vcc_lo
	v_cmp_o_f32_e32 vcc_lo, v34, v34
	v_add3_u32 v45, v34, v45, 0x7fff
	v_and_b32_e32 v36, 0xffff0000, v36
	v_bfe_u32 v40, v39, 16, 1
	v_mul_f32_e32 v35, v35, v37
	v_bfe_u32 v37, v38, 16, 1
	v_and_b32_e32 v42, 0xffff0000, v45
	s_delay_alu instid0(VALU_DEP_2) | instskip(NEXT) | instid1(VALU_DEP_2)
	v_add3_u32 v37, v38, v37, 0x7fff
	v_cndmask_b32_e32 v34, 0x7fc00000, v42, vcc_lo
	v_cmp_o_f32_e32 vcc_lo, v39, v39
	s_delay_alu instid0(VALU_DEP_2) | instskip(SKIP_2) | instid1(VALU_DEP_3)
	v_dual_mul_f32 v34, v34, v36 :: v_dual_and_b32 v37, 0xffff0000, v37
	v_add3_u32 v36, v39, v40, 0x7fff
	v_bfe_u32 v40, v35, 16, 1
	v_bfe_u32 v41, v34, 16, 1
	s_delay_alu instid0(VALU_DEP_3) | instskip(NEXT) | instid1(VALU_DEP_3)
	v_and_b32_e32 v36, 0xffff0000, v36
	v_add3_u32 v40, v35, v40, 0x7fff
	s_delay_alu instid0(VALU_DEP_3) | instskip(NEXT) | instid1(VALU_DEP_3)
	v_add3_u32 v41, v34, v41, 0x7fff
	v_cndmask_b32_e64 v36, 0x7fc00000, |v36|, vcc_lo
	v_cmp_o_f32_e32 vcc_lo, v38, v38
	s_delay_alu instid0(VALU_DEP_4) | instskip(NEXT) | instid1(VALU_DEP_4)
	v_and_b32_e32 v39, 0xffff0000, v40
	v_and_b32_e32 v38, 0xffff0000, v41
	v_cndmask_b32_e64 v37, 0x7fc00000, |v37|, vcc_lo
	v_add_co_u32 v13, vcc_lo, s24, v13
	v_add_co_ci_u32_e32 v14, vcc_lo, s15, v14, vcc_lo
	v_cmp_o_f32_e32 vcc_lo, v34, v34
	s_delay_alu instid0(VALU_DEP_4) | instskip(SKIP_4) | instid1(VALU_DEP_2)
	v_max3_f32 v4, v4, v36, v37
	v_cndmask_b32_e64 v34, 0x7fc00000, |v38|, vcc_lo
	v_cmp_o_f32_e32 vcc_lo, v35, v35
	v_cndmask_b32_e64 v35, 0x7fc00000, |v39|, vcc_lo
	v_cmp_lt_i64_e32 vcc_lo, v[13:14], v[9:10]
                                        ; implicit-def: $vgpr13_vgpr14
	v_max3_f32 v4, v4, v34, v35
	s_and_saveexec_b32 s34, vcc_lo
	s_delay_alu instid0(SALU_CYCLE_1)
	s_xor_b32 s34, exec_lo, s34
	s_cbranch_execz .LBB74_18
; %bb.24:                               ;   in Loop: Header=BB74_21 Depth=1
	v_add_co_u32 v13, vcc_lo, v17, v11
	v_add_co_ci_u32_e32 v14, vcc_lo, v18, v12, vcc_lo
	v_add_co_u32 v34, vcc_lo, v25, v11
	v_add_co_ci_u32_e32 v35, vcc_lo, v26, v12, vcc_lo
	v_add_co_u32 v17, vcc_lo, v17, s22
	global_load_b64 v[13:14], v[13:14], off
	global_load_b64 v[34:35], v[34:35], off
	v_add_co_ci_u32_e32 v18, vcc_lo, s23, v18, vcc_lo
	v_add_co_u32 v19, vcc_lo, v19, s22
	v_add_co_ci_u32_e32 v20, vcc_lo, s23, v20, vcc_lo
	v_add_co_u32 v21, vcc_lo, v21, s22
	;; [unrolled: 2-line block ×5, first 2 shown]
	v_add_co_ci_u32_e32 v29, vcc_lo, s23, v29, vcc_lo
	s_add_u32 s3, s20, s20
	s_addc_u32 s35, s21, s21
	s_add_u32 s3, s3, s20
	s_addc_u32 s35, s35, s21
	s_waitcnt vmcnt(1)
	v_lshlrev_b32_e32 v37, 16, v13
	s_waitcnt vmcnt(0)
	v_and_b32_e32 v38, 0xffff0000, v34
	v_lshlrev_b32_e32 v39, 16, v34
	v_alignbit_b32 v34, v35, v34, 16
	v_mul_f32_e32 v37, v28, v37
	s_delay_alu instid0(VALU_DEP_1) | instskip(SKIP_1) | instid1(VALU_DEP_2)
	v_bfe_u32 v40, v37, 16, 1
	v_cmp_o_f32_e32 vcc_lo, v37, v37
	v_add3_u32 v40, v37, v40, 0x7fff
	s_delay_alu instid0(VALU_DEP_1) | instskip(NEXT) | instid1(VALU_DEP_1)
	v_and_b32_e32 v40, 0xffff0000, v40
	v_cndmask_b32_e32 v37, 0x7fc00000, v40, vcc_lo
	v_and_b32_e32 v36, 0xffff0000, v13
	v_alignbit_b32 v13, v14, v13, 16
	s_delay_alu instid0(VALU_DEP_2) | instskip(NEXT) | instid1(VALU_DEP_2)
	v_dual_mul_f32 v37, v37, v39 :: v_dual_mul_f32 v36, v28, v36
	v_and_b32_e32 v13, 0xffff0000, v13
	v_and_b32_e32 v14, 0xffff0000, v14
	s_delay_alu instid0(VALU_DEP_3) | instskip(NEXT) | instid1(VALU_DEP_3)
	v_bfe_u32 v41, v36, 16, 1
	v_mul_f32_e32 v13, v28, v13
	s_delay_alu instid0(VALU_DEP_3) | instskip(SKIP_1) | instid1(VALU_DEP_4)
	v_mul_f32_e32 v14, v28, v14
	v_cmp_o_f32_e32 vcc_lo, v36, v36
	v_add3_u32 v41, v36, v41, 0x7fff
	s_delay_alu instid0(VALU_DEP_4) | instskip(NEXT) | instid1(VALU_DEP_4)
	v_bfe_u32 v43, v13, 16, 1
	v_bfe_u32 v42, v14, 16, 1
	s_delay_alu instid0(VALU_DEP_3) | instskip(NEXT) | instid1(VALU_DEP_3)
	v_and_b32_e32 v41, 0xffff0000, v41
	v_add3_u32 v43, v13, v43, 0x7fff
	s_delay_alu instid0(VALU_DEP_3) | instskip(NEXT) | instid1(VALU_DEP_3)
	v_add3_u32 v42, v14, v42, 0x7fff
	v_cndmask_b32_e32 v36, 0x7fc00000, v41, vcc_lo
	v_cmp_o_f32_e32 vcc_lo, v14, v14
	s_delay_alu instid0(VALU_DEP_3) | instskip(SKIP_3) | instid1(VALU_DEP_4)
	v_and_b32_e32 v42, 0xffff0000, v42
	v_and_b32_e32 v35, 0xffff0000, v35
	;; [unrolled: 1-line block ×3, first 2 shown]
	v_mul_f32_e32 v36, v36, v38
	v_cndmask_b32_e32 v14, 0x7fc00000, v42, vcc_lo
	v_and_b32_e32 v34, 0xffff0000, v34
	v_cmp_o_f32_e32 vcc_lo, v13, v13
	s_delay_alu instid0(VALU_DEP_4) | instskip(NEXT) | instid1(VALU_DEP_4)
	v_bfe_u32 v38, v36, 16, 1
	v_mul_f32_e32 v35, v14, v35
	v_bfe_u32 v14, v37, 16, 1
	v_cndmask_b32_e32 v13, 0x7fc00000, v40, vcc_lo
	s_delay_alu instid0(VALU_DEP_4) | instskip(SKIP_1) | instid1(VALU_DEP_4)
	v_add3_u32 v38, v36, v38, 0x7fff
	v_cmp_o_f32_e32 vcc_lo, v37, v37
	v_add3_u32 v14, v37, v14, 0x7fff
	s_delay_alu instid0(VALU_DEP_4) | instskip(SKIP_2) | instid1(VALU_DEP_4)
	v_mul_f32_e32 v34, v13, v34
	v_bfe_u32 v13, v35, 16, 1
	v_and_b32_e32 v38, 0xffff0000, v38
	v_and_b32_e32 v14, 0xffff0000, v14
	s_delay_alu instid0(VALU_DEP_4) | instskip(NEXT) | instid1(VALU_DEP_4)
	v_bfe_u32 v39, v34, 16, 1
	v_add3_u32 v13, v35, v13, 0x7fff
	s_delay_alu instid0(VALU_DEP_3) | instskip(SKIP_1) | instid1(VALU_DEP_3)
	v_cndmask_b32_e64 v37, 0x7fc00000, |v14|, vcc_lo
	v_cmp_o_f32_e32 vcc_lo, v36, v36
	v_and_b32_e32 v40, 0xffff0000, v13
	v_add3_u32 v39, v34, v39, 0x7fff
	v_cndmask_b32_e64 v36, 0x7fc00000, |v38|, vcc_lo
	v_add_co_u32 v13, vcc_lo, s3, v15
	v_add_co_ci_u32_e32 v14, vcc_lo, s35, v16, vcc_lo
	v_cmp_o_f32_e32 vcc_lo, v35, v35
	v_and_b32_e32 v15, 0xffff0000, v39
	v_max3_f32 v4, v4, v37, v36
	v_add_co_u32 v32, s3, v32, s22
	v_cndmask_b32_e64 v16, 0x7fc00000, |v40|, vcc_lo
	v_cmp_o_f32_e32 vcc_lo, v34, v34
	v_add_co_ci_u32_e64 v33, s3, s23, v33, s3
	v_cndmask_b32_e64 v15, 0x7fc00000, |v15|, vcc_lo
	v_add_co_u32 v30, vcc_lo, v30, s22
	v_add_co_ci_u32_e32 v31, vcc_lo, s23, v31, vcc_lo
	v_cmp_ge_i64_e32 vcc_lo, v[13:14], v[9:10]
	s_delay_alu instid0(VALU_DEP_4)
	v_max3_f32 v4, v4, v15, v16
	s_or_not1_b32 s3, vcc_lo, exec_lo
	s_branch .LBB74_18
.LBB74_25:
	s_or_b32 exec_lo, exec_lo, s25
.LBB74_26:
	s_delay_alu instid0(SALU_CYCLE_1)
	s_or_b32 exec_lo, exec_lo, s13
	s_lshr_b32 s15, s28, 5
	v_lshlrev_b32_e32 v29, 2, v0
	v_cvt_f32_u32_e32 v9, s15
	s_sub_i32 s8, 0, s15
	s_add_i32 s9, s12, s15
	s_delay_alu instid0(SALU_CYCLE_1) | instskip(NEXT) | instid1(VALU_DEP_1)
	s_add_i32 s9, s9, -1
	v_rcp_iflag_f32_e32 v9, v9
	s_abs_i32 s13, s9
	s_ashr_i32 s9, s9, 31
	ds_store_b32 v29, v4
	s_waitcnt lgkmcnt(0)
	s_barrier
	buffer_gl0_inv
	v_mul_f32_e32 v9, 0x4f7ffffe, v9
	s_delay_alu instid0(VALU_DEP_1) | instskip(NEXT) | instid1(VALU_DEP_1)
	v_cvt_u32_f32_e32 v9, v9
	v_readfirstlane_b32 s3, v9
	s_delay_alu instid0(VALU_DEP_1) | instskip(NEXT) | instid1(SALU_CYCLE_1)
	s_mul_i32 s8, s8, s3
	s_mul_hi_u32 s8, s3, s8
	s_delay_alu instid0(SALU_CYCLE_1) | instskip(NEXT) | instid1(SALU_CYCLE_1)
	s_add_i32 s3, s3, s8
	s_mul_hi_u32 s3, s13, s3
	s_delay_alu instid0(SALU_CYCLE_1) | instskip(NEXT) | instid1(SALU_CYCLE_1)
	s_mul_i32 s8, s3, s15
	s_sub_i32 s8, s13, s8
	s_add_i32 s13, s3, 1
	s_sub_i32 s22, s8, s15
	s_cmp_ge_u32 s8, s15
	s_cselect_b32 s3, s13, s3
	s_cselect_b32 s8, s22, s8
	s_add_i32 s13, s3, 1
	s_cmp_ge_u32 s8, s15
	s_cselect_b32 s3, s13, s3
	s_delay_alu instid0(SALU_CYCLE_1) | instskip(NEXT) | instid1(SALU_CYCLE_1)
	s_xor_b32 s3, s3, s9
	s_sub_i32 s8, s3, s9
	s_delay_alu instid0(SALU_CYCLE_1) | instskip(NEXT) | instid1(SALU_CYCLE_1)
	s_ashr_i32 s9, s8, 31
	v_cmp_lt_i64_e64 s3, s[8:9], 1
	s_delay_alu instid0(VALU_DEP_1)
	s_and_b32 vcc_lo, exec_lo, s3
	s_cbranch_vccnz .LBB74_46
; %bb.27:
	v_lshrrev_b32_e32 v9, 5, v0
	v_and_b32_e32 v4, 31, v0
	s_ashr_i32 s13, s12, 31
	s_mov_b64 s[22:23], 0
	s_mov_b64 s[24:25], src_shared_base
	v_mul_lo_u32 v19, s20, v9
	v_add_co_u32 v11, s3, v4, 16
	s_delay_alu instid0(VALU_DEP_1) | instskip(SKIP_1) | instid1(VALU_DEP_1)
	v_add_co_ci_u32_e64 v12, null, 0, 0, s3
	v_add_co_u32 v13, s3, v4, 8
	v_add_co_ci_u32_e64 v14, null, 0, 0, s3
	v_add_co_u32 v15, s3, v4, 4
	v_dual_mov_b32 v10, 0 :: v_dual_lshlrev_b32 v21, 2, v19
	v_lshlrev_b32_e32 v22, 2, v4
	v_add_co_ci_u32_e64 v16, null, 0, 0, s3
	v_add_co_u32 v17, s3, v4, 2
	s_delay_alu instid0(VALU_DEP_1) | instskip(SKIP_1) | instid1(VALU_DEP_1)
	v_add_co_ci_u32_e64 v18, null, 0, 0, s3
	v_add_co_u32 v19, s3, v4, 1
	v_add_co_ci_u32_e64 v20, null, 0, 0, s3
	v_add3_u32 v30, v21, v22, 0x80
	s_mul_i32 s3, s20, s15
	s_delay_alu instid0(SALU_CYCLE_1)
	s_lshl_b32 s30, s3, 2
	s_branch .LBB74_30
.LBB74_28:                              ;   in Loop: Header=BB74_30 Depth=1
	s_or_b32 exec_lo, exec_lo, s3
	v_mov_b32_e32 v22, s25
	flat_load_b32 v21, v[21:22] glc dlc
	s_waitcnt vmcnt(0)
.LBB74_29:                              ;   in Loop: Header=BB74_30 Depth=1
	s_or_b32 exec_lo, exec_lo, s24
	s_add_u32 s22, s22, 1
	v_add_nc_u32_e32 v30, s30, v30
	s_addc_u32 s23, s23, 0
	s_delay_alu instid0(SALU_CYCLE_1)
	s_cmp_eq_u64 s[22:23], s[8:9]
	s_cbranch_scc1 .LBB74_46
.LBB74_30:                              ; =>This Loop Header: Depth=1
                                        ;     Child Loop BB74_33 Depth 2
	s_waitcnt lgkmcnt(0)
	v_mad_u64_u32 v[21:22], null, s22, s15, v[9:10]
	s_mov_b32 s24, exec_lo
	s_delay_alu instid0(VALU_DEP_1) | instskip(NEXT) | instid1(VALU_DEP_1)
	v_mad_u64_u32 v[23:24], null, s23, s15, v[22:23]
	v_mov_b32_e32 v22, v23
	s_delay_alu instid0(VALU_DEP_1)
	v_cmpx_gt_i64_e64 s[12:13], v[21:22]
	s_cbranch_execz .LBB74_29
; %bb.31:                               ;   in Loop: Header=BB74_30 Depth=1
	v_mul_lo_u32 v24, v22, s20
	v_mul_lo_u32 v25, v21, s21
	v_mad_u64_u32 v[22:23], null, v21, s20, 0
	s_delay_alu instid0(VALU_DEP_1) | instskip(NEXT) | instid1(VALU_DEP_2)
	v_add3_u32 v23, v23, v25, v24
	v_add_co_u32 v24, vcc_lo, v22, s20
	v_add_co_u32 v31, s3, v22, v4
	s_delay_alu instid0(VALU_DEP_3) | instskip(SKIP_2) | instid1(VALU_DEP_2)
	v_add_co_ci_u32_e32 v25, vcc_lo, s21, v23, vcc_lo
	v_add_co_ci_u32_e64 v21, s3, 0, v23, s3
	s_mov_b32 s3, exec_lo
	v_cmp_gt_i64_e32 vcc_lo, s[18:19], v[24:25]
	v_cndmask_b32_e32 v25, s19, v25, vcc_lo
	v_cndmask_b32_e32 v24, s18, v24, vcc_lo
	v_add_co_u32 v26, vcc_lo, v31, 32
	v_add_co_ci_u32_e32 v27, vcc_lo, 0, v21, vcc_lo
	v_lshlrev_b32_e32 v21, 2, v31
	s_delay_alu instid0(VALU_DEP_2)
	v_cmpx_lt_i64_e64 v[26:27], v[24:25]
	s_cbranch_execz .LBB74_34
; %bb.32:                               ;   in Loop: Header=BB74_30 Depth=1
	ds_load_b32 v33, v21
	v_mov_b32_e32 v32, v30
	s_mov_b32 s31, 0
.LBB74_33:                              ;   Parent Loop BB74_30 Depth=1
                                        ; =>  This Inner Loop Header: Depth=2
	ds_load_b32 v34, v32
	v_add_co_u32 v26, vcc_lo, v26, 32
	v_add_co_ci_u32_e32 v27, vcc_lo, 0, v27, vcc_lo
	s_waitcnt lgkmcnt(1)
	v_dual_max_f32 v33, v33, v33 :: v_dual_add_nc_u32 v32, 0x80, v32
	s_delay_alu instid0(VALU_DEP_2) | instskip(SKIP_3) | instid1(VALU_DEP_1)
	v_cmp_ge_i64_e32 vcc_lo, v[26:27], v[24:25]
	s_or_b32 s31, vcc_lo, s31
	s_waitcnt lgkmcnt(0)
	v_max_f32_e32 v34, v34, v34
	v_max_f32_e32 v33, v33, v34
	ds_store_b32 v21, v33
	s_and_not1_b32 exec_lo, exec_lo, s31
	s_cbranch_execnz .LBB74_33
.LBB74_34:                              ;   in Loop: Header=BB74_30 Depth=1
	s_or_b32 exec_lo, exec_lo, s3
	v_sub_co_u32 v22, vcc_lo, v24, v22
	v_sub_co_ci_u32_e32 v23, vcc_lo, v25, v23, vcc_lo
	s_mov_b32 s3, exec_lo
	s_delay_alu instid0(VALU_DEP_1) | instskip(SKIP_1) | instid1(VALU_DEP_1)
	v_cmp_gt_i64_e32 vcc_lo, 32, v[22:23]
	v_dual_cndmask_b32 v24, 0, v23 :: v_dual_cndmask_b32 v23, 32, v22
	v_cmpx_lt_i64_e64 v[11:12], v[23:24]
	s_cbranch_execz .LBB74_36
; %bb.35:                               ;   in Loop: Header=BB74_30 Depth=1
	v_dual_mov_b32 v22, s25 :: v_dual_add_nc_u32 v25, 64, v21
	v_mov_b32_e32 v26, s25
	flat_load_b32 v27, v[21:22] glc dlc
	s_waitcnt vmcnt(0)
	flat_load_b32 v25, v[25:26] glc dlc
	s_waitcnt vmcnt(0) lgkmcnt(0)
	v_dual_max_f32 v26, v27, v27 :: v_dual_max_f32 v25, v25, v25
	s_delay_alu instid0(VALU_DEP_1)
	v_max_f32_e32 v25, v26, v25
	flat_store_b32 v[21:22], v25 dlc
	s_waitcnt_vscnt null, 0x0
.LBB74_36:                              ;   in Loop: Header=BB74_30 Depth=1
	s_or_b32 exec_lo, exec_lo, s3
	s_delay_alu instid0(SALU_CYCLE_1)
	s_mov_b32 s3, exec_lo
	v_cmpx_lt_i64_e64 v[13:14], v[23:24]
	s_cbranch_execz .LBB74_38
; %bb.37:                               ;   in Loop: Header=BB74_30 Depth=1
	v_dual_mov_b32 v22, s25 :: v_dual_add_nc_u32 v25, 32, v21
	v_mov_b32_e32 v26, s25
	flat_load_b32 v27, v[21:22] glc dlc
	s_waitcnt vmcnt(0)
	flat_load_b32 v25, v[25:26] glc dlc
	s_waitcnt vmcnt(0) lgkmcnt(0)
	v_dual_max_f32 v26, v27, v27 :: v_dual_max_f32 v25, v25, v25
	s_delay_alu instid0(VALU_DEP_1)
	v_max_f32_e32 v25, v26, v25
	flat_store_b32 v[21:22], v25 dlc
	s_waitcnt_vscnt null, 0x0
.LBB74_38:                              ;   in Loop: Header=BB74_30 Depth=1
	s_or_b32 exec_lo, exec_lo, s3
	s_delay_alu instid0(SALU_CYCLE_1)
	s_mov_b32 s3, exec_lo
	v_cmpx_ge_i64_e64 v[15:16], v[23:24]
	s_xor_b32 s3, exec_lo, s3
; %bb.39:                               ;   in Loop: Header=BB74_30 Depth=1
                                        ; implicit-def: $vgpr21
; %bb.40:                               ;   in Loop: Header=BB74_30 Depth=1
	s_delay_alu instid0(SALU_CYCLE_1)
	s_and_not1_saveexec_b32 s3, s3
	s_cbranch_execz .LBB74_42
; %bb.41:                               ;   in Loop: Header=BB74_30 Depth=1
	v_dual_mov_b32 v22, s25 :: v_dual_add_nc_u32 v25, 16, v21
	v_mov_b32_e32 v26, s25
	flat_load_b32 v27, v[21:22] glc dlc
	s_waitcnt vmcnt(0)
	flat_load_b32 v25, v[25:26] glc dlc
	s_waitcnt vmcnt(0) lgkmcnt(0)
	v_dual_max_f32 v26, v27, v27 :: v_dual_max_f32 v25, v25, v25
	s_delay_alu instid0(VALU_DEP_1)
	v_max_f32_e32 v25, v26, v25
	flat_store_b32 v[21:22], v25 dlc
	s_waitcnt_vscnt null, 0x0
.LBB74_42:                              ;   in Loop: Header=BB74_30 Depth=1
	s_or_b32 exec_lo, exec_lo, s3
	v_lshlrev_b32_e32 v21, 2, v31
	s_mov_b32 s3, exec_lo
	v_cmpx_lt_i64_e64 v[17:18], v[23:24]
	s_cbranch_execz .LBB74_44
; %bb.43:                               ;   in Loop: Header=BB74_30 Depth=1
	s_delay_alu instid0(VALU_DEP_2)
	v_dual_mov_b32 v22, s25 :: v_dual_add_nc_u32 v25, 8, v21
	v_mov_b32_e32 v26, s25
	flat_load_b32 v27, v[21:22] glc dlc
	s_waitcnt vmcnt(0)
	flat_load_b32 v25, v[25:26] glc dlc
	s_waitcnt vmcnt(0) lgkmcnt(0)
	v_dual_max_f32 v26, v27, v27 :: v_dual_max_f32 v25, v25, v25
	s_delay_alu instid0(VALU_DEP_1)
	v_max_f32_e32 v25, v26, v25
	flat_store_b32 v[21:22], v25 dlc
	s_waitcnt_vscnt null, 0x0
.LBB74_44:                              ;   in Loop: Header=BB74_30 Depth=1
	s_or_b32 exec_lo, exec_lo, s3
	s_delay_alu instid0(SALU_CYCLE_1)
	s_mov_b32 s3, exec_lo
	v_cmpx_lt_i64_e64 v[19:20], v[23:24]
	s_cbranch_execz .LBB74_28
; %bb.45:                               ;   in Loop: Header=BB74_30 Depth=1
	v_dual_mov_b32 v22, s25 :: v_dual_add_nc_u32 v23, 4, v21
	v_mov_b32_e32 v24, s25
	flat_load_b32 v25, v[21:22] glc dlc
	s_waitcnt vmcnt(0)
	flat_load_b32 v23, v[23:24] glc dlc
	s_waitcnt vmcnt(0) lgkmcnt(0)
	v_dual_max_f32 v24, v25, v25 :: v_dual_max_f32 v23, v23, v23
	s_delay_alu instid0(VALU_DEP_1)
	v_max_f32_e32 v23, v24, v23
	flat_store_b32 v[21:22], v23 dlc
	s_waitcnt_vscnt null, 0x0
	s_branch .LBB74_28
.LBB74_46:
	s_load_b64 s[8:9], s[0:1], 0x40
	v_cmp_lt_i64_e32 vcc_lo, v[7:8], v[5:6]
	v_cmp_eq_u32_e64 s3, 0, v3
	s_waitcnt lgkmcnt(0)
	s_barrier
	buffer_gl0_inv
	s_and_b32 s12, s3, vcc_lo
	s_delay_alu instid0(SALU_CYCLE_1)
	s_and_saveexec_b32 s3, s12
	s_cbranch_execz .LBB74_53
; %bb.47:
	s_load_b64 s[0:1], s[0:1], 0x20
	ds_load_b32 v5, v29
	s_waitcnt lgkmcnt(0)
	s_cmp_eq_u64 s[0:1], 0
	s_cbranch_scc1 .LBB74_49
; %bb.48:
	s_load_b32 s0, s[0:1], 0x0
	v_max_f32_e32 v3, v5, v5
	s_waitcnt lgkmcnt(0)
	v_max_f32_e64 v4, s0, s0
	s_delay_alu instid0(VALU_DEP_1)
	v_min_f32_e32 v5, v3, v4
.LBB74_49:
	s_add_u32 s0, s8, s29
	s_addc_u32 s1, s9, 0
	s_add_u32 s12, s0, -1
	s_addc_u32 s13, s1, -1
	s_delay_alu instid0(SALU_CYCLE_1) | instskip(SKIP_1) | instid1(SALU_CYCLE_1)
	s_or_b64 s[20:21], s[12:13], s[8:9]
	s_mov_b32 s20, 0
	s_cmp_lg_u64 s[20:21], 0
	s_cbranch_scc0 .LBB74_66
; %bb.50:
	s_ashr_i32 s0, s9, 31
	s_delay_alu instid0(SALU_CYCLE_1) | instskip(SKIP_2) | instid1(SALU_CYCLE_1)
	s_add_u32 s22, s8, s0
	s_mov_b32 s1, s0
	s_addc_u32 s23, s9, s0
	s_xor_b64 s[0:1], s[22:23], s[0:1]
	s_delay_alu instid0(SALU_CYCLE_1) | instskip(SKIP_3) | instid1(VALU_DEP_1)
	v_cvt_f32_u32_e32 v3, s0
	v_cvt_f32_u32_e32 v4, s1
	s_sub_u32 s22, 0, s0
	s_subb_u32 s23, 0, s1
	v_fmamk_f32 v3, v4, 0x4f800000, v3
	s_delay_alu instid0(VALU_DEP_1) | instskip(SKIP_2) | instid1(VALU_DEP_1)
	v_rcp_f32_e32 v3, v3
	s_waitcnt_depctr 0xfff
	v_mul_f32_e32 v3, 0x5f7ffffc, v3
	v_mul_f32_e32 v4, 0x2f800000, v3
	s_delay_alu instid0(VALU_DEP_1) | instskip(NEXT) | instid1(VALU_DEP_1)
	v_trunc_f32_e32 v4, v4
	v_fmamk_f32 v3, v4, 0xcf800000, v3
	v_cvt_u32_f32_e32 v4, v4
	s_delay_alu instid0(VALU_DEP_2) | instskip(NEXT) | instid1(VALU_DEP_2)
	v_cvt_u32_f32_e32 v3, v3
	v_readfirstlane_b32 s15, v4
	s_delay_alu instid0(VALU_DEP_2) | instskip(NEXT) | instid1(VALU_DEP_2)
	v_readfirstlane_b32 s21, v3
	s_mul_i32 s24, s22, s15
	s_delay_alu instid0(VALU_DEP_1)
	s_mul_hi_u32 s30, s22, s21
	s_mul_i32 s25, s23, s21
	s_add_i32 s24, s30, s24
	s_mul_i32 s31, s22, s21
	s_add_i32 s24, s24, s25
	s_mul_hi_u32 s30, s21, s31
	s_mul_hi_u32 s33, s15, s31
	s_mul_i32 s25, s15, s31
	s_mul_hi_u32 s31, s21, s24
	s_mul_i32 s21, s21, s24
	s_mul_hi_u32 s34, s15, s24
	s_add_u32 s21, s30, s21
	s_addc_u32 s30, 0, s31
	s_add_u32 s21, s21, s25
	s_mul_i32 s24, s15, s24
	s_addc_u32 s21, s30, s33
	s_addc_u32 s25, s34, 0
	s_add_u32 s21, s21, s24
	s_addc_u32 s24, 0, s25
	v_add_co_u32 v3, s21, v3, s21
	s_delay_alu instid0(VALU_DEP_1) | instskip(SKIP_1) | instid1(VALU_DEP_1)
	s_cmp_lg_u32 s21, 0
	s_addc_u32 s15, s15, s24
	v_readfirstlane_b32 s21, v3
	s_mul_i32 s24, s22, s15
	s_delay_alu instid0(VALU_DEP_1)
	s_mul_hi_u32 s25, s22, s21
	s_mul_i32 s23, s23, s21
	s_add_i32 s24, s25, s24
	s_mul_i32 s22, s22, s21
	s_add_i32 s24, s24, s23
	s_mul_hi_u32 s25, s15, s22
	s_mul_i32 s30, s15, s22
	s_mul_hi_u32 s22, s21, s22
	s_mul_hi_u32 s31, s21, s24
	s_mul_i32 s21, s21, s24
	s_mul_hi_u32 s23, s15, s24
	s_add_u32 s21, s22, s21
	s_addc_u32 s22, 0, s31
	s_add_u32 s21, s21, s30
	s_mul_i32 s24, s15, s24
	s_addc_u32 s21, s22, s25
	s_addc_u32 s22, s23, 0
	s_add_u32 s21, s21, s24
	s_addc_u32 s22, 0, s22
	v_add_co_u32 v3, s21, v3, s21
	s_delay_alu instid0(VALU_DEP_1) | instskip(SKIP_2) | instid1(VALU_DEP_1)
	s_cmp_lg_u32 s21, 0
	s_addc_u32 s15, s15, s22
	s_ashr_i32 s22, s13, 31
	v_readfirstlane_b32 s21, v3
	s_add_u32 s24, s12, s22
	s_mov_b32 s23, s22
	s_addc_u32 s25, s13, s22
	s_delay_alu instid0(SALU_CYCLE_1) | instskip(NEXT) | instid1(SALU_CYCLE_1)
	s_xor_b64 s[24:25], s[24:25], s[22:23]
	s_mul_i32 s30, s24, s15
	s_mul_hi_u32 s31, s24, s21
	s_mul_hi_u32 s23, s24, s15
	;; [unrolled: 1-line block ×3, first 2 shown]
	s_mul_i32 s21, s25, s21
	s_add_u32 s30, s31, s30
	s_addc_u32 s23, 0, s23
	s_mul_hi_u32 s33, s25, s15
	s_add_u32 s21, s30, s21
	s_mul_i32 s15, s25, s15
	s_addc_u32 s21, s23, s34
	s_addc_u32 s23, s33, 0
	s_add_u32 s15, s21, s15
	s_addc_u32 s21, 0, s23
	s_mul_hi_u32 s23, s0, s15
	s_mul_i32 s21, s0, s21
	s_mul_i32 s30, s1, s15
	;; [unrolled: 1-line block ×3, first 2 shown]
	s_add_i32 s21, s23, s21
	v_sub_co_u32 v3, s15, s24, s15
	s_add_i32 s21, s21, s30
	s_delay_alu instid0(SALU_CYCLE_1) | instskip(SKIP_1) | instid1(VALU_DEP_1)
	s_sub_i32 s23, s25, s21
	s_cmp_lg_u32 s15, 0
	v_sub_co_u32 v4, s24, v3, s0
	s_subb_u32 s23, s23, s1
	s_cmp_lg_u32 s24, 0
	s_subb_u32 s30, s23, 0
	s_delay_alu instid0(VALU_DEP_1)
	v_cmp_le_u32_e32 vcc_lo, s0, v4
	s_cmp_ge_u32 s30, s1
	s_cselect_b32 s31, -1, 0
	s_cmp_eq_u32 s30, s1
	v_cndmask_b32_e64 v6, 0, -1, vcc_lo
	s_cselect_b32 vcc_lo, -1, 0
	s_cmp_lg_u32 s24, 0
	v_sub_co_u32 v7, s24, v4, s0
	s_subb_u32 s23, s23, s1
	s_cmp_lg_u32 s24, 0
	v_cndmask_b32_e32 v6, s31, v6, vcc_lo
	s_subb_u32 s23, s23, 0
	s_cmp_lg_u32 s15, 0
	v_cmp_le_u32_e32 vcc_lo, s0, v3
	s_subb_u32 s15, s25, s21
	s_delay_alu instid0(SALU_CYCLE_1)
	s_cmp_ge_u32 s15, s1
	v_cndmask_b32_e64 v8, 0, -1, vcc_lo
	s_cselect_b32 s21, -1, 0
	s_cmp_eq_u32 s15, s1
	v_cmp_ne_u32_e32 vcc_lo, 0, v6
	v_mov_b32_e32 v6, s23
	s_cselect_b32 s0, -1, 0
	s_delay_alu instid0(SALU_CYCLE_1) | instskip(SKIP_1) | instid1(VALU_DEP_3)
	v_cndmask_b32_e64 v8, s21, v8, s0
	v_cndmask_b32_e32 v4, v4, v7, vcc_lo
	v_cndmask_b32_e32 v6, s30, v6, vcc_lo
	s_delay_alu instid0(VALU_DEP_3) | instskip(NEXT) | instid1(VALU_DEP_3)
	v_cmp_ne_u32_e32 vcc_lo, 0, v8
	v_cndmask_b32_e32 v3, v3, v4, vcc_lo
	s_delay_alu instid0(VALU_DEP_3) | instskip(NEXT) | instid1(VALU_DEP_2)
	v_cndmask_b32_e32 v6, s15, v6, vcc_lo
	v_xor_b32_e32 v3, s22, v3
	s_delay_alu instid0(VALU_DEP_2) | instskip(NEXT) | instid1(VALU_DEP_2)
	v_xor_b32_e32 v4, s22, v6
	v_sub_co_u32 v3, vcc_lo, v3, s22
	s_delay_alu instid0(VALU_DEP_2)
	v_subrev_co_ci_u32_e32 v4, vcc_lo, s22, v4, vcc_lo
	s_and_not1_b32 vcc_lo, exec_lo, s20
	s_cbranch_vccnz .LBB74_52
.LBB74_51:
	v_cvt_f32_u32_e32 v3, s8
	s_sub_i32 s0, 0, s8
	s_delay_alu instid0(VALU_DEP_1) | instskip(SKIP_2) | instid1(VALU_DEP_1)
	v_rcp_iflag_f32_e32 v3, v3
	s_waitcnt_depctr 0xfff
	v_mul_f32_e32 v3, 0x4f7ffffe, v3
	v_cvt_u32_f32_e32 v3, v3
	s_delay_alu instid0(VALU_DEP_1) | instskip(NEXT) | instid1(VALU_DEP_1)
	v_mul_lo_u32 v4, s0, v3
	v_mul_hi_u32 v4, v3, v4
	s_delay_alu instid0(VALU_DEP_1) | instskip(NEXT) | instid1(VALU_DEP_1)
	v_add_nc_u32_e32 v3, v3, v4
	v_mul_hi_u32 v3, s12, v3
	s_delay_alu instid0(VALU_DEP_1) | instskip(NEXT) | instid1(VALU_DEP_1)
	v_mul_lo_u32 v3, v3, s8
	v_sub_nc_u32_e32 v3, s12, v3
	s_delay_alu instid0(VALU_DEP_1) | instskip(SKIP_1) | instid1(VALU_DEP_2)
	v_subrev_nc_u32_e32 v4, s8, v3
	v_cmp_le_u32_e32 vcc_lo, s8, v3
	v_cndmask_b32_e32 v3, v3, v4, vcc_lo
	s_delay_alu instid0(VALU_DEP_1) | instskip(SKIP_1) | instid1(VALU_DEP_2)
	v_subrev_nc_u32_e32 v4, s8, v3
	v_cmp_le_u32_e32 vcc_lo, s8, v3
	v_dual_cndmask_b32 v3, v3, v4 :: v_dual_mov_b32 v4, 0
.LBB74_52:
	v_div_scale_f32 v6, null, 0x42fe0000, 0x42fe0000, v5
	v_div_scale_f32 v9, vcc_lo, v5, 0x42fe0000, v5
	s_delay_alu instid0(VALU_DEP_3) | instskip(NEXT) | instid1(VALU_DEP_3)
	v_sub_co_u32 v10, s0, s12, v3
	v_rcp_f32_e32 v7, v6
	v_sub_co_ci_u32_e64 v3, s0, s13, v4, s0
	s_lshl_b64 s[0:1], s[16:17], 2
	s_delay_alu instid0(SALU_CYCLE_1) | instskip(NEXT) | instid1(VALU_DEP_1)
	s_add_u32 s0, s0, s6
	v_mul_lo_u32 v11, v3, v1
	s_addc_u32 s1, s1, s7
	s_waitcnt_depctr 0xfff
	v_fma_f32 v8, -v6, v7, 1.0
	s_delay_alu instid0(VALU_DEP_1) | instskip(NEXT) | instid1(VALU_DEP_1)
	v_fmac_f32_e32 v7, v8, v7
	v_mul_f32_e32 v8, v9, v7
	s_delay_alu instid0(VALU_DEP_1) | instskip(NEXT) | instid1(VALU_DEP_1)
	v_fma_f32 v4, -v6, v8, v9
	v_fmac_f32_e32 v8, v4, v7
	v_mul_lo_u32 v4, v10, v2
	v_mad_u64_u32 v[2:3], null, v10, v1, 0
	s_delay_alu instid0(VALU_DEP_3) | instskip(NEXT) | instid1(VALU_DEP_2)
	v_fma_f32 v1, -v6, v8, v9
	v_add3_u32 v3, v3, v4, v11
	s_delay_alu instid0(VALU_DEP_2) | instskip(NEXT) | instid1(VALU_DEP_1)
	v_div_fmas_f32 v1, v1, v7, v8
	v_div_fixup_f32 v4, v1, 0x42fe0000, v5
	s_delay_alu instid0(VALU_DEP_3) | instskip(NEXT) | instid1(VALU_DEP_2)
	v_lshlrev_b64 v[1:2], 2, v[2:3]
	v_max_f32_e32 v3, 0x34000000, v4
	s_delay_alu instid0(VALU_DEP_2) | instskip(NEXT) | instid1(VALU_DEP_3)
	v_add_co_u32 v1, vcc_lo, s0, v1
	v_add_co_ci_u32_e32 v2, vcc_lo, s1, v2, vcc_lo
	global_store_b32 v[1:2], v3, off
.LBB74_53:
	s_or_b32 exec_lo, exec_lo, s3
	s_waitcnt_vscnt null, 0x0
	s_barrier
	buffer_gl0_inv
	s_and_saveexec_b32 s0, s2
	s_cbranch_execz .LBB74_65
; %bb.54:
	s_add_u32 s0, s8, s29
	s_addc_u32 s1, s9, 0
	s_add_u32 s2, s0, -1
	s_addc_u32 s3, s1, -1
	s_delay_alu instid0(SALU_CYCLE_1) | instskip(SKIP_1) | instid1(SALU_CYCLE_1)
	s_or_b64 s[12:13], s[2:3], s[8:9]
	s_mov_b32 s12, 0
	s_cmp_lg_u64 s[12:13], 0
	s_cbranch_scc0 .LBB74_67
; %bb.55:
	s_ashr_i32 s0, s9, 31
	s_delay_alu instid0(SALU_CYCLE_1) | instskip(SKIP_2) | instid1(SALU_CYCLE_1)
	s_add_u32 s20, s8, s0
	s_mov_b32 s1, s0
	s_addc_u32 s21, s9, s0
	s_xor_b64 s[0:1], s[20:21], s[0:1]
	s_delay_alu instid0(SALU_CYCLE_1) | instskip(SKIP_3) | instid1(VALU_DEP_1)
	v_cvt_f32_u32_e32 v1, s0
	v_cvt_f32_u32_e32 v2, s1
	s_sub_u32 s15, 0, s0
	s_subb_u32 s20, 0, s1
	v_fmamk_f32 v1, v2, 0x4f800000, v1
	s_delay_alu instid0(VALU_DEP_1) | instskip(SKIP_2) | instid1(VALU_DEP_1)
	v_rcp_f32_e32 v1, v1
	s_waitcnt_depctr 0xfff
	v_mul_f32_e32 v1, 0x5f7ffffc, v1
	v_mul_f32_e32 v2, 0x2f800000, v1
	s_delay_alu instid0(VALU_DEP_1) | instskip(NEXT) | instid1(VALU_DEP_1)
	v_trunc_f32_e32 v2, v2
	v_fmamk_f32 v1, v2, 0xcf800000, v1
	v_cvt_u32_f32_e32 v2, v2
	s_delay_alu instid0(VALU_DEP_2) | instskip(NEXT) | instid1(VALU_DEP_2)
	v_cvt_u32_f32_e32 v1, v1
	v_readfirstlane_b32 s9, v2
	s_delay_alu instid0(VALU_DEP_2) | instskip(NEXT) | instid1(VALU_DEP_2)
	v_readfirstlane_b32 s13, v1
	s_mul_i32 s21, s15, s9
	s_delay_alu instid0(VALU_DEP_1)
	s_mul_hi_u32 s23, s15, s13
	s_mul_i32 s22, s20, s13
	s_add_i32 s21, s23, s21
	s_mul_i32 s24, s15, s13
	s_add_i32 s21, s21, s22
	s_mul_hi_u32 s23, s13, s24
	s_mul_hi_u32 s25, s9, s24
	s_mul_i32 s22, s9, s24
	s_mul_hi_u32 s24, s13, s21
	s_mul_i32 s13, s13, s21
	s_mul_hi_u32 s29, s9, s21
	s_add_u32 s13, s23, s13
	s_addc_u32 s23, 0, s24
	s_add_u32 s13, s13, s22
	s_mul_i32 s21, s9, s21
	s_addc_u32 s13, s23, s25
	s_addc_u32 s22, s29, 0
	s_add_u32 s13, s13, s21
	s_addc_u32 s21, 0, s22
	v_add_co_u32 v1, s13, v1, s13
	s_delay_alu instid0(VALU_DEP_1) | instskip(SKIP_1) | instid1(VALU_DEP_1)
	s_cmp_lg_u32 s13, 0
	s_addc_u32 s9, s9, s21
	v_readfirstlane_b32 s13, v1
	s_mul_i32 s21, s15, s9
	s_delay_alu instid0(VALU_DEP_1)
	s_mul_hi_u32 s22, s15, s13
	s_mul_i32 s20, s20, s13
	s_add_i32 s21, s22, s21
	s_mul_i32 s15, s15, s13
	s_add_i32 s21, s21, s20
	s_mul_hi_u32 s22, s9, s15
	s_mul_i32 s23, s9, s15
	s_mul_hi_u32 s15, s13, s15
	s_mul_hi_u32 s24, s13, s21
	s_mul_i32 s13, s13, s21
	s_mul_hi_u32 s20, s9, s21
	s_add_u32 s13, s15, s13
	s_addc_u32 s15, 0, s24
	s_add_u32 s13, s13, s23
	s_mul_i32 s21, s9, s21
	s_addc_u32 s13, s15, s22
	s_addc_u32 s15, s20, 0
	s_add_u32 s13, s13, s21
	s_addc_u32 s15, 0, s15
	v_add_co_u32 v1, s13, v1, s13
	s_delay_alu instid0(VALU_DEP_1) | instskip(SKIP_2) | instid1(VALU_DEP_1)
	s_cmp_lg_u32 s13, 0
	s_addc_u32 s9, s9, s15
	s_ashr_i32 s20, s3, 31
	v_readfirstlane_b32 s13, v1
	s_add_u32 s22, s2, s20
	s_mov_b32 s21, s20
	s_addc_u32 s23, s3, s20
	s_delay_alu instid0(SALU_CYCLE_1) | instskip(NEXT) | instid1(SALU_CYCLE_1)
	s_xor_b64 s[22:23], s[22:23], s[20:21]
	s_mul_i32 s21, s22, s9
	s_mul_hi_u32 s24, s22, s13
	s_mul_hi_u32 s15, s22, s9
	;; [unrolled: 1-line block ×3, first 2 shown]
	s_mul_i32 s13, s23, s13
	s_add_u32 s21, s24, s21
	s_addc_u32 s15, 0, s15
	s_mul_hi_u32 s25, s23, s9
	s_add_u32 s13, s21, s13
	s_mul_i32 s9, s23, s9
	s_addc_u32 s13, s15, s29
	s_addc_u32 s15, s25, 0
	s_add_u32 s9, s13, s9
	s_addc_u32 s13, 0, s15
	s_mul_hi_u32 s15, s0, s9
	s_mul_i32 s13, s0, s13
	s_mul_i32 s21, s1, s9
	;; [unrolled: 1-line block ×3, first 2 shown]
	s_add_i32 s13, s15, s13
	v_sub_co_u32 v1, s9, s22, s9
	s_add_i32 s13, s13, s21
	s_delay_alu instid0(SALU_CYCLE_1) | instskip(SKIP_1) | instid1(VALU_DEP_1)
	s_sub_i32 s15, s23, s13
	s_cmp_lg_u32 s9, 0
	v_sub_co_u32 v2, s21, v1, s0
	s_subb_u32 s15, s15, s1
	s_cmp_lg_u32 s21, 0
	s_subb_u32 s22, s15, 0
	s_delay_alu instid0(VALU_DEP_1)
	v_cmp_le_u32_e32 vcc_lo, s0, v2
	s_cmp_ge_u32 s22, s1
	s_cselect_b32 s24, -1, 0
	s_cmp_eq_u32 s22, s1
	v_cndmask_b32_e64 v3, 0, -1, vcc_lo
	s_cselect_b32 vcc_lo, -1, 0
	s_cmp_lg_u32 s21, 0
	v_sub_co_u32 v4, s21, v2, s0
	s_subb_u32 s15, s15, s1
	s_cmp_lg_u32 s21, 0
	v_cndmask_b32_e32 v3, s24, v3, vcc_lo
	s_subb_u32 s15, s15, 0
	s_cmp_lg_u32 s9, 0
	v_cmp_le_u32_e32 vcc_lo, s0, v1
	s_subb_u32 s9, s23, s13
	s_delay_alu instid0(SALU_CYCLE_1)
	s_cmp_ge_u32 s9, s1
	v_cndmask_b32_e64 v5, 0, -1, vcc_lo
	s_cselect_b32 s13, -1, 0
	s_cmp_eq_u32 s9, s1
	v_cmp_ne_u32_e32 vcc_lo, 0, v3
	v_mov_b32_e32 v3, s15
	s_cselect_b32 s0, -1, 0
	s_delay_alu instid0(SALU_CYCLE_1) | instskip(SKIP_1) | instid1(VALU_DEP_3)
	v_cndmask_b32_e64 v5, s13, v5, s0
	v_cndmask_b32_e32 v2, v2, v4, vcc_lo
	v_cndmask_b32_e32 v3, s22, v3, vcc_lo
	s_delay_alu instid0(VALU_DEP_3) | instskip(NEXT) | instid1(VALU_DEP_3)
	v_cmp_ne_u32_e32 vcc_lo, 0, v5
	v_cndmask_b32_e32 v1, v1, v2, vcc_lo
	s_delay_alu instid0(VALU_DEP_3) | instskip(NEXT) | instid1(VALU_DEP_2)
	v_cndmask_b32_e32 v3, s9, v3, vcc_lo
	v_xor_b32_e32 v1, s20, v1
	s_delay_alu instid0(VALU_DEP_2) | instskip(NEXT) | instid1(VALU_DEP_2)
	v_xor_b32_e32 v2, s20, v3
	v_sub_co_u32 v1, vcc_lo, v1, s20
	s_delay_alu instid0(VALU_DEP_2)
	v_subrev_co_ci_u32_e32 v2, vcc_lo, s20, v2, vcc_lo
	s_and_not1_b32 vcc_lo, exec_lo, s12
	s_cbranch_vccnz .LBB74_57
.LBB74_56:
	v_cvt_f32_u32_e32 v1, s8
	s_sub_i32 s0, 0, s8
	s_delay_alu instid0(VALU_DEP_1) | instskip(SKIP_2) | instid1(VALU_DEP_1)
	v_rcp_iflag_f32_e32 v1, v1
	s_waitcnt_depctr 0xfff
	v_mul_f32_e32 v1, 0x4f7ffffe, v1
	v_cvt_u32_f32_e32 v1, v1
	s_delay_alu instid0(VALU_DEP_1) | instskip(NEXT) | instid1(VALU_DEP_1)
	v_mul_lo_u32 v2, s0, v1
	v_mul_hi_u32 v2, v1, v2
	s_delay_alu instid0(VALU_DEP_1) | instskip(NEXT) | instid1(VALU_DEP_1)
	v_add_nc_u32_e32 v1, v1, v2
	v_mul_hi_u32 v1, s2, v1
	s_delay_alu instid0(VALU_DEP_1) | instskip(NEXT) | instid1(VALU_DEP_1)
	v_mul_lo_u32 v1, v1, s8
	v_sub_nc_u32_e32 v1, s2, v1
	s_delay_alu instid0(VALU_DEP_1) | instskip(SKIP_1) | instid1(VALU_DEP_2)
	v_subrev_nc_u32_e32 v2, s8, v1
	v_cmp_le_u32_e32 vcc_lo, s8, v1
	v_cndmask_b32_e32 v1, v1, v2, vcc_lo
	s_delay_alu instid0(VALU_DEP_1) | instskip(SKIP_1) | instid1(VALU_DEP_2)
	v_subrev_nc_u32_e32 v2, s8, v1
	v_cmp_le_u32_e32 vcc_lo, s8, v1
	v_dual_cndmask_b32 v1, v1, v2 :: v_dual_mov_b32 v2, 0
.LBB74_57:
	s_mul_i32 s0, s19, s16
	s_mul_hi_u32 s1, s18, s16
	s_mul_i32 s8, s18, s16
	s_add_i32 s0, s1, s0
	v_sub_co_u32 v5, vcc_lo, s2, v1
	s_add_u32 s1, s4, s8
	s_addc_u32 s4, s5, s0
	s_lshl_b64 s[8:9], s[16:17], 2
	v_sub_co_ci_u32_e32 v6, vcc_lo, s3, v2, vcc_lo
	v_mov_b32_e32 v1, 0
	s_add_u32 s5, s6, s8
	s_addc_u32 s6, s7, s9
	s_mul_i32 s2, s28, 3
	s_lshl_b32 s3, s28, 1
	s_mov_b32 s7, 0
	s_add_i32 s8, s28, s28
                                        ; implicit-def: $sgpr9
	s_branch .LBB74_61
.LBB74_58:                              ;   in Loop: Header=BB74_61 Depth=1
	s_or_b32 exec_lo, exec_lo, s15
	s_delay_alu instid0(SALU_CYCLE_1)
	s_or_not1_b32 s0, s0, exec_lo
.LBB74_59:                              ;   in Loop: Header=BB74_61 Depth=1
	s_or_b32 exec_lo, exec_lo, s13
	s_delay_alu instid0(SALU_CYCLE_1) | instskip(SKIP_1) | instid1(SALU_CYCLE_1)
	s_and_not1_b32 s9, s9, exec_lo
	s_and_b32 s0, s0, exec_lo
	s_or_b32 s9, s9, s0
.LBB74_60:                              ;   in Loop: Header=BB74_61 Depth=1
	s_or_b32 exec_lo, exec_lo, s12
	s_delay_alu instid0(SALU_CYCLE_1) | instskip(NEXT) | instid1(SALU_CYCLE_1)
	s_and_b32 s0, exec_lo, s9
	s_or_b32 s7, s0, s7
	s_delay_alu instid0(SALU_CYCLE_1)
	s_and_not1_b32 exec_lo, exec_lo, s7
	s_cbranch_execz .LBB74_65
.LBB74_61:                              ; =>This Inner Loop Header: Depth=1
	v_lshlrev_b64 v[7:8], 3, v[0:1]
	v_bfe_u32 v4, v0, 5, 25
	s_or_b32 s9, s9, exec_lo
	s_mov_b32 s12, exec_lo
	s_delay_alu instid0(VALU_DEP_1) | instskip(NEXT) | instid1(VALU_DEP_3)
	v_mad_u64_u32 v[2:3], null, v5, v4, 0
	v_add_co_u32 v9, vcc_lo, s26, v7
	v_add_co_ci_u32_e32 v10, vcc_lo, s27, v8, vcc_lo
	v_add_co_u32 v7, vcc_lo, s10, v7
	v_add_co_ci_u32_e32 v8, vcc_lo, s11, v8, vcc_lo
	v_mad_u64_u32 v[11:12], null, v6, v4, v[3:4]
	global_load_b64 v[9:10], v[9:10], off
	global_load_b64 v[7:8], v[7:8], off
	v_mov_b32_e32 v3, v11
	s_waitcnt vmcnt(1)
	v_lshlrev_b32_e32 v11, 16, v9
	s_waitcnt vmcnt(0)
	v_and_b32_e32 v4, 0xffff0000, v7
	v_lshlrev_b64 v[2:3], 2, v[2:3]
	s_delay_alu instid0(VALU_DEP_3) | instskip(NEXT) | instid1(VALU_DEP_2)
	v_mul_f32_e32 v11, v28, v11
	v_add_co_u32 v2, vcc_lo, s5, v2
	s_delay_alu instid0(VALU_DEP_3) | instskip(NEXT) | instid1(VALU_DEP_3)
	v_add_co_ci_u32_e32 v3, vcc_lo, s6, v3, vcc_lo
	v_bfe_u32 v13, v11, 16, 1
	v_cmp_o_f32_e32 vcc_lo, v11, v11
	global_load_b32 v2, v[2:3], off
	v_and_b32_e32 v3, 0xffff0000, v9
	v_alignbit_b32 v9, v10, v9, 16
	v_and_b32_e32 v10, 0xffff0000, v10
	v_add3_u32 v13, v11, v13, 0x7fff
	s_delay_alu instid0(VALU_DEP_2) | instskip(SKIP_1) | instid1(VALU_DEP_2)
	v_mul_f32_e32 v10, v28, v10
	v_mul_f32_e32 v3, v28, v3
	v_bfe_u32 v15, v10, 16, 1
	s_delay_alu instid0(VALU_DEP_2) | instskip(NEXT) | instid1(VALU_DEP_2)
	v_bfe_u32 v14, v3, 16, 1
	v_add3_u32 v15, v10, v15, 0x7fff
	s_delay_alu instid0(VALU_DEP_2) | instskip(SKIP_2) | instid1(VALU_DEP_1)
	v_add3_u32 v14, v3, v14, 0x7fff
	s_waitcnt vmcnt(0)
	v_div_scale_f32 v16, null, v2, v2, 1.0
	v_rcp_f32_e32 v18, v16
	v_and_b32_e32 v9, 0xffff0000, v9
	v_lshlrev_b32_e32 v12, 16, v7
	v_alignbit_b32 v7, v8, v7, 16
	v_and_b32_e32 v8, 0xffff0000, v8
	v_and_b32_e32 v13, 0xffff0000, v13
	s_delay_alu instid0(VALU_DEP_1) | instskip(SKIP_2) | instid1(VALU_DEP_2)
	v_cndmask_b32_e32 v11, 0x7fc00000, v13, vcc_lo
	v_and_b32_e32 v14, 0xffff0000, v14
	v_cmp_o_f32_e32 vcc_lo, v3, v3
	v_cndmask_b32_e32 v3, 0x7fc00000, v14, vcc_lo
	v_fma_f32 v14, -v16, v18, 1.0
	v_cmp_o_f32_e32 vcc_lo, v10, v10
	s_delay_alu instid0(VALU_DEP_2) | instskip(SKIP_3) | instid1(VALU_DEP_3)
	v_dual_mul_f32 v3, v3, v4 :: v_dual_fmac_f32 v18, v14, v18
	v_mul_f32_e32 v9, v28, v9
	v_and_b32_e32 v15, 0xffff0000, v15
	v_mul_f32_e32 v11, v11, v12
	v_bfe_u32 v17, v9, 16, 1
	s_delay_alu instid0(VALU_DEP_3) | instskip(SKIP_2) | instid1(VALU_DEP_4)
	v_cndmask_b32_e32 v10, 0x7fc00000, v15, vcc_lo
	v_div_scale_f32 v15, vcc_lo, 1.0, v2, 1.0
	v_and_b32_e32 v7, 0xffff0000, v7
	v_add3_u32 v17, v9, v17, 0x7fff
	v_cmp_o_f32_e64 s0, v9, v9
	s_delay_alu instid0(VALU_DEP_4) | instskip(SKIP_3) | instid1(VALU_DEP_4)
	v_mul_f32_e32 v4, v15, v18
	v_mul_f32_e32 v8, v10, v8
	v_bfe_u32 v10, v3, 16, 1
	v_and_b32_e32 v13, 0xffff0000, v17
	v_fma_f32 v12, -v16, v4, v15
	s_delay_alu instid0(VALU_DEP_3) | instskip(NEXT) | instid1(VALU_DEP_3)
	v_add3_u32 v10, v3, v10, 0x7fff
	v_cndmask_b32_e64 v9, 0x7fc00000, v13, s0
	v_bfe_u32 v13, v8, 16, 1
	s_delay_alu instid0(VALU_DEP_4) | instskip(NEXT) | instid1(VALU_DEP_4)
	v_fmac_f32_e32 v4, v12, v18
	v_and_b32_e32 v10, 0xffff0000, v10
	s_delay_alu instid0(VALU_DEP_3) | instskip(SKIP_2) | instid1(VALU_DEP_3)
	v_add3_u32 v12, v8, v13, 0x7fff
	v_mul_f32_e32 v7, v9, v7
	v_bfe_u32 v9, v11, 16, 1
	v_and_b32_e32 v12, 0xffff0000, v12
	s_delay_alu instid0(VALU_DEP_3) | instskip(NEXT) | instid1(VALU_DEP_3)
	v_bfe_u32 v14, v7, 16, 1
	v_add3_u32 v9, v11, v9, 0x7fff
	s_delay_alu instid0(VALU_DEP_2) | instskip(SKIP_1) | instid1(VALU_DEP_3)
	v_add3_u32 v13, v7, v14, 0x7fff
	v_fma_f32 v14, -v16, v4, v15
	v_and_b32_e32 v9, 0xffff0000, v9
	s_delay_alu instid0(VALU_DEP_3) | instskip(NEXT) | instid1(VALU_DEP_3)
	v_and_b32_e32 v13, 0xffff0000, v13
	v_div_fmas_f32 v4, v14, v18, v4
	v_cmp_o_f32_e32 vcc_lo, v11, v11
	s_delay_alu instid0(VALU_DEP_2) | instskip(SKIP_4) | instid1(VALU_DEP_2)
	v_div_fixup_f32 v2, v4, v2, 1.0
	v_cndmask_b32_e32 v9, 0x7fc00000, v9, vcc_lo
	v_cmp_o_f32_e32 vcc_lo, v7, v7
	v_cndmask_b32_e32 v7, 0x7fc00000, v13, vcc_lo
	v_cmp_o_f32_e32 vcc_lo, v3, v3
	v_mul_f32_e32 v7, v2, v7
	v_cndmask_b32_e32 v3, 0x7fc00000, v10, vcc_lo
	v_cmp_o_f32_e32 vcc_lo, v8, v8
	v_mul_f32_e32 v8, v2, v9
	s_delay_alu instid0(VALU_DEP_3) | instskip(NEXT) | instid1(VALU_DEP_1)
	v_dual_mul_f32 v3, v2, v3 :: v_dual_cndmask_b32 v4, 0x7fc00000, v12
	v_mul_f32_e32 v2, v2, v4
	v_rndne_f32_e32 v4, v7
	s_delay_alu instid0(VALU_DEP_4) | instskip(NEXT) | instid1(VALU_DEP_3)
	v_rndne_f32_e32 v7, v8
	v_rndne_f32_e32 v2, v2
	s_delay_alu instid0(VALU_DEP_3) | instskip(SKIP_4) | instid1(VALU_DEP_3)
	v_cmp_nlt_f32_e32 vcc_lo, 0x42fe0000, v4
	v_cndmask_b32_e32 v8, 0x42fe0000, v4, vcc_lo
	v_rndne_f32_e32 v3, v3
	v_cmp_nlt_f32_e32 vcc_lo, 0x42fe0000, v7
	v_cndmask_b32_e32 v9, 0x42fe0000, v7, vcc_lo
	v_cmp_nlt_f32_e32 vcc_lo, 0x42fe0000, v3
	v_cndmask_b32_e32 v10, 0x42fe0000, v3, vcc_lo
	v_cmp_ngt_f32_e32 vcc_lo, 0xc3000000, v4
	v_cndmask_b32_e32 v4, 0xc3000000, v8, vcc_lo
	v_cmp_nlt_f32_e32 vcc_lo, 0x42fe0000, v2
	s_delay_alu instid0(VALU_DEP_2) | instskip(SKIP_2) | instid1(VALU_DEP_3)
	v_cvt_i32_f32_e32 v4, v4
	v_cndmask_b32_e32 v8, 0x42fe0000, v2, vcc_lo
	v_cmp_ngt_f32_e32 vcc_lo, 0xc3000000, v3
	v_and_b32_e32 v4, 0xff, v4
	v_cndmask_b32_e32 v3, 0xc3000000, v10, vcc_lo
	v_cmp_ngt_f32_e32 vcc_lo, 0xc3000000, v7
	s_delay_alu instid0(VALU_DEP_2) | instskip(SKIP_3) | instid1(VALU_DEP_3)
	v_cvt_i32_f32_e32 v3, v3
	v_cndmask_b32_e32 v7, 0xc3000000, v9, vcc_lo
	v_lshlrev_b32_e32 v9, 16, v4
	v_cmp_ngt_f32_e32 vcc_lo, 0xc3000000, v2
	v_cvt_i32_f32_e32 v7, v7
	v_cndmask_b32_e32 v2, 0xc3000000, v8, vcc_lo
	v_and_b32_e32 v8, 0xff, v3
	v_lshlrev_b64 v[3:4], 2, v[0:1]
	s_delay_alu instid0(VALU_DEP_4) | instskip(NEXT) | instid1(VALU_DEP_4)
	v_and_b32_e32 v7, 0xff, v7
	v_cvt_i32_f32_e32 v2, v2
	s_delay_alu instid0(VALU_DEP_4) | instskip(NEXT) | instid1(VALU_DEP_4)
	v_lshlrev_b32_e32 v8, 8, v8
	v_add_co_u32 v3, vcc_lo, s1, v3
	s_delay_alu instid0(VALU_DEP_3) | instskip(SKIP_2) | instid1(VALU_DEP_3)
	v_lshl_or_b32 v9, v2, 24, v9
	v_add_nc_u32_e32 v2, s28, v0
	v_add_co_ci_u32_e32 v4, vcc_lo, s4, v4, vcc_lo
	v_or3_b32 v7, v9, v8, v7
	global_store_b32 v[3:4], v7, off
	v_cmpx_gt_u32_e64 s14, v2
	s_cbranch_execz .LBB74_60
; %bb.62:                               ;   in Loop: Header=BB74_61 Depth=1
	v_bfe_u32 v15, v2, 5, 25
	s_mov_b32 s13, exec_lo
	s_delay_alu instid0(VALU_DEP_1) | instskip(NEXT) | instid1(VALU_DEP_1)
	v_mad_u64_u32 v[7:8], null, v5, v15, 0
	v_dual_mov_b32 v3, v1 :: v_dual_mov_b32 v4, v8
	s_delay_alu instid0(VALU_DEP_1) | instskip(NEXT) | instid1(VALU_DEP_2)
	v_lshlrev_b64 v[9:10], 3, v[2:3]
	v_mad_u64_u32 v[13:14], null, v6, v15, v[4:5]
	s_delay_alu instid0(VALU_DEP_2) | instskip(NEXT) | instid1(VALU_DEP_3)
	v_add_co_u32 v11, vcc_lo, s26, v9
	v_add_co_ci_u32_e32 v12, vcc_lo, s27, v10, vcc_lo
	v_add_co_u32 v9, vcc_lo, s10, v9
	v_add_co_ci_u32_e32 v10, vcc_lo, s11, v10, vcc_lo
	global_load_b64 v[11:12], v[11:12], off
	v_mov_b32_e32 v8, v13
	global_load_b64 v[9:10], v[9:10], off
	v_lshlrev_b64 v[7:8], 2, v[7:8]
	s_delay_alu instid0(VALU_DEP_1) | instskip(NEXT) | instid1(VALU_DEP_2)
	v_add_co_u32 v7, vcc_lo, s5, v7
	v_add_co_ci_u32_e32 v8, vcc_lo, s6, v8, vcc_lo
	global_load_b32 v4, v[7:8], off
	s_waitcnt vmcnt(2)
	v_and_b32_e32 v7, 0xffff0000, v11
	v_lshlrev_b32_e32 v13, 16, v11
	v_alignbit_b32 v11, v12, v11, 16
	v_and_b32_e32 v12, 0xffff0000, v12
	s_waitcnt vmcnt(1)
	v_dual_mul_f32 v7, v28, v7 :: v_dual_and_b32 v8, 0xffff0000, v9
	s_delay_alu instid0(VALU_DEP_2) | instskip(SKIP_1) | instid1(VALU_DEP_3)
	v_mul_f32_e32 v12, v28, v12
	v_mul_f32_e32 v13, v28, v13
	v_bfe_u32 v16, v7, 16, 1
	s_delay_alu instid0(VALU_DEP_3) | instskip(NEXT) | instid1(VALU_DEP_3)
	v_bfe_u32 v17, v12, 16, 1
	v_bfe_u32 v15, v13, 16, 1
	s_delay_alu instid0(VALU_DEP_3) | instskip(SKIP_1) | instid1(VALU_DEP_4)
	v_add3_u32 v16, v7, v16, 0x7fff
	v_cmp_o_f32_e32 vcc_lo, v13, v13
	v_add3_u32 v17, v12, v17, 0x7fff
	s_waitcnt vmcnt(0)
	v_div_scale_f32 v18, null, v4, v4, 1.0
	v_add3_u32 v15, v13, v15, 0x7fff
	s_delay_alu instid0(VALU_DEP_2) | instskip(NEXT) | instid1(VALU_DEP_1)
	v_rcp_f32_e32 v20, v18
	v_and_b32_e32 v15, 0xffff0000, v15
	s_delay_alu instid0(VALU_DEP_1) | instskip(SKIP_2) | instid1(VALU_DEP_2)
	v_cndmask_b32_e32 v13, 0x7fc00000, v15, vcc_lo
	v_and_b32_e32 v16, 0xffff0000, v16
	v_cmp_o_f32_e32 vcc_lo, v7, v7
	v_cndmask_b32_e32 v7, 0x7fc00000, v16, vcc_lo
	s_waitcnt_depctr 0xfff
	v_fma_f32 v16, -v18, v20, 1.0
	v_and_b32_e32 v11, 0xffff0000, v11
	v_cmp_o_f32_e32 vcc_lo, v12, v12
	v_mul_f32_e32 v7, v7, v8
	s_delay_alu instid0(VALU_DEP_4) | instskip(NEXT) | instid1(VALU_DEP_4)
	v_fmac_f32_e32 v20, v16, v20
	v_dual_mul_f32 v11, v28, v11 :: v_dual_lshlrev_b32 v14, 16, v9
	v_and_b32_e32 v17, 0xffff0000, v17
	v_alignbit_b32 v9, v10, v9, 16
	v_and_b32_e32 v10, 0xffff0000, v10
	s_delay_alu instid0(VALU_DEP_4) | instskip(SKIP_4) | instid1(VALU_DEP_4)
	v_mul_f32_e32 v13, v13, v14
	v_bfe_u32 v19, v11, 16, 1
	v_cndmask_b32_e32 v12, 0x7fc00000, v17, vcc_lo
	v_div_scale_f32 v17, vcc_lo, 1.0, v4, 1.0
	v_cmp_o_f32_e64 s0, v11, v11
	v_add3_u32 v19, v11, v19, 0x7fff
	s_delay_alu instid0(VALU_DEP_3) | instskip(SKIP_2) | instid1(VALU_DEP_4)
	v_dual_mul_f32 v8, v17, v20 :: v_dual_and_b32 v9, 0xffff0000, v9
	v_mul_f32_e32 v10, v12, v10
	v_bfe_u32 v12, v7, 16, 1
	v_and_b32_e32 v15, 0xffff0000, v19
	s_delay_alu instid0(VALU_DEP_4) | instskip(NEXT) | instid1(VALU_DEP_3)
	v_fma_f32 v14, -v18, v8, v17
	v_add3_u32 v12, v7, v12, 0x7fff
	s_delay_alu instid0(VALU_DEP_3) | instskip(SKIP_1) | instid1(VALU_DEP_4)
	v_cndmask_b32_e64 v11, 0x7fc00000, v15, s0
	v_bfe_u32 v15, v10, 16, 1
	v_fmac_f32_e32 v8, v14, v20
	s_mov_b32 s0, -1
	s_delay_alu instid0(VALU_DEP_3) | instskip(SKIP_2) | instid1(VALU_DEP_3)
	v_dual_mul_f32 v9, v11, v9 :: v_dual_and_b32 v12, 0xffff0000, v12
	v_bfe_u32 v11, v13, 16, 1
	v_add3_u32 v14, v10, v15, 0x7fff
	v_bfe_u32 v16, v9, 16, 1
	s_delay_alu instid0(VALU_DEP_3) | instskip(NEXT) | instid1(VALU_DEP_2)
	v_add3_u32 v11, v13, v11, 0x7fff
	v_add3_u32 v15, v9, v16, 0x7fff
	v_fma_f32 v16, -v18, v8, v17
	s_delay_alu instid0(VALU_DEP_3) | instskip(NEXT) | instid1(VALU_DEP_3)
	v_and_b32_e32 v11, 0xffff0000, v11
	v_and_b32_e32 v15, 0xffff0000, v15
	s_delay_alu instid0(VALU_DEP_3) | instskip(SKIP_1) | instid1(VALU_DEP_2)
	v_div_fmas_f32 v8, v16, v20, v8
	v_cmp_o_f32_e32 vcc_lo, v13, v13
	v_div_fixup_f32 v4, v8, v4, 1.0
	v_cndmask_b32_e32 v11, 0x7fc00000, v11, vcc_lo
	v_cmp_o_f32_e32 vcc_lo, v9, v9
	v_cndmask_b32_e32 v9, 0x7fc00000, v15, vcc_lo
	v_cmp_o_f32_e32 vcc_lo, v7, v7
	s_delay_alu instid0(VALU_DEP_2) | instskip(SKIP_3) | instid1(VALU_DEP_3)
	v_dual_mul_f32 v9, v4, v9 :: v_dual_and_b32 v14, 0xffff0000, v14
	v_cndmask_b32_e32 v7, 0x7fc00000, v12, vcc_lo
	v_cmp_o_f32_e32 vcc_lo, v10, v10
	v_mul_f32_e32 v10, v4, v11
	v_dual_mul_f32 v7, v4, v7 :: v_dual_cndmask_b32 v8, 0x7fc00000, v14
	s_delay_alu instid0(VALU_DEP_1) | instskip(NEXT) | instid1(VALU_DEP_2)
	v_rndne_f32_e32 v7, v7
	v_mul_f32_e32 v4, v4, v8
	v_rndne_f32_e32 v8, v9
	v_rndne_f32_e32 v9, v10
	s_delay_alu instid0(VALU_DEP_3) | instskip(NEXT) | instid1(VALU_DEP_3)
	v_rndne_f32_e32 v4, v4
	v_cmp_nlt_f32_e32 vcc_lo, 0x42fe0000, v8
	v_cndmask_b32_e32 v10, 0x42fe0000, v8, vcc_lo
	s_delay_alu instid0(VALU_DEP_4)
	v_cmp_nlt_f32_e32 vcc_lo, 0x42fe0000, v9
	v_cndmask_b32_e32 v11, 0x42fe0000, v9, vcc_lo
	v_cmp_nlt_f32_e32 vcc_lo, 0x42fe0000, v7
	v_cndmask_b32_e32 v12, 0x42fe0000, v7, vcc_lo
	v_cmp_ngt_f32_e32 vcc_lo, 0xc3000000, v8
	v_cndmask_b32_e32 v8, 0xc3000000, v10, vcc_lo
	v_cmp_nlt_f32_e32 vcc_lo, 0x42fe0000, v4
	s_delay_alu instid0(VALU_DEP_2) | instskip(SKIP_2) | instid1(VALU_DEP_3)
	v_cvt_i32_f32_e32 v8, v8
	v_cndmask_b32_e32 v10, 0x42fe0000, v4, vcc_lo
	v_cmp_ngt_f32_e32 vcc_lo, 0xc3000000, v7
	v_and_b32_e32 v8, 0xff, v8
	v_cndmask_b32_e32 v7, 0xc3000000, v12, vcc_lo
	v_cmp_ngt_f32_e32 vcc_lo, 0xc3000000, v9
	s_delay_alu instid0(VALU_DEP_2) | instskip(SKIP_3) | instid1(VALU_DEP_3)
	v_cvt_i32_f32_e32 v7, v7
	v_cndmask_b32_e32 v9, 0xc3000000, v11, vcc_lo
	v_lshlrev_b32_e32 v11, 16, v8
	v_cmp_ngt_f32_e32 vcc_lo, 0xc3000000, v4
	v_cvt_i32_f32_e32 v9, v9
	v_cndmask_b32_e32 v4, 0xc3000000, v10, vcc_lo
	v_and_b32_e32 v10, 0xff, v7
	v_lshlrev_b64 v[7:8], 2, v[2:3]
	s_delay_alu instid0(VALU_DEP_4) | instskip(SKIP_4) | instid1(VALU_DEP_3)
	v_and_b32_e32 v9, 0xff, v9
	v_add_nc_u32_e32 v3, s3, v0
	v_cvt_i32_f32_e32 v4, v4
	v_lshlrev_b32_e32 v10, 8, v10
	v_add_co_u32 v7, vcc_lo, s1, v7
	v_lshl_or_b32 v4, v4, 24, v11
	v_add_co_ci_u32_e32 v8, vcc_lo, s4, v8, vcc_lo
	s_delay_alu instid0(VALU_DEP_2)
	v_or3_b32 v4, v4, v10, v9
	global_store_b32 v[7:8], v4, off
	v_cmpx_gt_u32_e64 s14, v3
	s_cbranch_execz .LBB74_59
; %bb.63:                               ;   in Loop: Header=BB74_61 Depth=1
	v_mov_b32_e32 v4, v1
	v_bfe_u32 v15, v3, 5, 25
	v_add_nc_u32_e32 v0, s2, v0
	s_mov_b32 s15, exec_lo
	s_delay_alu instid0(VALU_DEP_3) | instskip(NEXT) | instid1(VALU_DEP_3)
	v_lshlrev_b64 v[9:10], 3, v[3:4]
	v_mad_u64_u32 v[7:8], null, v5, v15, 0
	s_delay_alu instid0(VALU_DEP_2) | instskip(NEXT) | instid1(VALU_DEP_3)
	v_add_co_u32 v11, vcc_lo, s26, v9
	v_add_co_ci_u32_e32 v12, vcc_lo, s27, v10, vcc_lo
	s_delay_alu instid0(VALU_DEP_3)
	v_mad_u64_u32 v[13:14], null, v6, v15, v[8:9]
	v_add_co_u32 v9, vcc_lo, s10, v9
	v_add_co_ci_u32_e32 v10, vcc_lo, s11, v10, vcc_lo
	global_load_b64 v[11:12], v[11:12], off
	global_load_b64 v[9:10], v[9:10], off
	v_mov_b32_e32 v8, v13
	s_waitcnt vmcnt(1)
	v_lshlrev_b32_e32 v14, 16, v11
	s_waitcnt vmcnt(0)
	v_lshlrev_b32_e32 v15, 16, v9
	v_lshlrev_b64 v[7:8], 2, v[7:8]
	v_and_b32_e32 v13, 0xffff0000, v9
	v_alignbit_b32 v9, v10, v9, 16
	v_lshlrev_b64 v[3:4], 2, v[3:4]
	s_delay_alu instid0(VALU_DEP_4) | instskip(SKIP_1) | instid1(VALU_DEP_4)
	v_add_co_u32 v7, vcc_lo, s5, v7
	v_add_co_ci_u32_e32 v8, vcc_lo, s6, v8, vcc_lo
	v_and_b32_e32 v9, 0xffff0000, v9
	global_load_b32 v7, v[7:8], off
	s_waitcnt vmcnt(0)
	v_div_scale_f32 v19, null, v7, v7, 1.0
	s_delay_alu instid0(VALU_DEP_1) | instskip(SKIP_3) | instid1(VALU_DEP_2)
	v_rcp_f32_e32 v21, v19
	v_and_b32_e32 v8, 0xffff0000, v11
	v_alignbit_b32 v11, v12, v11, 16
	v_mul_f32_e32 v14, v28, v14
	v_dual_mul_f32 v8, v28, v8 :: v_dual_and_b32 v11, 0xffff0000, v11
	v_and_b32_e32 v12, 0xffff0000, v12
	s_delay_alu instid0(VALU_DEP_3) | instskip(SKIP_1) | instid1(VALU_DEP_4)
	v_bfe_u32 v16, v14, 16, 1
	v_cmp_o_f32_e32 vcc_lo, v14, v14
	v_bfe_u32 v17, v8, 16, 1
	v_mul_f32_e32 v11, v28, v11
	s_delay_alu instid0(VALU_DEP_4) | instskip(NEXT) | instid1(VALU_DEP_3)
	v_add3_u32 v16, v14, v16, 0x7fff
	v_add3_u32 v17, v8, v17, 0x7fff
	v_mul_f32_e32 v12, v28, v12
	s_delay_alu instid0(VALU_DEP_4) | instskip(NEXT) | instid1(VALU_DEP_4)
	v_bfe_u32 v20, v11, 16, 1
	v_and_b32_e32 v16, 0xffff0000, v16
	v_cmp_o_f32_e64 s0, v11, v11
	v_and_b32_e32 v17, 0xffff0000, v17
	v_bfe_u32 v18, v12, 16, 1
	v_add3_u32 v20, v11, v20, 0x7fff
	v_cndmask_b32_e32 v14, 0x7fc00000, v16, vcc_lo
	v_cmp_o_f32_e32 vcc_lo, v8, v8
	s_delay_alu instid0(VALU_DEP_4) | instskip(NEXT) | instid1(VALU_DEP_4)
	v_add3_u32 v18, v12, v18, 0x7fff
	v_and_b32_e32 v16, 0xffff0000, v20
	s_delay_alu instid0(VALU_DEP_4)
	v_mul_f32_e32 v14, v14, v15
	v_cndmask_b32_e32 v8, 0x7fc00000, v17, vcc_lo
	v_fma_f32 v17, -v19, v21, 1.0
	v_and_b32_e32 v18, 0xffff0000, v18
	v_cmp_o_f32_e32 vcc_lo, v12, v12
	v_cndmask_b32_e64 v11, 0x7fc00000, v16, s0
	s_delay_alu instid0(VALU_DEP_4)
	v_dual_fmac_f32 v21, v17, v21 :: v_dual_and_b32 v10, 0xffff0000, v10
	s_mov_b32 s0, -1
	v_cndmask_b32_e32 v12, 0x7fc00000, v18, vcc_lo
	v_div_scale_f32 v18, vcc_lo, 1.0, v7, 1.0
	v_mul_f32_e32 v9, v11, v9
	v_bfe_u32 v11, v14, 16, 1
	s_delay_alu instid0(VALU_DEP_4) | instskip(NEXT) | instid1(VALU_DEP_3)
	v_mul_f32_e32 v10, v12, v10
	v_bfe_u32 v17, v9, 16, 1
	s_delay_alu instid0(VALU_DEP_3) | instskip(SKIP_3) | instid1(VALU_DEP_4)
	v_add3_u32 v11, v14, v11, 0x7fff
	v_mul_f32_e32 v8, v8, v13
	v_mul_f32_e32 v13, v18, v21
	v_bfe_u32 v16, v10, 16, 1
	v_and_b32_e32 v11, 0xffff0000, v11
	s_delay_alu instid0(VALU_DEP_4) | instskip(NEXT) | instid1(VALU_DEP_4)
	v_bfe_u32 v12, v8, 16, 1
	v_fma_f32 v15, -v19, v13, v18
	s_delay_alu instid0(VALU_DEP_2) | instskip(NEXT) | instid1(VALU_DEP_2)
	v_add3_u32 v12, v8, v12, 0x7fff
	v_fmac_f32_e32 v13, v15, v21
	v_add3_u32 v15, v10, v16, 0x7fff
	v_add3_u32 v16, v9, v17, 0x7fff
	s_delay_alu instid0(VALU_DEP_4) | instskip(NEXT) | instid1(VALU_DEP_4)
	v_and_b32_e32 v12, 0xffff0000, v12
	v_fma_f32 v17, -v19, v13, v18
	s_delay_alu instid0(VALU_DEP_4) | instskip(NEXT) | instid1(VALU_DEP_4)
	v_and_b32_e32 v15, 0xffff0000, v15
	v_and_b32_e32 v16, 0xffff0000, v16
	s_delay_alu instid0(VALU_DEP_3) | instskip(SKIP_1) | instid1(VALU_DEP_2)
	v_div_fmas_f32 v13, v17, v21, v13
	v_cmp_o_f32_e32 vcc_lo, v14, v14
	v_div_fixup_f32 v7, v13, v7, 1.0
	v_cndmask_b32_e32 v11, 0x7fc00000, v11, vcc_lo
	v_cmp_o_f32_e32 vcc_lo, v9, v9
	v_cndmask_b32_e32 v9, 0x7fc00000, v16, vcc_lo
	v_cmp_o_f32_e32 vcc_lo, v8, v8
	s_delay_alu instid0(VALU_DEP_2) | instskip(SKIP_1) | instid1(VALU_DEP_2)
	v_dual_mul_f32 v9, v7, v9 :: v_dual_cndmask_b32 v8, 0x7fc00000, v12
	v_cmp_o_f32_e32 vcc_lo, v10, v10
	v_rndne_f32_e32 v9, v9
	s_delay_alu instid0(VALU_DEP_3) | instskip(SKIP_2) | instid1(VALU_DEP_4)
	v_mul_f32_e32 v8, v7, v8
	v_cndmask_b32_e32 v10, 0x7fc00000, v15, vcc_lo
	v_mul_f32_e32 v11, v7, v11
	v_cmp_nlt_f32_e32 vcc_lo, 0x42fe0000, v9
	s_delay_alu instid0(VALU_DEP_4) | instskip(NEXT) | instid1(VALU_DEP_4)
	v_rndne_f32_e32 v8, v8
	v_mul_f32_e32 v7, v7, v10
	s_delay_alu instid0(VALU_DEP_4) | instskip(SKIP_1) | instid1(VALU_DEP_3)
	v_rndne_f32_e32 v10, v11
	v_cndmask_b32_e32 v11, 0x42fe0000, v9, vcc_lo
	v_rndne_f32_e32 v7, v7
	s_delay_alu instid0(VALU_DEP_3)
	v_cmp_nlt_f32_e32 vcc_lo, 0x42fe0000, v10
	v_cndmask_b32_e32 v12, 0x42fe0000, v10, vcc_lo
	v_cmp_nlt_f32_e32 vcc_lo, 0x42fe0000, v8
	v_cndmask_b32_e32 v13, 0x42fe0000, v8, vcc_lo
	v_cmp_ngt_f32_e32 vcc_lo, 0xc3000000, v9
	v_cndmask_b32_e32 v9, 0xc3000000, v11, vcc_lo
	v_cmp_nlt_f32_e32 vcc_lo, 0x42fe0000, v7
	s_delay_alu instid0(VALU_DEP_2) | instskip(SKIP_2) | instid1(VALU_DEP_3)
	v_cvt_i32_f32_e32 v9, v9
	v_cndmask_b32_e32 v11, 0x42fe0000, v7, vcc_lo
	v_cmp_ngt_f32_e32 vcc_lo, 0xc3000000, v8
	v_and_b32_e32 v9, 0xff, v9
	v_cndmask_b32_e32 v8, 0xc3000000, v13, vcc_lo
	v_cmp_ngt_f32_e32 vcc_lo, 0xc3000000, v10
	s_delay_alu instid0(VALU_DEP_3) | instskip(NEXT) | instid1(VALU_DEP_3)
	v_lshlrev_b32_e32 v9, 16, v9
	v_cvt_i32_f32_e32 v8, v8
	v_cndmask_b32_e32 v10, 0xc3000000, v12, vcc_lo
	v_cmp_ngt_f32_e32 vcc_lo, 0xc3000000, v7
	s_delay_alu instid0(VALU_DEP_3) | instskip(NEXT) | instid1(VALU_DEP_3)
	v_and_b32_e32 v8, 0xff, v8
	v_cvt_i32_f32_e32 v10, v10
	v_cndmask_b32_e32 v7, 0xc3000000, v11, vcc_lo
	v_add_co_u32 v3, vcc_lo, s1, v3
	s_delay_alu instid0(VALU_DEP_4) | instskip(NEXT) | instid1(VALU_DEP_4)
	v_lshlrev_b32_e32 v8, 8, v8
	v_and_b32_e32 v10, 0xff, v10
	s_delay_alu instid0(VALU_DEP_4) | instskip(SKIP_1) | instid1(VALU_DEP_2)
	v_cvt_i32_f32_e32 v7, v7
	v_add_co_ci_u32_e32 v4, vcc_lo, s4, v4, vcc_lo
	v_lshl_or_b32 v7, v7, 24, v9
	s_delay_alu instid0(VALU_DEP_1)
	v_or3_b32 v7, v7, v8, v10
	global_store_b32 v[3:4], v7, off
	v_cmpx_gt_u32_e64 s14, v0
	s_cbranch_execz .LBB74_58
; %bb.64:                               ;   in Loop: Header=BB74_61 Depth=1
	v_lshlrev_b64 v[7:8], 3, v[0:1]
	v_bfe_u32 v13, v0, 5, 25
	s_delay_alu instid0(VALU_DEP_1) | instskip(NEXT) | instid1(VALU_DEP_3)
	v_mad_u64_u32 v[3:4], null, v5, v13, 0
	v_add_co_u32 v9, vcc_lo, s26, v7
	s_delay_alu instid0(VALU_DEP_4)
	v_add_co_ci_u32_e32 v10, vcc_lo, s27, v8, vcc_lo
	v_add_co_u32 v7, vcc_lo, s10, v7
	v_add_co_ci_u32_e32 v8, vcc_lo, s11, v8, vcc_lo
	v_mad_u64_u32 v[11:12], null, v6, v13, v[4:5]
	global_load_b64 v[9:10], v[9:10], off
	global_load_b64 v[7:8], v[7:8], off
	v_mov_b32_e32 v4, v11
	s_waitcnt vmcnt(1)
	v_lshlrev_b32_e32 v12, 16, v9
	s_waitcnt vmcnt(0)
	v_and_b32_e32 v11, 0xffff0000, v7
	v_lshlrev_b64 v[3:4], 2, v[3:4]
	v_lshlrev_b32_e32 v13, 16, v7
	v_alignbit_b32 v7, v8, v7, 16
	v_mul_f32_e32 v12, v28, v12
	s_delay_alu instid0(VALU_DEP_4) | instskip(SKIP_1) | instid1(VALU_DEP_3)
	v_add_co_u32 v3, vcc_lo, s5, v3
	v_add_co_ci_u32_e32 v4, vcc_lo, s6, v4, vcc_lo
	v_bfe_u32 v14, v12, 16, 1
	v_cmp_o_f32_e32 vcc_lo, v12, v12
	v_and_b32_e32 v7, 0xffff0000, v7
	global_load_b32 v3, v[3:4], off
	v_add3_u32 v14, v12, v14, 0x7fff
	s_delay_alu instid0(VALU_DEP_1) | instskip(NEXT) | instid1(VALU_DEP_1)
	v_and_b32_e32 v14, 0xffff0000, v14
	v_cndmask_b32_e32 v12, 0x7fc00000, v14, vcc_lo
	s_delay_alu instid0(VALU_DEP_1) | instskip(SKIP_2) | instid1(VALU_DEP_1)
	v_mul_f32_e32 v12, v12, v13
	s_waitcnt vmcnt(0)
	v_div_scale_f32 v17, null, v3, v3, 1.0
	v_rcp_f32_e32 v19, v17
	v_and_b32_e32 v4, 0xffff0000, v9
	v_alignbit_b32 v9, v10, v9, 16
	s_delay_alu instid0(VALU_DEP_1) | instskip(SKIP_1) | instid1(VALU_DEP_2)
	v_dual_mul_f32 v4, v28, v4 :: v_dual_and_b32 v9, 0xffff0000, v9
	v_and_b32_e32 v10, 0xffff0000, v10
	v_bfe_u32 v15, v4, 16, 1
	s_delay_alu instid0(VALU_DEP_3) | instskip(NEXT) | instid1(VALU_DEP_3)
	v_mul_f32_e32 v9, v28, v9
	v_mul_f32_e32 v10, v28, v10
	v_cmp_o_f32_e32 vcc_lo, v4, v4
	s_delay_alu instid0(VALU_DEP_4) | instskip(NEXT) | instid1(VALU_DEP_4)
	v_add3_u32 v15, v4, v15, 0x7fff
	v_bfe_u32 v18, v9, 16, 1
	s_delay_alu instid0(VALU_DEP_4) | instskip(SKIP_1) | instid1(VALU_DEP_4)
	v_bfe_u32 v16, v10, 16, 1
	v_cmp_o_f32_e64 s0, v9, v9
	v_and_b32_e32 v15, 0xffff0000, v15
	s_delay_alu instid0(VALU_DEP_4) | instskip(NEXT) | instid1(VALU_DEP_4)
	v_add3_u32 v18, v9, v18, 0x7fff
	v_add3_u32 v16, v10, v16, 0x7fff
	s_delay_alu instid0(VALU_DEP_3) | instskip(NEXT) | instid1(VALU_DEP_3)
	v_cndmask_b32_e32 v4, 0x7fc00000, v15, vcc_lo
	v_and_b32_e32 v14, 0xffff0000, v18
	s_delay_alu instid0(VALU_DEP_3) | instskip(SKIP_2) | instid1(VALU_DEP_4)
	v_and_b32_e32 v16, 0xffff0000, v16
	v_fma_f32 v15, -v17, v19, 1.0
	v_cmp_o_f32_e32 vcc_lo, v10, v10
	v_cndmask_b32_e64 v9, 0x7fc00000, v14, s0
	s_delay_alu instid0(VALU_DEP_3) | instskip(SKIP_2) | instid1(VALU_DEP_4)
	v_dual_fmac_f32 v19, v15, v19 :: v_dual_and_b32 v8, 0xffff0000, v8
	v_cndmask_b32_e32 v10, 0x7fc00000, v16, vcc_lo
	v_div_scale_f32 v16, vcc_lo, 1.0, v3, 1.0
	v_mul_f32_e32 v7, v9, v7
	v_bfe_u32 v9, v12, 16, 1
	s_delay_alu instid0(VALU_DEP_4) | instskip(NEXT) | instid1(VALU_DEP_3)
	v_mul_f32_e32 v8, v10, v8
	v_bfe_u32 v15, v7, 16, 1
	s_delay_alu instid0(VALU_DEP_3) | instskip(SKIP_3) | instid1(VALU_DEP_4)
	v_add3_u32 v9, v12, v9, 0x7fff
	v_mul_f32_e32 v4, v4, v11
	v_mul_f32_e32 v11, v16, v19
	v_bfe_u32 v14, v8, 16, 1
	v_and_b32_e32 v9, 0xffff0000, v9
	s_delay_alu instid0(VALU_DEP_4) | instskip(NEXT) | instid1(VALU_DEP_4)
	v_bfe_u32 v10, v4, 16, 1
	v_fma_f32 v13, -v17, v11, v16
	s_delay_alu instid0(VALU_DEP_2) | instskip(NEXT) | instid1(VALU_DEP_2)
	v_add3_u32 v10, v4, v10, 0x7fff
	v_fmac_f32_e32 v11, v13, v19
	v_add3_u32 v13, v8, v14, 0x7fff
	v_add3_u32 v14, v7, v15, 0x7fff
	s_delay_alu instid0(VALU_DEP_4) | instskip(NEXT) | instid1(VALU_DEP_4)
	v_and_b32_e32 v10, 0xffff0000, v10
	v_fma_f32 v15, -v17, v11, v16
	s_delay_alu instid0(VALU_DEP_4) | instskip(NEXT) | instid1(VALU_DEP_4)
	v_and_b32_e32 v13, 0xffff0000, v13
	v_and_b32_e32 v14, 0xffff0000, v14
	s_delay_alu instid0(VALU_DEP_3) | instskip(SKIP_1) | instid1(VALU_DEP_2)
	v_div_fmas_f32 v11, v15, v19, v11
	v_cmp_o_f32_e32 vcc_lo, v12, v12
	v_div_fixup_f32 v3, v11, v3, 1.0
	v_cndmask_b32_e32 v9, 0x7fc00000, v9, vcc_lo
	v_cmp_o_f32_e32 vcc_lo, v7, v7
	v_cndmask_b32_e32 v7, 0x7fc00000, v14, vcc_lo
	v_cmp_o_f32_e32 vcc_lo, v4, v4
	s_delay_alu instid0(VALU_DEP_2) | instskip(SKIP_1) | instid1(VALU_DEP_2)
	v_dual_mul_f32 v7, v3, v7 :: v_dual_cndmask_b32 v4, 0x7fc00000, v10
	v_cmp_o_f32_e32 vcc_lo, v8, v8
	v_rndne_f32_e32 v7, v7
	s_delay_alu instid0(VALU_DEP_3) | instskip(SKIP_2) | instid1(VALU_DEP_4)
	v_mul_f32_e32 v4, v3, v4
	v_cndmask_b32_e32 v8, 0x7fc00000, v13, vcc_lo
	v_mul_f32_e32 v9, v3, v9
	v_cmp_nlt_f32_e32 vcc_lo, 0x42fe0000, v7
	s_delay_alu instid0(VALU_DEP_4) | instskip(NEXT) | instid1(VALU_DEP_4)
	v_rndne_f32_e32 v4, v4
	v_mul_f32_e32 v3, v3, v8
	s_delay_alu instid0(VALU_DEP_4) | instskip(SKIP_1) | instid1(VALU_DEP_3)
	v_rndne_f32_e32 v8, v9
	v_cndmask_b32_e32 v9, 0x42fe0000, v7, vcc_lo
	v_rndne_f32_e32 v3, v3
	s_delay_alu instid0(VALU_DEP_3)
	v_cmp_nlt_f32_e32 vcc_lo, 0x42fe0000, v8
	v_cndmask_b32_e32 v10, 0x42fe0000, v8, vcc_lo
	v_cmp_nlt_f32_e32 vcc_lo, 0x42fe0000, v4
	v_cndmask_b32_e32 v11, 0x42fe0000, v4, vcc_lo
	v_cmp_ngt_f32_e32 vcc_lo, 0xc3000000, v7
	v_cndmask_b32_e32 v7, 0xc3000000, v9, vcc_lo
	v_cmp_nlt_f32_e32 vcc_lo, 0x42fe0000, v3
	s_delay_alu instid0(VALU_DEP_2) | instskip(SKIP_2) | instid1(VALU_DEP_3)
	v_cvt_i32_f32_e32 v7, v7
	v_cndmask_b32_e32 v9, 0x42fe0000, v3, vcc_lo
	v_cmp_ngt_f32_e32 vcc_lo, 0xc3000000, v4
	v_and_b32_e32 v7, 0xff, v7
	v_cndmask_b32_e32 v4, 0xc3000000, v11, vcc_lo
	v_cmp_ngt_f32_e32 vcc_lo, 0xc3000000, v8
	s_delay_alu instid0(VALU_DEP_3) | instskip(NEXT) | instid1(VALU_DEP_3)
	v_lshlrev_b32_e32 v7, 16, v7
	v_cvt_i32_f32_e32 v4, v4
	v_cndmask_b32_e32 v8, 0xc3000000, v10, vcc_lo
	v_cmp_ngt_f32_e32 vcc_lo, 0xc3000000, v3
	s_delay_alu instid0(VALU_DEP_3) | instskip(NEXT) | instid1(VALU_DEP_3)
	v_and_b32_e32 v10, 0xff, v4
	v_cvt_i32_f32_e32 v8, v8
	s_delay_alu instid0(VALU_DEP_2) | instskip(NEXT) | instid1(VALU_DEP_2)
	v_dual_cndmask_b32 v3, 0xc3000000, v9 :: v_dual_lshlrev_b32 v10, 8, v10
	v_and_b32_e32 v8, 0xff, v8
	s_delay_alu instid0(VALU_DEP_2) | instskip(SKIP_2) | instid1(VALU_DEP_3)
	v_cvt_i32_f32_e32 v9, v3
	v_lshlrev_b64 v[3:4], 2, v[0:1]
	v_add3_u32 v0, s8, s28, v2
	v_lshl_or_b32 v7, v9, 24, v7
	s_delay_alu instid0(VALU_DEP_3) | instskip(NEXT) | instid1(VALU_DEP_4)
	v_add_co_u32 v2, vcc_lo, s1, v3
	v_add_co_ci_u32_e32 v3, vcc_lo, s4, v4, vcc_lo
	s_delay_alu instid0(VALU_DEP_4) | instskip(NEXT) | instid1(VALU_DEP_4)
	v_cmp_le_u32_e32 vcc_lo, s14, v0
	v_or3_b32 v4, v7, v10, v8
	s_or_not1_b32 s0, vcc_lo, exec_lo
	global_store_b32 v[2:3], v4, off
	s_branch .LBB74_58
.LBB74_65:
	s_nop 0
	s_sendmsg sendmsg(MSG_DEALLOC_VGPRS)
	s_endpgm
.LBB74_66:
                                        ; implicit-def: $vgpr3_vgpr4
	s_branch .LBB74_51
.LBB74_67:
                                        ; implicit-def: $vgpr1_vgpr2
	s_branch .LBB74_56
	.section	.rodata,"a",@progbits
	.p2align	6, 0x0
	.amdhsa_kernel _ZN4vllm31rms_norm_per_block_quant_kernelIN3c108BFloat16EaLb0ELb1ELi128EEEvPT0_PfPKT_S8_PKffiiPS6_l
		.amdhsa_group_segment_fixed_size 4228
		.amdhsa_private_segment_fixed_size 0
		.amdhsa_kernarg_size 328
		.amdhsa_user_sgpr_count 15
		.amdhsa_user_sgpr_dispatch_ptr 0
		.amdhsa_user_sgpr_queue_ptr 0
		.amdhsa_user_sgpr_kernarg_segment_ptr 1
		.amdhsa_user_sgpr_dispatch_id 0
		.amdhsa_user_sgpr_private_segment_size 0
		.amdhsa_wavefront_size32 1
		.amdhsa_uses_dynamic_stack 0
		.amdhsa_enable_private_segment 0
		.amdhsa_system_sgpr_workgroup_id_x 1
		.amdhsa_system_sgpr_workgroup_id_y 0
		.amdhsa_system_sgpr_workgroup_id_z 0
		.amdhsa_system_sgpr_workgroup_info 0
		.amdhsa_system_vgpr_workitem_id 0
		.amdhsa_next_free_vgpr 46
		.amdhsa_next_free_sgpr 36
		.amdhsa_reserve_vcc 1
		.amdhsa_float_round_mode_32 0
		.amdhsa_float_round_mode_16_64 0
		.amdhsa_float_denorm_mode_32 3
		.amdhsa_float_denorm_mode_16_64 3
		.amdhsa_dx10_clamp 1
		.amdhsa_ieee_mode 1
		.amdhsa_fp16_overflow 0
		.amdhsa_workgroup_processor_mode 1
		.amdhsa_memory_ordered 1
		.amdhsa_forward_progress 0
		.amdhsa_shared_vgpr_count 0
		.amdhsa_exception_fp_ieee_invalid_op 0
		.amdhsa_exception_fp_denorm_src 0
		.amdhsa_exception_fp_ieee_div_zero 0
		.amdhsa_exception_fp_ieee_overflow 0
		.amdhsa_exception_fp_ieee_underflow 0
		.amdhsa_exception_fp_ieee_inexact 0
		.amdhsa_exception_int_div_zero 0
	.end_amdhsa_kernel
	.section	.text._ZN4vllm31rms_norm_per_block_quant_kernelIN3c108BFloat16EaLb0ELb1ELi128EEEvPT0_PfPKT_S8_PKffiiPS6_l,"axG",@progbits,_ZN4vllm31rms_norm_per_block_quant_kernelIN3c108BFloat16EaLb0ELb1ELi128EEEvPT0_PfPKT_S8_PKffiiPS6_l,comdat
.Lfunc_end74:
	.size	_ZN4vllm31rms_norm_per_block_quant_kernelIN3c108BFloat16EaLb0ELb1ELi128EEEvPT0_PfPKT_S8_PKffiiPS6_l, .Lfunc_end74-_ZN4vllm31rms_norm_per_block_quant_kernelIN3c108BFloat16EaLb0ELb1ELi128EEEvPT0_PfPKT_S8_PKffiiPS6_l
                                        ; -- End function
	.section	.AMDGPU.csdata,"",@progbits
; Kernel info:
; codeLenInByte = 12076
; NumSgprs: 38
; NumVgprs: 46
; ScratchSize: 0
; MemoryBound: 0
; FloatMode: 240
; IeeeMode: 1
; LDSByteSize: 4228 bytes/workgroup (compile time only)
; SGPRBlocks: 4
; VGPRBlocks: 5
; NumSGPRsForWavesPerEU: 38
; NumVGPRsForWavesPerEU: 46
; Occupancy: 16
; WaveLimiterHint : 0
; COMPUTE_PGM_RSRC2:SCRATCH_EN: 0
; COMPUTE_PGM_RSRC2:USER_SGPR: 15
; COMPUTE_PGM_RSRC2:TRAP_HANDLER: 0
; COMPUTE_PGM_RSRC2:TGID_X_EN: 1
; COMPUTE_PGM_RSRC2:TGID_Y_EN: 0
; COMPUTE_PGM_RSRC2:TGID_Z_EN: 0
; COMPUTE_PGM_RSRC2:TIDIG_COMP_CNT: 0
	.section	.text._ZN4vllm31rms_norm_per_block_quant_kernelIN3c108BFloat16ENS1_13Float8_e4m3fnELb0ELb0ELi128EEEvPT0_PfPKT_S9_PKffiiPS7_l,"axG",@progbits,_ZN4vllm31rms_norm_per_block_quant_kernelIN3c108BFloat16ENS1_13Float8_e4m3fnELb0ELb0ELi128EEEvPT0_PfPKT_S9_PKffiiPS7_l,comdat
	.protected	_ZN4vllm31rms_norm_per_block_quant_kernelIN3c108BFloat16ENS1_13Float8_e4m3fnELb0ELb0ELi128EEEvPT0_PfPKT_S9_PKffiiPS7_l ; -- Begin function _ZN4vllm31rms_norm_per_block_quant_kernelIN3c108BFloat16ENS1_13Float8_e4m3fnELb0ELb0ELi128EEEvPT0_PfPKT_S9_PKffiiPS7_l
	.globl	_ZN4vllm31rms_norm_per_block_quant_kernelIN3c108BFloat16ENS1_13Float8_e4m3fnELb0ELb0ELi128EEEvPT0_PfPKT_S9_PKffiiPS7_l
	.p2align	8
	.type	_ZN4vllm31rms_norm_per_block_quant_kernelIN3c108BFloat16ENS1_13Float8_e4m3fnELb0ELb0ELi128EEEvPT0_PfPKT_S9_PKffiiPS7_l,@function
_ZN4vllm31rms_norm_per_block_quant_kernelIN3c108BFloat16ENS1_13Float8_e4m3fnELb0ELb0ELi128EEEvPT0_PfPKT_S9_PKffiiPS7_l: ; @_ZN4vllm31rms_norm_per_block_quant_kernelIN3c108BFloat16ENS1_13Float8_e4m3fnELb0ELb0ELi128EEEvPT0_PfPKT_S9_PKffiiPS7_l
; %bb.0:
	s_clause 0x1
	s_load_b128 s[16:19], s[0:1], 0x28
	s_load_b256 s[4:11], s[0:1], 0x0
	v_mov_b32_e32 v6, 0
	s_mov_b32 s13, 0
	s_waitcnt lgkmcnt(0)
	s_ashr_i32 s2, s18, 31
	s_mul_hi_u32 s3, s18, s15
	s_mul_i32 s12, s2, s15
	s_mul_i32 s2, s18, s15
	s_add_i32 s3, s3, s12
	s_mov_b32 s18, s17
	s_lshl_b64 s[22:23], s[2:3], 1
	s_delay_alu instid0(SALU_CYCLE_1)
	s_add_u32 s14, s8, s22
	s_addc_u32 s26, s9, s23
	s_ashr_i32 s12, s17, 2
	s_add_u32 s20, s0, 0x48
	v_cmp_gt_u32_e64 s2, s12, v0
	s_addc_u32 s21, s1, 0
	s_delay_alu instid0(VALU_DEP_1)
	s_and_saveexec_b32 s3, s2
	s_cbranch_execz .LBB75_10
; %bb.1:
	s_load_b32 s19, s[20:21], 0x0
	v_dual_mov_b32 v2, 0 :: v_dual_mov_b32 v1, v0
	s_waitcnt lgkmcnt(0)
	s_cmp_lt_u32 s15, s19
	s_cselect_b32 s19, 12, 18
	s_delay_alu instid0(SALU_CYCLE_1)
	s_add_u32 s24, s20, s19
	s_addc_u32 s25, s21, 0
                                        ; implicit-def: $sgpr19
	global_load_u16 v7, v2, s[24:25]
	s_waitcnt vmcnt(0)
	v_lshlrev_b32_e32 v9, 1, v7
	v_mul_lo_u32 v8, v7, 3
	v_add_nc_u32_e32 v10, v7, v7
	v_mov_b32_e32 v6, v2
	s_branch .LBB75_5
.LBB75_2:                               ;   in Loop: Header=BB75_5 Depth=1
	s_or_b32 exec_lo, exec_lo, s27
	s_delay_alu instid0(SALU_CYCLE_1)
	s_or_not1_b32 s27, s28, exec_lo
.LBB75_3:                               ;   in Loop: Header=BB75_5 Depth=1
	s_or_b32 exec_lo, exec_lo, s25
	s_delay_alu instid0(SALU_CYCLE_1) | instskip(SKIP_1) | instid1(SALU_CYCLE_1)
	s_and_not1_b32 s19, s19, exec_lo
	s_and_b32 s25, s27, exec_lo
	s_or_b32 s19, s19, s25
.LBB75_4:                               ;   in Loop: Header=BB75_5 Depth=1
	s_or_b32 exec_lo, exec_lo, s24
	s_delay_alu instid0(SALU_CYCLE_1) | instskip(NEXT) | instid1(SALU_CYCLE_1)
	s_and_b32 s24, exec_lo, s19
	s_or_b32 s13, s24, s13
	s_delay_alu instid0(SALU_CYCLE_1)
	s_and_not1_b32 exec_lo, exec_lo, s13
	s_cbranch_execz .LBB75_9
.LBB75_5:                               ; =>This Inner Loop Header: Depth=1
	v_lshlrev_b64 v[3:4], 3, v[1:2]
	s_or_b32 s19, s19, exec_lo
	s_mov_b32 s24, exec_lo
	s_delay_alu instid0(VALU_DEP_1) | instskip(NEXT) | instid1(VALU_DEP_2)
	v_add_co_u32 v3, vcc_lo, s14, v3
	v_add_co_ci_u32_e32 v4, vcc_lo, s26, v4, vcc_lo
	global_load_b64 v[3:4], v[3:4], off
	s_waitcnt vmcnt(0)
	v_lshlrev_b32_e32 v5, 16, v3
	v_and_b32_e32 v11, 0xffff0000, v3
	v_alignbit_b32 v3, v4, v3, 16
	v_and_b32_e32 v4, 0xffff0000, v4
	s_delay_alu instid0(VALU_DEP_2) | instskip(NEXT) | instid1(VALU_DEP_1)
	v_dual_fmac_f32 v6, v5, v5 :: v_dual_and_b32 v3, 0xffff0000, v3
	v_fmac_f32_e32 v6, v11, v11
	s_delay_alu instid0(VALU_DEP_1) | instskip(NEXT) | instid1(VALU_DEP_1)
	v_fmac_f32_e32 v6, v3, v3
	v_dual_fmac_f32 v6, v4, v4 :: v_dual_add_nc_u32 v3, v1, v7
	s_delay_alu instid0(VALU_DEP_1)
	v_cmpx_gt_u32_e64 s12, v3
	s_cbranch_execz .LBB75_4
; %bb.6:                                ;   in Loop: Header=BB75_5 Depth=1
	v_mov_b32_e32 v4, v2
	s_mov_b32 s27, -1
	s_mov_b32 s25, exec_lo
	s_delay_alu instid0(VALU_DEP_1) | instskip(NEXT) | instid1(VALU_DEP_1)
	v_lshlrev_b64 v[4:5], 3, v[3:4]
	v_add_co_u32 v4, vcc_lo, s14, v4
	s_delay_alu instid0(VALU_DEP_2)
	v_add_co_ci_u32_e32 v5, vcc_lo, s26, v5, vcc_lo
	global_load_b64 v[4:5], v[4:5], off
	s_waitcnt vmcnt(0)
	v_lshlrev_b32_e32 v11, 16, v4
	v_and_b32_e32 v12, 0xffff0000, v4
	v_alignbit_b32 v4, v5, v4, 16
	s_delay_alu instid0(VALU_DEP_3) | instskip(NEXT) | instid1(VALU_DEP_2)
	v_dual_fmac_f32 v6, v11, v11 :: v_dual_and_b32 v5, 0xffff0000, v5
	v_and_b32_e32 v4, 0xffff0000, v4
	s_delay_alu instid0(VALU_DEP_2) | instskip(NEXT) | instid1(VALU_DEP_1)
	v_fmac_f32_e32 v6, v12, v12
	v_fmac_f32_e32 v6, v4, v4
	v_add_nc_u32_e32 v4, v9, v1
	s_delay_alu instid0(VALU_DEP_2) | instskip(NEXT) | instid1(VALU_DEP_2)
	v_fmac_f32_e32 v6, v5, v5
	v_cmpx_gt_u32_e64 s12, v4
	s_cbranch_execz .LBB75_3
; %bb.7:                                ;   in Loop: Header=BB75_5 Depth=1
	v_mov_b32_e32 v5, v2
	v_add_nc_u32_e32 v1, v8, v1
	s_mov_b32 s28, -1
	s_mov_b32 s27, exec_lo
	s_delay_alu instid0(VALU_DEP_2) | instskip(NEXT) | instid1(VALU_DEP_1)
	v_lshlrev_b64 v[4:5], 3, v[4:5]
	v_add_co_u32 v4, vcc_lo, s14, v4
	s_delay_alu instid0(VALU_DEP_2)
	v_add_co_ci_u32_e32 v5, vcc_lo, s26, v5, vcc_lo
	global_load_b64 v[4:5], v[4:5], off
	s_waitcnt vmcnt(0)
	v_and_b32_e32 v12, 0xffff0000, v4
	v_lshlrev_b32_e32 v11, 16, v4
	v_alignbit_b32 v4, v5, v4, 16
	s_delay_alu instid0(VALU_DEP_2) | instskip(NEXT) | instid1(VALU_DEP_2)
	v_dual_fmac_f32 v6, v11, v11 :: v_dual_and_b32 v5, 0xffff0000, v5
	v_and_b32_e32 v4, 0xffff0000, v4
	s_delay_alu instid0(VALU_DEP_2) | instskip(NEXT) | instid1(VALU_DEP_1)
	v_fmac_f32_e32 v6, v12, v12
	v_fmac_f32_e32 v6, v4, v4
	s_delay_alu instid0(VALU_DEP_1)
	v_fmac_f32_e32 v6, v5, v5
	v_cmpx_gt_u32_e64 s12, v1
	s_xor_b32 s27, exec_lo, s27
	s_cbranch_execz .LBB75_2
; %bb.8:                                ;   in Loop: Header=BB75_5 Depth=1
	v_lshlrev_b64 v[4:5], 3, v[1:2]
	s_delay_alu instid0(VALU_DEP_1) | instskip(NEXT) | instid1(VALU_DEP_2)
	v_add_co_u32 v4, vcc_lo, s14, v4
	v_add_co_ci_u32_e32 v5, vcc_lo, s26, v5, vcc_lo
	global_load_b64 v[4:5], v[4:5], off
	s_waitcnt vmcnt(0)
	v_and_b32_e32 v11, 0xffff0000, v4
	v_lshlrev_b32_e32 v1, 16, v4
	v_alignbit_b32 v4, v5, v4, 16
	s_delay_alu instid0(VALU_DEP_2) | instskip(NEXT) | instid1(VALU_DEP_2)
	v_fmac_f32_e32 v6, v1, v1
	v_and_b32_e32 v4, 0xffff0000, v4
	v_add3_u32 v1, v10, v7, v3
	s_delay_alu instid0(VALU_DEP_3) | instskip(NEXT) | instid1(VALU_DEP_2)
	v_dual_fmac_f32 v6, v11, v11 :: v_dual_and_b32 v3, 0xffff0000, v5
	v_cmp_le_u32_e32 vcc_lo, s12, v1
	s_delay_alu instid0(VALU_DEP_2) | instskip(SKIP_1) | instid1(VALU_DEP_1)
	v_fmac_f32_e32 v6, v4, v4
	s_or_not1_b32 s28, vcc_lo, exec_lo
	v_fmac_f32_e32 v6, v3, v3
	s_branch .LBB75_2
.LBB75_9:
	s_or_b32 exec_lo, exec_lo, s13
.LBB75_10:
	s_delay_alu instid0(SALU_CYCLE_1) | instskip(SKIP_3) | instid1(VALU_DEP_2)
	s_or_b32 exec_lo, exec_lo, s3
	v_mbcnt_lo_u32_b32 v1, -1, 0
	s_load_b32 s3, s[20:21], 0xc
	v_and_b32_e32 v7, 0x3e0, v0
	v_cmp_ne_u32_e32 vcc_lo, 31, v1
	v_add_nc_u32_e32 v3, 1, v1
	v_add_co_ci_u32_e32 v2, vcc_lo, 0, v1, vcc_lo
	v_cmp_gt_u32_e32 vcc_lo, 30, v1
	s_delay_alu instid0(VALU_DEP_2)
	v_lshlrev_b32_e32 v2, 2, v2
	v_cndmask_b32_e64 v5, 0, 1, vcc_lo
	ds_bpermute_b32 v4, v2, v6
	s_waitcnt lgkmcnt(0)
	s_and_b32 s27, s3, 0xffff
	v_lshlrev_b32_e32 v5, 1, v5
	v_sub_nc_u32_e64 v12, s27, v7 clamp
	s_mov_b32 s3, exec_lo
	s_delay_alu instid0(VALU_DEP_1) | instskip(SKIP_2) | instid1(VALU_DEP_2)
	v_cmp_lt_u32_e32 vcc_lo, v3, v12
	v_add_f32_e32 v7, v6, v4
	v_add_lshl_u32 v4, v5, v1, 2
	v_cndmask_b32_e32 v7, v6, v7, vcc_lo
	v_cmp_gt_u32_e32 vcc_lo, 28, v1
	v_cndmask_b32_e64 v5, 0, 1, vcc_lo
	s_delay_alu instid0(VALU_DEP_1) | instskip(SKIP_2) | instid1(VALU_DEP_1)
	v_lshlrev_b32_e32 v8, 2, v5
	ds_bpermute_b32 v6, v4, v7
	v_add_nc_u32_e32 v5, 2, v1
	v_cmp_lt_u32_e32 vcc_lo, v5, v12
	s_waitcnt lgkmcnt(0)
	v_add_f32_e32 v9, v7, v6
	v_add_lshl_u32 v6, v8, v1, 2
	s_delay_alu instid0(VALU_DEP_2) | instskip(SKIP_3) | instid1(VALU_DEP_1)
	v_cndmask_b32_e32 v9, v7, v9, vcc_lo
	v_cmp_gt_u32_e32 vcc_lo, 24, v1
	ds_bpermute_b32 v8, v6, v9
	v_cndmask_b32_e64 v7, 0, 1, vcc_lo
	v_lshlrev_b32_e32 v10, 3, v7
	v_add_nc_u32_e32 v7, 4, v1
	s_delay_alu instid0(VALU_DEP_1) | instskip(SKIP_3) | instid1(VALU_DEP_2)
	v_cmp_lt_u32_e32 vcc_lo, v7, v12
	s_waitcnt lgkmcnt(0)
	v_add_f32_e32 v11, v9, v8
	v_add_lshl_u32 v8, v10, v1, 2
	v_cndmask_b32_e32 v11, v9, v11, vcc_lo
	v_cmp_gt_u32_e32 vcc_lo, 16, v1
	ds_bpermute_b32 v10, v8, v11
	v_cndmask_b32_e64 v9, 0, 1, vcc_lo
	s_delay_alu instid0(VALU_DEP_1) | instskip(SKIP_1) | instid1(VALU_DEP_1)
	v_lshlrev_b32_e32 v13, 4, v9
	v_add_nc_u32_e32 v9, 8, v1
	v_cmp_lt_u32_e32 vcc_lo, v9, v12
	s_waitcnt lgkmcnt(0)
	v_add_f32_e32 v14, v11, v10
	v_add_lshl_u32 v10, v13, v1, 2
	s_delay_alu instid0(VALU_DEP_2)
	v_cndmask_b32_e32 v13, v11, v14, vcc_lo
	v_add_nc_u32_e32 v11, 16, v1
	ds_bpermute_b32 v14, v10, v13
	v_cmp_lt_u32_e32 vcc_lo, v11, v12
	s_waitcnt lgkmcnt(0)
	v_add_f32_e32 v14, v13, v14
	s_delay_alu instid0(VALU_DEP_1)
	v_cndmask_b32_e32 v12, v13, v14, vcc_lo
	v_cmpx_eq_u32_e32 0, v1
	s_cbranch_execz .LBB75_12
; %bb.11:
	v_lshrrev_b32_e32 v13, 3, v0
	s_delay_alu instid0(VALU_DEP_1)
	v_and_b32_e32 v13, 0x7c, v13
	ds_store_b32 v13, v12 offset:4096
.LBB75_12:
	s_or_b32 exec_lo, exec_lo, s3
	s_delay_alu instid0(SALU_CYCLE_1)
	s_mov_b32 s3, exec_lo
	s_waitcnt lgkmcnt(0)
	s_barrier
	buffer_gl0_inv
	v_cmpx_gt_u32_e32 32, v0
	s_cbranch_execz .LBB75_14
; %bb.13:
	v_lshlrev_b32_e32 v1, 2, v1
	s_add_i32 s13, s27, 31
	s_delay_alu instid0(SALU_CYCLE_1) | instskip(NEXT) | instid1(SALU_CYCLE_1)
	s_lshr_b32 s13, s13, 5
	v_cmp_gt_u32_e32 vcc_lo, s13, v3
	ds_load_b32 v1, v1 offset:4096
	s_waitcnt lgkmcnt(0)
	ds_bpermute_b32 v2, v2, v1
	s_waitcnt lgkmcnt(0)
	v_add_f32_e32 v2, v1, v2
	s_delay_alu instid0(VALU_DEP_1) | instskip(SKIP_4) | instid1(VALU_DEP_1)
	v_cndmask_b32_e32 v1, v1, v2, vcc_lo
	v_cmp_gt_u32_e32 vcc_lo, s13, v5
	ds_bpermute_b32 v2, v4, v1
	s_waitcnt lgkmcnt(0)
	v_add_f32_e32 v2, v1, v2
	v_cndmask_b32_e32 v1, v1, v2, vcc_lo
	v_cmp_gt_u32_e32 vcc_lo, s13, v7
	ds_bpermute_b32 v2, v6, v1
	s_waitcnt lgkmcnt(0)
	v_add_f32_e32 v2, v1, v2
	s_delay_alu instid0(VALU_DEP_1) | instskip(SKIP_4) | instid1(VALU_DEP_1)
	v_cndmask_b32_e32 v1, v1, v2, vcc_lo
	v_cmp_gt_u32_e32 vcc_lo, s13, v9
	ds_bpermute_b32 v2, v8, v1
	s_waitcnt lgkmcnt(0)
	v_add_f32_e32 v2, v1, v2
	v_cndmask_b32_e32 v1, v1, v2, vcc_lo
	v_cmp_gt_u32_e32 vcc_lo, s13, v11
	ds_bpermute_b32 v2, v10, v1
	s_waitcnt lgkmcnt(0)
	v_add_f32_e32 v2, v1, v2
	s_delay_alu instid0(VALU_DEP_1)
	v_cndmask_b32_e32 v12, v1, v2, vcc_lo
.LBB75_14:
	s_or_b32 exec_lo, exec_lo, s3
	s_delay_alu instid0(SALU_CYCLE_1)
	s_mov_b32 s3, exec_lo
	v_cmpx_eq_u32_e32 0, v0
	s_cbranch_execz .LBB75_16
; %bb.15:
	v_cvt_f32_i32_e32 v1, s17
	s_delay_alu instid0(VALU_DEP_1) | instskip(SKIP_1) | instid1(VALU_DEP_2)
	v_div_scale_f32 v2, null, v1, v1, v12
	v_div_scale_f32 v5, vcc_lo, v12, v1, v12
	v_rcp_f32_e32 v3, v2
	s_waitcnt_depctr 0xfff
	v_fma_f32 v4, -v2, v3, 1.0
	s_delay_alu instid0(VALU_DEP_1) | instskip(NEXT) | instid1(VALU_DEP_1)
	v_fmac_f32_e32 v3, v4, v3
	v_mul_f32_e32 v4, v5, v3
	s_delay_alu instid0(VALU_DEP_1) | instskip(NEXT) | instid1(VALU_DEP_1)
	v_fma_f32 v6, -v2, v4, v5
	v_fmac_f32_e32 v4, v6, v3
	s_delay_alu instid0(VALU_DEP_1) | instskip(NEXT) | instid1(VALU_DEP_1)
	v_fma_f32 v2, -v2, v4, v5
	v_div_fmas_f32 v2, v2, v3, v4
	s_delay_alu instid0(VALU_DEP_1) | instskip(NEXT) | instid1(VALU_DEP_1)
	v_div_fixup_f32 v1, v2, v1, v12
	v_add_f32_e32 v1, s16, v1
	s_delay_alu instid0(VALU_DEP_1) | instskip(SKIP_1) | instid1(VALU_DEP_2)
	v_mul_f32_e32 v2, 0x4b800000, v1
	v_cmp_gt_f32_e32 vcc_lo, 0x800000, v1
	v_cndmask_b32_e32 v1, v1, v2, vcc_lo
	s_delay_alu instid0(VALU_DEP_1) | instskip(SKIP_2) | instid1(VALU_DEP_1)
	v_rsq_f32_e32 v1, v1
	s_waitcnt_depctr 0xfff
	v_mul_f32_e32 v2, 0x45800000, v1
	v_dual_cndmask_b32 v1, v1, v2 :: v_dual_mov_b32 v2, 0
	ds_store_b32 v2, v1 offset:4224
.LBB75_16:
	s_or_b32 exec_lo, exec_lo, s3
	s_ashr_i32 s19, s17, 31
	s_waitcnt lgkmcnt(0)
	s_lshr_b32 s3, s19, 25
	s_barrier
	s_add_i32 s3, s17, s3
	buffer_gl0_inv
	s_ashr_i32 s16, s3, 7
	s_ashr_i32 s3, s3, 31
	s_abs_i32 s13, s16
	s_delay_alu instid0(SALU_CYCLE_1) | instskip(SKIP_1) | instid1(VALU_DEP_1)
	v_cvt_f32_u32_e32 v1, s13
	s_sub_i32 s20, 0, s13
	v_rcp_iflag_f32_e32 v1, v1
	s_waitcnt_depctr 0xfff
	v_mul_f32_e32 v1, 0x4f7ffffe, v1
	s_delay_alu instid0(VALU_DEP_1) | instskip(NEXT) | instid1(VALU_DEP_1)
	v_cvt_u32_f32_e32 v1, v1
	v_readfirstlane_b32 s17, v1
	s_delay_alu instid0(VALU_DEP_1) | instskip(NEXT) | instid1(SALU_CYCLE_1)
	s_mul_i32 s20, s20, s17
	s_mul_hi_u32 s20, s17, s20
	s_delay_alu instid0(SALU_CYCLE_1) | instskip(NEXT) | instid1(SALU_CYCLE_1)
	s_add_i32 s17, s17, s20
	s_mul_hi_u32 s17, s27, s17
	s_delay_alu instid0(SALU_CYCLE_1) | instskip(SKIP_2) | instid1(SALU_CYCLE_1)
	s_mul_i32 s20, s17, s13
	s_add_i32 s21, s17, 1
	s_sub_i32 s20, s27, s20
	s_sub_i32 s24, s20, s13
	s_cmp_ge_u32 s20, s13
	s_cselect_b32 s17, s21, s17
	s_cselect_b32 s20, s24, s20
	s_add_i32 s21, s17, 1
	s_cmp_ge_u32 s20, s13
	s_cselect_b32 s13, s21, s17
	s_delay_alu instid0(SALU_CYCLE_1) | instskip(NEXT) | instid1(SALU_CYCLE_1)
	s_xor_b32 s13, s13, s3
	s_sub_i32 s20, s13, s3
	s_delay_alu instid0(SALU_CYCLE_1) | instskip(SKIP_3) | instid1(VALU_DEP_1)
	s_abs_i32 s3, s20
	s_ashr_i32 s21, s20, 31
	v_cvt_f32_u32_e32 v1, s3
	s_sub_i32 s13, 0, s3
	v_rcp_iflag_f32_e32 v1, v1
	s_waitcnt_depctr 0xfff
	v_mul_f32_e32 v1, 0x4f7ffffe, v1
	s_delay_alu instid0(VALU_DEP_1) | instskip(NEXT) | instid1(VALU_DEP_1)
	v_cvt_u32_f32_e32 v1, v1
	v_mul_lo_u32 v2, s13, v1
	s_ashr_i32 s13, s12, 31
	s_delay_alu instid0(VALU_DEP_1) | instskip(NEXT) | instid1(VALU_DEP_1)
	v_mul_hi_u32 v2, v1, v2
	v_add_nc_u32_e32 v1, v1, v2
	s_delay_alu instid0(VALU_DEP_1) | instskip(NEXT) | instid1(VALU_DEP_1)
	v_mul_hi_u32 v1, v0, v1
	v_mul_lo_u32 v2, v1, s3
	v_add_nc_u32_e32 v3, 1, v1
	s_delay_alu instid0(VALU_DEP_2) | instskip(NEXT) | instid1(VALU_DEP_1)
	v_sub_nc_u32_e32 v2, v0, v2
	v_subrev_nc_u32_e32 v4, s3, v2
	v_cmp_le_u32_e32 vcc_lo, s3, v2
	s_delay_alu instid0(VALU_DEP_2) | instskip(NEXT) | instid1(VALU_DEP_1)
	v_dual_cndmask_b32 v1, v1, v3 :: v_dual_cndmask_b32 v2, v2, v4
	v_dual_mov_b32 v4, 0 :: v_dual_add_nc_u32 v3, 1, v1
	s_delay_alu instid0(VALU_DEP_2) | instskip(SKIP_2) | instid1(VALU_DEP_1)
	v_cmp_le_u32_e32 vcc_lo, s3, v2
	ds_load_b32 v28, v4 offset:4224
	v_cndmask_b32_e32 v1, v1, v3, vcc_lo
	v_xor_b32_e32 v1, s21, v1
	s_delay_alu instid0(VALU_DEP_1) | instskip(NEXT) | instid1(VALU_DEP_1)
	v_subrev_nc_u32_e32 v1, s21, v1
	v_ashrrev_i32_e32 v2, 31, v1
	v_mul_lo_u32 v3, v1, s20
	s_delay_alu instid0(VALU_DEP_2) | instskip(NEXT) | instid1(VALU_DEP_2)
	v_lshlrev_b64 v[7:8], 5, v[1:2]
	v_sub_nc_u32_e32 v3, v0, v3
	s_delay_alu instid0(VALU_DEP_2) | instskip(NEXT) | instid1(VALU_DEP_3)
	v_add_co_u32 v5, vcc_lo, v7, 32
	v_add_co_ci_u32_e32 v6, vcc_lo, 0, v8, vcc_lo
	s_delay_alu instid0(VALU_DEP_1) | instskip(SKIP_4) | instid1(VALU_DEP_3)
	v_cmp_gt_i64_e32 vcc_lo, s[12:13], v[5:6]
	v_cndmask_b32_e32 v6, s13, v6, vcc_lo
	v_cndmask_b32_e32 v5, s12, v5, vcc_lo
	v_add_co_u32 v7, vcc_lo, v7, v3
	v_add_co_ci_u32_e32 v8, vcc_lo, 0, v8, vcc_lo
	v_ashrrev_i32_e32 v10, 31, v5
	v_mov_b32_e32 v9, v5
	s_mov_b32 s13, exec_lo
	s_delay_alu instid0(VALU_DEP_1)
	v_cmpx_lt_i64_e64 v[7:8], v[9:10]
	s_cbranch_execz .LBB75_26
; %bb.17:
	v_lshlrev_b64 v[13:14], 8, v[1:2]
	v_lshlrev_b64 v[11:12], 3, v[3:4]
	s_mul_i32 s3, s20, 24
	s_mul_hi_i32 s17, s20, 24
	s_add_u32 s24, s8, s3
	s_delay_alu instid0(VALU_DEP_2) | instskip(SKIP_2) | instid1(VALU_DEP_2)
	v_add_co_u32 v4, vcc_lo, s22, v13
	v_add_co_ci_u32_e32 v15, vcc_lo, s23, v14, vcc_lo
	s_addc_u32 s22, s9, s17
	v_add_co_u32 v17, vcc_lo, s24, v4
	s_lshl_b64 s[24:25], s[20:21], 4
	s_delay_alu instid0(VALU_DEP_2)
	v_add_co_ci_u32_e32 v18, vcc_lo, s22, v15, vcc_lo
	s_lshl_b64 s[22:23], s[20:21], 5
	s_add_u32 s30, s8, s24
	s_addc_u32 s31, s9, s25
	s_lshl_b64 s[28:29], s[20:21], 3
	v_add_co_u32 v19, vcc_lo, s30, v4
	s_add_u32 s30, s8, s28
	v_add_co_ci_u32_e32 v20, vcc_lo, s31, v15, vcc_lo
	s_addc_u32 s31, s9, s29
	v_add_co_u32 v21, vcc_lo, s30, v4
	v_add_co_ci_u32_e32 v22, vcc_lo, s31, v15, vcc_lo
	v_add_co_u32 v23, vcc_lo, s8, v4
	s_add_u32 s3, s10, s3
	v_add_co_ci_u32_e32 v24, vcc_lo, s9, v15, vcc_lo
	s_addc_u32 s8, s11, s17
	v_add_co_u32 v25, vcc_lo, s3, v13
	s_add_u32 s3, s10, s24
	v_add_co_ci_u32_e32 v26, vcc_lo, s8, v14, vcc_lo
	s_addc_u32 s8, s11, s25
	;; [unrolled: 4-line block ×3, first 2 shown]
	v_add_co_u32 v30, vcc_lo, s3, v13
	v_add_co_ci_u32_e32 v31, vcc_lo, s8, v14, vcc_lo
	v_add_co_u32 v32, vcc_lo, s10, v13
	v_add_co_ci_u32_e32 v33, vcc_lo, s11, v14, vcc_lo
	v_mov_b32_e32 v14, v8
	v_dual_mov_b32 v4, 0 :: v_dual_mov_b32 v13, v7
	s_mul_hi_i32 s17, s20, 3
	s_mul_i32 s24, s20, 3
	s_lshl_b64 s[8:9], s[20:21], 1
	s_mov_b32 s25, 0
                                        ; implicit-def: $sgpr28
	s_branch .LBB75_21
.LBB75_18:                              ;   in Loop: Header=BB75_21 Depth=1
	s_or_b32 exec_lo, exec_lo, s31
	s_delay_alu instid0(SALU_CYCLE_1)
	s_or_not1_b32 s3, s3, exec_lo
.LBB75_19:                              ;   in Loop: Header=BB75_21 Depth=1
	s_or_b32 exec_lo, exec_lo, s30
	s_delay_alu instid0(SALU_CYCLE_1) | instskip(SKIP_1) | instid1(SALU_CYCLE_1)
	s_and_not1_b32 s28, s28, exec_lo
	s_and_b32 s3, s3, exec_lo
	s_or_b32 s28, s28, s3
.LBB75_20:                              ;   in Loop: Header=BB75_21 Depth=1
	s_or_b32 exec_lo, exec_lo, s29
	s_delay_alu instid0(SALU_CYCLE_1) | instskip(NEXT) | instid1(SALU_CYCLE_1)
	s_and_b32 s3, exec_lo, s28
	s_or_b32 s25, s3, s25
	s_delay_alu instid0(SALU_CYCLE_1)
	s_and_not1_b32 exec_lo, exec_lo, s25
	s_cbranch_execz .LBB75_25
.LBB75_21:                              ; =>This Inner Loop Header: Depth=1
	v_add_co_u32 v15, vcc_lo, v23, v11
	v_add_co_ci_u32_e32 v16, vcc_lo, v24, v12, vcc_lo
	v_add_co_u32 v34, vcc_lo, v32, v11
	v_add_co_ci_u32_e32 v35, vcc_lo, v33, v12, vcc_lo
	s_or_b32 s28, s28, exec_lo
	global_load_b64 v[15:16], v[15:16], off
	global_load_b64 v[34:35], v[34:35], off
	s_mov_b32 s29, exec_lo
	s_waitcnt vmcnt(1)
	v_lshlrev_b32_e32 v37, 16, v15
	v_and_b32_e32 v36, 0xffff0000, v15
	v_alignbit_b32 v15, v16, v15, 16
	s_waitcnt vmcnt(0)
	v_lshlrev_b32_e32 v39, 16, v34
	s_waitcnt lgkmcnt(0)
	v_mul_f32_e32 v37, v28, v37
	v_mul_f32_e32 v36, v28, v36
	s_delay_alu instid0(VALU_DEP_2) | instskip(NEXT) | instid1(VALU_DEP_2)
	v_bfe_u32 v40, v37, 16, 1
	v_bfe_u32 v41, v36, 16, 1
	v_cmp_o_f32_e32 vcc_lo, v37, v37
	s_delay_alu instid0(VALU_DEP_3) | instskip(NEXT) | instid1(VALU_DEP_3)
	v_add3_u32 v40, v37, v40, 0x7fff
	v_add3_u32 v41, v36, v41, 0x7fff
	s_delay_alu instid0(VALU_DEP_2) | instskip(NEXT) | instid1(VALU_DEP_2)
	v_and_b32_e32 v40, 0xffff0000, v40
	v_and_b32_e32 v41, 0xffff0000, v41
	s_delay_alu instid0(VALU_DEP_2) | instskip(SKIP_2) | instid1(VALU_DEP_2)
	v_cndmask_b32_e32 v37, 0x7fc00000, v40, vcc_lo
	v_and_b32_e32 v16, 0xffff0000, v16
	v_cmp_o_f32_e32 vcc_lo, v36, v36
	v_dual_mul_f32 v37, v37, v39 :: v_dual_mul_f32 v16, v28, v16
	v_cndmask_b32_e32 v36, 0x7fc00000, v41, vcc_lo
	v_and_b32_e32 v15, 0xffff0000, v15
	v_and_b32_e32 v38, 0xffff0000, v34
	v_alignbit_b32 v34, v35, v34, 16
	v_bfe_u32 v42, v16, 16, 1
	v_cmp_o_f32_e32 vcc_lo, v16, v16
	v_mul_f32_e32 v15, v28, v15
	v_mul_f32_e32 v36, v36, v38
	v_bfe_u32 v38, v37, 16, 1
	v_add3_u32 v42, v16, v42, 0x7fff
	s_delay_alu instid0(VALU_DEP_4) | instskip(NEXT) | instid1(VALU_DEP_2)
	v_bfe_u32 v43, v15, 16, 1
	v_and_b32_e32 v42, 0xffff0000, v42
	s_delay_alu instid0(VALU_DEP_2) | instskip(NEXT) | instid1(VALU_DEP_2)
	v_add3_u32 v43, v15, v43, 0x7fff
	v_cndmask_b32_e32 v16, 0x7fc00000, v42, vcc_lo
	v_cmp_o_f32_e32 vcc_lo, v15, v15
	s_delay_alu instid0(VALU_DEP_3) | instskip(SKIP_1) | instid1(VALU_DEP_2)
	v_and_b32_e32 v40, 0xffff0000, v43
	v_and_b32_e32 v34, 0xffff0000, v34
	v_cndmask_b32_e32 v15, 0x7fc00000, v40, vcc_lo
	v_and_b32_e32 v35, 0xffff0000, v35
	v_cmp_o_f32_e32 vcc_lo, v37, v37
	s_delay_alu instid0(VALU_DEP_2) | instskip(SKIP_2) | instid1(VALU_DEP_3)
	v_dual_mul_f32 v34, v15, v34 :: v_dual_mul_f32 v35, v16, v35
	v_bfe_u32 v16, v36, 16, 1
	v_add3_u32 v15, v37, v38, 0x7fff
	v_bfe_u32 v39, v34, 16, 1
	s_delay_alu instid0(VALU_DEP_4) | instskip(NEXT) | instid1(VALU_DEP_4)
	v_bfe_u32 v38, v35, 16, 1
	v_add3_u32 v16, v36, v16, 0x7fff
	s_delay_alu instid0(VALU_DEP_4) | instskip(NEXT) | instid1(VALU_DEP_4)
	v_and_b32_e32 v15, 0xffff0000, v15
	v_add3_u32 v39, v34, v39, 0x7fff
	s_delay_alu instid0(VALU_DEP_4) | instskip(NEXT) | instid1(VALU_DEP_4)
	v_add3_u32 v38, v35, v38, 0x7fff
	v_and_b32_e32 v16, 0xffff0000, v16
	s_delay_alu instid0(VALU_DEP_4)
	v_cndmask_b32_e64 v37, 0x7fc00000, |v15|, vcc_lo
	v_cmp_o_f32_e32 vcc_lo, v36, v36
	v_and_b32_e32 v39, 0xffff0000, v39
	v_and_b32_e32 v38, 0xffff0000, v38
	v_cndmask_b32_e64 v36, 0x7fc00000, |v16|, vcc_lo
	v_add_co_u32 v15, vcc_lo, v13, s20
	v_add_co_ci_u32_e32 v16, vcc_lo, s21, v14, vcc_lo
	v_cmp_o_f32_e32 vcc_lo, v34, v34
	s_delay_alu instid0(VALU_DEP_4) | instskip(SKIP_3) | instid1(VALU_DEP_1)
	v_max3_f32 v4, v4, v37, v36
	v_cndmask_b32_e64 v34, 0x7fc00000, |v39|, vcc_lo
	v_cmp_o_f32_e32 vcc_lo, v35, v35
	v_cndmask_b32_e64 v35, 0x7fc00000, |v38|, vcc_lo
	v_max3_f32 v4, v4, v34, v35
	v_cmpx_lt_i64_e64 v[15:16], v[9:10]
	s_cbranch_execz .LBB75_20
; %bb.22:                               ;   in Loop: Header=BB75_21 Depth=1
	v_add_co_u32 v34, vcc_lo, v21, v11
	v_add_co_ci_u32_e32 v35, vcc_lo, v22, v12, vcc_lo
	v_add_co_u32 v36, vcc_lo, v30, v11
	v_add_co_ci_u32_e32 v37, vcc_lo, v31, v12, vcc_lo
	s_mov_b32 s3, -1
	global_load_b64 v[34:35], v[34:35], off
	global_load_b64 v[36:37], v[36:37], off
	s_mov_b32 s30, exec_lo
	s_waitcnt vmcnt(1)
	v_lshlrev_b32_e32 v39, 16, v34
	v_and_b32_e32 v38, 0xffff0000, v34
	v_alignbit_b32 v34, v35, v34, 16
	s_delay_alu instid0(VALU_DEP_3) | instskip(NEXT) | instid1(VALU_DEP_3)
	v_mul_f32_e32 v39, v28, v39
	v_dual_mul_f32 v38, v28, v38 :: v_dual_and_b32 v35, 0xffff0000, v35
	s_waitcnt vmcnt(0)
	v_and_b32_e32 v40, 0xffff0000, v36
	s_delay_alu instid0(VALU_DEP_3) | instskip(NEXT) | instid1(VALU_DEP_3)
	v_bfe_u32 v42, v39, 16, 1
	v_mul_f32_e32 v35, v28, v35
	v_cmp_o_f32_e32 vcc_lo, v39, v39
	v_bfe_u32 v43, v38, 16, 1
	s_delay_alu instid0(VALU_DEP_4) | instskip(NEXT) | instid1(VALU_DEP_4)
	v_add3_u32 v42, v39, v42, 0x7fff
	v_bfe_u32 v44, v35, 16, 1
	s_delay_alu instid0(VALU_DEP_3) | instskip(NEXT) | instid1(VALU_DEP_3)
	v_add3_u32 v43, v38, v43, 0x7fff
	v_and_b32_e32 v42, 0xffff0000, v42
	s_delay_alu instid0(VALU_DEP_3) | instskip(NEXT) | instid1(VALU_DEP_3)
	v_add3_u32 v44, v35, v44, 0x7fff
	v_and_b32_e32 v43, 0xffff0000, v43
	s_delay_alu instid0(VALU_DEP_3)
	v_cndmask_b32_e32 v39, 0x7fc00000, v42, vcc_lo
	v_and_b32_e32 v34, 0xffff0000, v34
	v_lshlrev_b32_e32 v41, 16, v36
	v_cmp_o_f32_e32 vcc_lo, v38, v38
	v_and_b32_e32 v44, 0xffff0000, v44
	v_alignbit_b32 v36, v37, v36, 16
	s_delay_alu instid0(VALU_DEP_4) | instskip(SKIP_3) | instid1(VALU_DEP_4)
	v_dual_mul_f32 v34, v28, v34 :: v_dual_mul_f32 v39, v39, v41
	v_cndmask_b32_e32 v38, 0x7fc00000, v43, vcc_lo
	v_cmp_o_f32_e32 vcc_lo, v35, v35
	v_and_b32_e32 v37, 0xffff0000, v37
	v_bfe_u32 v45, v34, 16, 1
	s_delay_alu instid0(VALU_DEP_4) | instskip(SKIP_2) | instid1(VALU_DEP_4)
	v_mul_f32_e32 v38, v38, v40
	v_cndmask_b32_e32 v35, 0x7fc00000, v44, vcc_lo
	v_cmp_o_f32_e32 vcc_lo, v34, v34
	v_add3_u32 v45, v34, v45, 0x7fff
	v_and_b32_e32 v36, 0xffff0000, v36
	v_bfe_u32 v40, v39, 16, 1
	v_mul_f32_e32 v37, v35, v37
	v_bfe_u32 v35, v38, 16, 1
	v_and_b32_e32 v42, 0xffff0000, v45
	s_delay_alu instid0(VALU_DEP_2) | instskip(NEXT) | instid1(VALU_DEP_2)
	v_add3_u32 v35, v38, v35, 0x7fff
	v_cndmask_b32_e32 v34, 0x7fc00000, v42, vcc_lo
	v_cmp_o_f32_e32 vcc_lo, v39, v39
	s_delay_alu instid0(VALU_DEP_2) | instskip(SKIP_2) | instid1(VALU_DEP_3)
	v_dual_mul_f32 v36, v34, v36 :: v_dual_and_b32 v35, 0xffff0000, v35
	v_add3_u32 v34, v39, v40, 0x7fff
	v_bfe_u32 v40, v37, 16, 1
	v_bfe_u32 v41, v36, 16, 1
	s_delay_alu instid0(VALU_DEP_3) | instskip(NEXT) | instid1(VALU_DEP_3)
	v_and_b32_e32 v34, 0xffff0000, v34
	v_add3_u32 v40, v37, v40, 0x7fff
	s_delay_alu instid0(VALU_DEP_3) | instskip(NEXT) | instid1(VALU_DEP_3)
	v_add3_u32 v41, v36, v41, 0x7fff
	v_cndmask_b32_e64 v39, 0x7fc00000, |v34|, vcc_lo
	v_cmp_o_f32_e32 vcc_lo, v38, v38
	s_delay_alu instid0(VALU_DEP_4) | instskip(NEXT) | instid1(VALU_DEP_4)
	v_and_b32_e32 v40, 0xffff0000, v40
	v_and_b32_e32 v41, 0xffff0000, v41
	v_cndmask_b32_e64 v38, 0x7fc00000, |v35|, vcc_lo
	v_add_co_u32 v34, vcc_lo, s8, v13
	v_add_co_ci_u32_e32 v35, vcc_lo, s9, v14, vcc_lo
	v_cmp_o_f32_e32 vcc_lo, v36, v36
	s_delay_alu instid0(VALU_DEP_4) | instskip(SKIP_3) | instid1(VALU_DEP_1)
	v_max3_f32 v4, v4, v39, v38
	v_cndmask_b32_e64 v36, 0x7fc00000, |v41|, vcc_lo
	v_cmp_o_f32_e32 vcc_lo, v37, v37
	v_cndmask_b32_e64 v37, 0x7fc00000, |v40|, vcc_lo
	v_max3_f32 v4, v4, v36, v37
	v_cmpx_lt_i64_e64 v[34:35], v[9:10]
	s_cbranch_execz .LBB75_19
; %bb.23:                               ;   in Loop: Header=BB75_21 Depth=1
	v_add_co_u32 v34, vcc_lo, v19, v11
	v_add_co_ci_u32_e32 v35, vcc_lo, v20, v12, vcc_lo
	v_add_co_u32 v36, vcc_lo, v27, v11
	v_add_co_ci_u32_e32 v37, vcc_lo, v29, v12, vcc_lo
	global_load_b64 v[34:35], v[34:35], off
	global_load_b64 v[36:37], v[36:37], off
	s_waitcnt vmcnt(1)
	v_lshlrev_b32_e32 v39, 16, v34
	v_and_b32_e32 v38, 0xffff0000, v34
	v_alignbit_b32 v34, v35, v34, 16
	s_delay_alu instid0(VALU_DEP_3) | instskip(NEXT) | instid1(VALU_DEP_3)
	v_mul_f32_e32 v39, v28, v39
	v_dual_mul_f32 v38, v28, v38 :: v_dual_and_b32 v35, 0xffff0000, v35
	s_waitcnt vmcnt(0)
	v_and_b32_e32 v40, 0xffff0000, v36
	s_delay_alu instid0(VALU_DEP_3) | instskip(NEXT) | instid1(VALU_DEP_3)
	v_bfe_u32 v42, v39, 16, 1
	v_mul_f32_e32 v35, v28, v35
	v_cmp_o_f32_e32 vcc_lo, v39, v39
	v_bfe_u32 v43, v38, 16, 1
	s_delay_alu instid0(VALU_DEP_4) | instskip(NEXT) | instid1(VALU_DEP_4)
	v_add3_u32 v42, v39, v42, 0x7fff
	v_bfe_u32 v44, v35, 16, 1
	s_delay_alu instid0(VALU_DEP_3) | instskip(NEXT) | instid1(VALU_DEP_3)
	v_add3_u32 v43, v38, v43, 0x7fff
	v_and_b32_e32 v42, 0xffff0000, v42
	s_delay_alu instid0(VALU_DEP_3) | instskip(NEXT) | instid1(VALU_DEP_3)
	v_add3_u32 v44, v35, v44, 0x7fff
	v_and_b32_e32 v43, 0xffff0000, v43
	s_delay_alu instid0(VALU_DEP_3)
	v_cndmask_b32_e32 v39, 0x7fc00000, v42, vcc_lo
	v_and_b32_e32 v34, 0xffff0000, v34
	v_lshlrev_b32_e32 v41, 16, v36
	v_cmp_o_f32_e32 vcc_lo, v38, v38
	v_and_b32_e32 v44, 0xffff0000, v44
	v_alignbit_b32 v36, v37, v36, 16
	s_delay_alu instid0(VALU_DEP_4) | instskip(SKIP_3) | instid1(VALU_DEP_4)
	v_dual_mul_f32 v34, v28, v34 :: v_dual_mul_f32 v39, v39, v41
	v_cndmask_b32_e32 v38, 0x7fc00000, v43, vcc_lo
	v_cmp_o_f32_e32 vcc_lo, v35, v35
	v_and_b32_e32 v37, 0xffff0000, v37
	v_bfe_u32 v45, v34, 16, 1
	s_delay_alu instid0(VALU_DEP_4) | instskip(SKIP_2) | instid1(VALU_DEP_4)
	v_mul_f32_e32 v38, v38, v40
	v_cndmask_b32_e32 v35, 0x7fc00000, v44, vcc_lo
	v_cmp_o_f32_e32 vcc_lo, v34, v34
	v_add3_u32 v45, v34, v45, 0x7fff
	v_and_b32_e32 v36, 0xffff0000, v36
	v_bfe_u32 v40, v39, 16, 1
	v_mul_f32_e32 v35, v35, v37
	v_bfe_u32 v37, v38, 16, 1
	v_and_b32_e32 v42, 0xffff0000, v45
	s_delay_alu instid0(VALU_DEP_2) | instskip(NEXT) | instid1(VALU_DEP_2)
	v_add3_u32 v37, v38, v37, 0x7fff
	v_cndmask_b32_e32 v34, 0x7fc00000, v42, vcc_lo
	v_cmp_o_f32_e32 vcc_lo, v39, v39
	s_delay_alu instid0(VALU_DEP_2) | instskip(SKIP_2) | instid1(VALU_DEP_3)
	v_dual_mul_f32 v34, v34, v36 :: v_dual_and_b32 v37, 0xffff0000, v37
	v_add3_u32 v36, v39, v40, 0x7fff
	v_bfe_u32 v40, v35, 16, 1
	v_bfe_u32 v41, v34, 16, 1
	s_delay_alu instid0(VALU_DEP_3) | instskip(NEXT) | instid1(VALU_DEP_3)
	v_and_b32_e32 v36, 0xffff0000, v36
	v_add3_u32 v40, v35, v40, 0x7fff
	s_delay_alu instid0(VALU_DEP_3) | instskip(NEXT) | instid1(VALU_DEP_3)
	v_add3_u32 v41, v34, v41, 0x7fff
	v_cndmask_b32_e64 v36, 0x7fc00000, |v36|, vcc_lo
	v_cmp_o_f32_e32 vcc_lo, v38, v38
	s_delay_alu instid0(VALU_DEP_4) | instskip(NEXT) | instid1(VALU_DEP_4)
	v_and_b32_e32 v39, 0xffff0000, v40
	v_and_b32_e32 v38, 0xffff0000, v41
	v_cndmask_b32_e64 v37, 0x7fc00000, |v37|, vcc_lo
	v_add_co_u32 v13, vcc_lo, s24, v13
	v_add_co_ci_u32_e32 v14, vcc_lo, s17, v14, vcc_lo
	v_cmp_o_f32_e32 vcc_lo, v34, v34
	s_delay_alu instid0(VALU_DEP_4) | instskip(SKIP_4) | instid1(VALU_DEP_2)
	v_max3_f32 v4, v4, v36, v37
	v_cndmask_b32_e64 v34, 0x7fc00000, |v38|, vcc_lo
	v_cmp_o_f32_e32 vcc_lo, v35, v35
	v_cndmask_b32_e64 v35, 0x7fc00000, |v39|, vcc_lo
	v_cmp_lt_i64_e32 vcc_lo, v[13:14], v[9:10]
                                        ; implicit-def: $vgpr13_vgpr14
	v_max3_f32 v4, v4, v34, v35
	s_and_saveexec_b32 s31, vcc_lo
	s_delay_alu instid0(SALU_CYCLE_1)
	s_xor_b32 s31, exec_lo, s31
	s_cbranch_execz .LBB75_18
; %bb.24:                               ;   in Loop: Header=BB75_21 Depth=1
	v_add_co_u32 v13, vcc_lo, v17, v11
	v_add_co_ci_u32_e32 v14, vcc_lo, v18, v12, vcc_lo
	v_add_co_u32 v34, vcc_lo, v25, v11
	v_add_co_ci_u32_e32 v35, vcc_lo, v26, v12, vcc_lo
	v_add_co_u32 v17, vcc_lo, v17, s22
	global_load_b64 v[13:14], v[13:14], off
	global_load_b64 v[34:35], v[34:35], off
	v_add_co_ci_u32_e32 v18, vcc_lo, s23, v18, vcc_lo
	v_add_co_u32 v19, vcc_lo, v19, s22
	v_add_co_ci_u32_e32 v20, vcc_lo, s23, v20, vcc_lo
	v_add_co_u32 v21, vcc_lo, v21, s22
	;; [unrolled: 2-line block ×5, first 2 shown]
	v_add_co_ci_u32_e32 v29, vcc_lo, s23, v29, vcc_lo
	s_add_u32 s3, s20, s20
	s_addc_u32 s33, s21, s21
	s_add_u32 s3, s3, s20
	s_addc_u32 s33, s33, s21
	s_waitcnt vmcnt(1)
	v_lshlrev_b32_e32 v37, 16, v13
	s_waitcnt vmcnt(0)
	v_and_b32_e32 v38, 0xffff0000, v34
	v_lshlrev_b32_e32 v39, 16, v34
	v_alignbit_b32 v34, v35, v34, 16
	v_mul_f32_e32 v37, v28, v37
	s_delay_alu instid0(VALU_DEP_1) | instskip(SKIP_1) | instid1(VALU_DEP_2)
	v_bfe_u32 v40, v37, 16, 1
	v_cmp_o_f32_e32 vcc_lo, v37, v37
	v_add3_u32 v40, v37, v40, 0x7fff
	s_delay_alu instid0(VALU_DEP_1) | instskip(NEXT) | instid1(VALU_DEP_1)
	v_and_b32_e32 v40, 0xffff0000, v40
	v_cndmask_b32_e32 v37, 0x7fc00000, v40, vcc_lo
	v_and_b32_e32 v36, 0xffff0000, v13
	v_alignbit_b32 v13, v14, v13, 16
	s_delay_alu instid0(VALU_DEP_2) | instskip(NEXT) | instid1(VALU_DEP_2)
	v_dual_mul_f32 v37, v37, v39 :: v_dual_mul_f32 v36, v28, v36
	v_and_b32_e32 v13, 0xffff0000, v13
	v_and_b32_e32 v14, 0xffff0000, v14
	s_delay_alu instid0(VALU_DEP_3) | instskip(NEXT) | instid1(VALU_DEP_3)
	v_bfe_u32 v41, v36, 16, 1
	v_mul_f32_e32 v13, v28, v13
	s_delay_alu instid0(VALU_DEP_3) | instskip(SKIP_1) | instid1(VALU_DEP_4)
	v_mul_f32_e32 v14, v28, v14
	v_cmp_o_f32_e32 vcc_lo, v36, v36
	v_add3_u32 v41, v36, v41, 0x7fff
	s_delay_alu instid0(VALU_DEP_4) | instskip(NEXT) | instid1(VALU_DEP_4)
	v_bfe_u32 v43, v13, 16, 1
	v_bfe_u32 v42, v14, 16, 1
	s_delay_alu instid0(VALU_DEP_3) | instskip(NEXT) | instid1(VALU_DEP_3)
	v_and_b32_e32 v41, 0xffff0000, v41
	v_add3_u32 v43, v13, v43, 0x7fff
	s_delay_alu instid0(VALU_DEP_3) | instskip(NEXT) | instid1(VALU_DEP_3)
	v_add3_u32 v42, v14, v42, 0x7fff
	v_cndmask_b32_e32 v36, 0x7fc00000, v41, vcc_lo
	v_cmp_o_f32_e32 vcc_lo, v14, v14
	s_delay_alu instid0(VALU_DEP_3) | instskip(SKIP_3) | instid1(VALU_DEP_4)
	v_and_b32_e32 v42, 0xffff0000, v42
	v_and_b32_e32 v35, 0xffff0000, v35
	;; [unrolled: 1-line block ×3, first 2 shown]
	v_mul_f32_e32 v36, v36, v38
	v_cndmask_b32_e32 v14, 0x7fc00000, v42, vcc_lo
	v_and_b32_e32 v34, 0xffff0000, v34
	v_cmp_o_f32_e32 vcc_lo, v13, v13
	s_delay_alu instid0(VALU_DEP_4) | instskip(NEXT) | instid1(VALU_DEP_4)
	v_bfe_u32 v38, v36, 16, 1
	v_mul_f32_e32 v35, v14, v35
	v_bfe_u32 v14, v37, 16, 1
	v_cndmask_b32_e32 v13, 0x7fc00000, v40, vcc_lo
	s_delay_alu instid0(VALU_DEP_4) | instskip(SKIP_1) | instid1(VALU_DEP_4)
	v_add3_u32 v38, v36, v38, 0x7fff
	v_cmp_o_f32_e32 vcc_lo, v37, v37
	v_add3_u32 v14, v37, v14, 0x7fff
	s_delay_alu instid0(VALU_DEP_4) | instskip(SKIP_2) | instid1(VALU_DEP_4)
	v_mul_f32_e32 v34, v13, v34
	v_bfe_u32 v13, v35, 16, 1
	v_and_b32_e32 v38, 0xffff0000, v38
	v_and_b32_e32 v14, 0xffff0000, v14
	s_delay_alu instid0(VALU_DEP_4) | instskip(NEXT) | instid1(VALU_DEP_4)
	v_bfe_u32 v39, v34, 16, 1
	v_add3_u32 v13, v35, v13, 0x7fff
	s_delay_alu instid0(VALU_DEP_3) | instskip(SKIP_1) | instid1(VALU_DEP_3)
	v_cndmask_b32_e64 v37, 0x7fc00000, |v14|, vcc_lo
	v_cmp_o_f32_e32 vcc_lo, v36, v36
	v_and_b32_e32 v40, 0xffff0000, v13
	v_add3_u32 v39, v34, v39, 0x7fff
	v_cndmask_b32_e64 v36, 0x7fc00000, |v38|, vcc_lo
	v_add_co_u32 v13, vcc_lo, s3, v15
	v_add_co_ci_u32_e32 v14, vcc_lo, s33, v16, vcc_lo
	v_cmp_o_f32_e32 vcc_lo, v35, v35
	v_and_b32_e32 v15, 0xffff0000, v39
	v_max3_f32 v4, v4, v37, v36
	v_add_co_u32 v32, s3, v32, s22
	v_cndmask_b32_e64 v16, 0x7fc00000, |v40|, vcc_lo
	v_cmp_o_f32_e32 vcc_lo, v34, v34
	v_add_co_ci_u32_e64 v33, s3, s23, v33, s3
	v_cndmask_b32_e64 v15, 0x7fc00000, |v15|, vcc_lo
	v_add_co_u32 v30, vcc_lo, v30, s22
	v_add_co_ci_u32_e32 v31, vcc_lo, s23, v31, vcc_lo
	v_cmp_ge_i64_e32 vcc_lo, v[13:14], v[9:10]
	s_delay_alu instid0(VALU_DEP_4)
	v_max3_f32 v4, v4, v15, v16
	s_or_not1_b32 s3, vcc_lo, exec_lo
	s_branch .LBB75_18
.LBB75_25:
	s_or_b32 exec_lo, exec_lo, s25
.LBB75_26:
	s_delay_alu instid0(SALU_CYCLE_1)
	s_or_b32 exec_lo, exec_lo, s13
	s_lshr_b32 s13, s27, 5
	s_ashr_i32 s17, s16, 31
	v_cvt_f32_u32_e32 v9, s13
	s_sub_i32 s8, 0, s13
	s_add_i32 s9, s16, s13
	v_lshlrev_b32_e32 v29, 2, v0
	s_add_i32 s9, s9, -1
	v_rcp_iflag_f32_e32 v9, v9
	s_abs_i32 s22, s9
	s_ashr_i32 s9, s9, 31
	ds_store_b32 v29, v4
	s_waitcnt lgkmcnt(0)
	s_barrier
	buffer_gl0_inv
	v_mul_f32_e32 v9, 0x4f7ffffe, v9
	s_delay_alu instid0(VALU_DEP_1) | instskip(NEXT) | instid1(VALU_DEP_1)
	v_cvt_u32_f32_e32 v9, v9
	v_readfirstlane_b32 s3, v9
	s_delay_alu instid0(VALU_DEP_1) | instskip(NEXT) | instid1(SALU_CYCLE_1)
	s_mul_i32 s8, s8, s3
	s_mul_hi_u32 s8, s3, s8
	s_delay_alu instid0(SALU_CYCLE_1) | instskip(NEXT) | instid1(SALU_CYCLE_1)
	s_add_i32 s3, s3, s8
	s_mul_hi_u32 s3, s22, s3
	s_delay_alu instid0(SALU_CYCLE_1) | instskip(NEXT) | instid1(SALU_CYCLE_1)
	s_mul_i32 s8, s3, s13
	s_sub_i32 s8, s22, s8
	s_add_i32 s22, s3, 1
	s_sub_i32 s23, s8, s13
	s_cmp_ge_u32 s8, s13
	s_cselect_b32 s3, s22, s3
	s_cselect_b32 s8, s23, s8
	s_add_i32 s22, s3, 1
	s_cmp_ge_u32 s8, s13
	s_cselect_b32 s3, s22, s3
	s_delay_alu instid0(SALU_CYCLE_1) | instskip(NEXT) | instid1(SALU_CYCLE_1)
	s_xor_b32 s3, s3, s9
	s_sub_i32 s8, s3, s9
	s_delay_alu instid0(SALU_CYCLE_1) | instskip(NEXT) | instid1(SALU_CYCLE_1)
	s_ashr_i32 s9, s8, 31
	v_cmp_lt_i64_e64 s3, s[8:9], 1
	s_delay_alu instid0(VALU_DEP_1)
	s_and_b32 vcc_lo, exec_lo, s3
	s_cbranch_vccnz .LBB75_46
; %bb.27:
	v_lshrrev_b32_e32 v9, 5, v0
	v_and_b32_e32 v4, 31, v0
	s_mov_b64 s[22:23], 0
	s_mov_b64 s[24:25], src_shared_base
	s_delay_alu instid0(VALU_DEP_2) | instskip(NEXT) | instid1(VALU_DEP_2)
	v_mul_lo_u32 v19, s20, v9
	v_add_co_u32 v11, s3, v4, 16
	s_delay_alu instid0(VALU_DEP_1) | instskip(SKIP_1) | instid1(VALU_DEP_1)
	v_add_co_ci_u32_e64 v12, null, 0, 0, s3
	v_add_co_u32 v13, s3, v4, 8
	v_add_co_ci_u32_e64 v14, null, 0, 0, s3
	v_add_co_u32 v15, s3, v4, 4
	v_dual_mov_b32 v10, 0 :: v_dual_lshlrev_b32 v21, 2, v19
	v_lshlrev_b32_e32 v22, 2, v4
	v_add_co_ci_u32_e64 v16, null, 0, 0, s3
	v_add_co_u32 v17, s3, v4, 2
	s_delay_alu instid0(VALU_DEP_1) | instskip(SKIP_1) | instid1(VALU_DEP_1)
	v_add_co_ci_u32_e64 v18, null, 0, 0, s3
	v_add_co_u32 v19, s3, v4, 1
	v_add_co_ci_u32_e64 v20, null, 0, 0, s3
	v_add3_u32 v30, v21, v22, 0x80
	s_mul_i32 s3, s20, s13
	s_delay_alu instid0(SALU_CYCLE_1)
	s_lshl_b32 s28, s3, 2
	s_branch .LBB75_30
.LBB75_28:                              ;   in Loop: Header=BB75_30 Depth=1
	s_or_b32 exec_lo, exec_lo, s3
	v_mov_b32_e32 v22, s25
	flat_load_b32 v21, v[21:22] glc dlc
	s_waitcnt vmcnt(0)
.LBB75_29:                              ;   in Loop: Header=BB75_30 Depth=1
	s_or_b32 exec_lo, exec_lo, s24
	s_add_u32 s22, s22, 1
	v_add_nc_u32_e32 v30, s28, v30
	s_addc_u32 s23, s23, 0
	s_delay_alu instid0(SALU_CYCLE_1)
	s_cmp_eq_u64 s[22:23], s[8:9]
	s_cbranch_scc1 .LBB75_46
.LBB75_30:                              ; =>This Loop Header: Depth=1
                                        ;     Child Loop BB75_33 Depth 2
	s_waitcnt lgkmcnt(0)
	v_mad_u64_u32 v[21:22], null, s22, s13, v[9:10]
	s_mov_b32 s24, exec_lo
	s_delay_alu instid0(VALU_DEP_1) | instskip(NEXT) | instid1(VALU_DEP_1)
	v_mad_u64_u32 v[23:24], null, s23, s13, v[22:23]
	v_mov_b32_e32 v22, v23
	s_delay_alu instid0(VALU_DEP_1)
	v_cmpx_gt_i64_e64 s[16:17], v[21:22]
	s_cbranch_execz .LBB75_29
; %bb.31:                               ;   in Loop: Header=BB75_30 Depth=1
	v_mul_lo_u32 v24, v22, s20
	v_mul_lo_u32 v25, v21, s21
	v_mad_u64_u32 v[22:23], null, v21, s20, 0
	s_delay_alu instid0(VALU_DEP_1) | instskip(NEXT) | instid1(VALU_DEP_2)
	v_add3_u32 v23, v23, v25, v24
	v_add_co_u32 v24, vcc_lo, v22, s20
	v_add_co_u32 v31, s3, v22, v4
	s_delay_alu instid0(VALU_DEP_3) | instskip(SKIP_2) | instid1(VALU_DEP_2)
	v_add_co_ci_u32_e32 v25, vcc_lo, s21, v23, vcc_lo
	v_add_co_ci_u32_e64 v21, s3, 0, v23, s3
	s_mov_b32 s3, exec_lo
	v_cmp_gt_i64_e32 vcc_lo, s[18:19], v[24:25]
	v_cndmask_b32_e32 v25, s19, v25, vcc_lo
	v_cndmask_b32_e32 v24, s18, v24, vcc_lo
	v_add_co_u32 v26, vcc_lo, v31, 32
	v_add_co_ci_u32_e32 v27, vcc_lo, 0, v21, vcc_lo
	v_lshlrev_b32_e32 v21, 2, v31
	s_delay_alu instid0(VALU_DEP_2)
	v_cmpx_lt_i64_e64 v[26:27], v[24:25]
	s_cbranch_execz .LBB75_34
; %bb.32:                               ;   in Loop: Header=BB75_30 Depth=1
	ds_load_b32 v33, v21
	v_mov_b32_e32 v32, v30
	s_mov_b32 s29, 0
.LBB75_33:                              ;   Parent Loop BB75_30 Depth=1
                                        ; =>  This Inner Loop Header: Depth=2
	ds_load_b32 v34, v32
	v_add_co_u32 v26, vcc_lo, v26, 32
	v_add_co_ci_u32_e32 v27, vcc_lo, 0, v27, vcc_lo
	s_waitcnt lgkmcnt(1)
	v_dual_max_f32 v33, v33, v33 :: v_dual_add_nc_u32 v32, 0x80, v32
	s_delay_alu instid0(VALU_DEP_2) | instskip(SKIP_3) | instid1(VALU_DEP_1)
	v_cmp_ge_i64_e32 vcc_lo, v[26:27], v[24:25]
	s_or_b32 s29, vcc_lo, s29
	s_waitcnt lgkmcnt(0)
	v_max_f32_e32 v34, v34, v34
	v_max_f32_e32 v33, v33, v34
	ds_store_b32 v21, v33
	s_and_not1_b32 exec_lo, exec_lo, s29
	s_cbranch_execnz .LBB75_33
.LBB75_34:                              ;   in Loop: Header=BB75_30 Depth=1
	s_or_b32 exec_lo, exec_lo, s3
	v_sub_co_u32 v22, vcc_lo, v24, v22
	v_sub_co_ci_u32_e32 v23, vcc_lo, v25, v23, vcc_lo
	s_mov_b32 s3, exec_lo
	s_delay_alu instid0(VALU_DEP_1) | instskip(SKIP_1) | instid1(VALU_DEP_1)
	v_cmp_gt_i64_e32 vcc_lo, 32, v[22:23]
	v_dual_cndmask_b32 v24, 0, v23 :: v_dual_cndmask_b32 v23, 32, v22
	v_cmpx_lt_i64_e64 v[11:12], v[23:24]
	s_cbranch_execz .LBB75_36
; %bb.35:                               ;   in Loop: Header=BB75_30 Depth=1
	v_dual_mov_b32 v22, s25 :: v_dual_add_nc_u32 v25, 64, v21
	v_mov_b32_e32 v26, s25
	flat_load_b32 v27, v[21:22] glc dlc
	s_waitcnt vmcnt(0)
	flat_load_b32 v25, v[25:26] glc dlc
	s_waitcnt vmcnt(0) lgkmcnt(0)
	v_dual_max_f32 v26, v27, v27 :: v_dual_max_f32 v25, v25, v25
	s_delay_alu instid0(VALU_DEP_1)
	v_max_f32_e32 v25, v26, v25
	flat_store_b32 v[21:22], v25 dlc
	s_waitcnt_vscnt null, 0x0
.LBB75_36:                              ;   in Loop: Header=BB75_30 Depth=1
	s_or_b32 exec_lo, exec_lo, s3
	s_delay_alu instid0(SALU_CYCLE_1)
	s_mov_b32 s3, exec_lo
	v_cmpx_lt_i64_e64 v[13:14], v[23:24]
	s_cbranch_execz .LBB75_38
; %bb.37:                               ;   in Loop: Header=BB75_30 Depth=1
	v_dual_mov_b32 v22, s25 :: v_dual_add_nc_u32 v25, 32, v21
	v_mov_b32_e32 v26, s25
	flat_load_b32 v27, v[21:22] glc dlc
	s_waitcnt vmcnt(0)
	flat_load_b32 v25, v[25:26] glc dlc
	s_waitcnt vmcnt(0) lgkmcnt(0)
	v_dual_max_f32 v26, v27, v27 :: v_dual_max_f32 v25, v25, v25
	s_delay_alu instid0(VALU_DEP_1)
	v_max_f32_e32 v25, v26, v25
	flat_store_b32 v[21:22], v25 dlc
	s_waitcnt_vscnt null, 0x0
.LBB75_38:                              ;   in Loop: Header=BB75_30 Depth=1
	s_or_b32 exec_lo, exec_lo, s3
	s_delay_alu instid0(SALU_CYCLE_1)
	s_mov_b32 s3, exec_lo
	v_cmpx_ge_i64_e64 v[15:16], v[23:24]
	s_xor_b32 s3, exec_lo, s3
; %bb.39:                               ;   in Loop: Header=BB75_30 Depth=1
                                        ; implicit-def: $vgpr21
; %bb.40:                               ;   in Loop: Header=BB75_30 Depth=1
	s_delay_alu instid0(SALU_CYCLE_1)
	s_and_not1_saveexec_b32 s3, s3
	s_cbranch_execz .LBB75_42
; %bb.41:                               ;   in Loop: Header=BB75_30 Depth=1
	v_dual_mov_b32 v22, s25 :: v_dual_add_nc_u32 v25, 16, v21
	v_mov_b32_e32 v26, s25
	flat_load_b32 v27, v[21:22] glc dlc
	s_waitcnt vmcnt(0)
	flat_load_b32 v25, v[25:26] glc dlc
	s_waitcnt vmcnt(0) lgkmcnt(0)
	v_dual_max_f32 v26, v27, v27 :: v_dual_max_f32 v25, v25, v25
	s_delay_alu instid0(VALU_DEP_1)
	v_max_f32_e32 v25, v26, v25
	flat_store_b32 v[21:22], v25 dlc
	s_waitcnt_vscnt null, 0x0
.LBB75_42:                              ;   in Loop: Header=BB75_30 Depth=1
	s_or_b32 exec_lo, exec_lo, s3
	v_lshlrev_b32_e32 v21, 2, v31
	s_mov_b32 s3, exec_lo
	v_cmpx_lt_i64_e64 v[17:18], v[23:24]
	s_cbranch_execz .LBB75_44
; %bb.43:                               ;   in Loop: Header=BB75_30 Depth=1
	s_delay_alu instid0(VALU_DEP_2)
	v_dual_mov_b32 v22, s25 :: v_dual_add_nc_u32 v25, 8, v21
	v_mov_b32_e32 v26, s25
	flat_load_b32 v27, v[21:22] glc dlc
	s_waitcnt vmcnt(0)
	flat_load_b32 v25, v[25:26] glc dlc
	s_waitcnt vmcnt(0) lgkmcnt(0)
	v_dual_max_f32 v26, v27, v27 :: v_dual_max_f32 v25, v25, v25
	s_delay_alu instid0(VALU_DEP_1)
	v_max_f32_e32 v25, v26, v25
	flat_store_b32 v[21:22], v25 dlc
	s_waitcnt_vscnt null, 0x0
.LBB75_44:                              ;   in Loop: Header=BB75_30 Depth=1
	s_or_b32 exec_lo, exec_lo, s3
	s_delay_alu instid0(SALU_CYCLE_1)
	s_mov_b32 s3, exec_lo
	v_cmpx_lt_i64_e64 v[19:20], v[23:24]
	s_cbranch_execz .LBB75_28
; %bb.45:                               ;   in Loop: Header=BB75_30 Depth=1
	v_dual_mov_b32 v22, s25 :: v_dual_add_nc_u32 v23, 4, v21
	v_mov_b32_e32 v24, s25
	flat_load_b32 v25, v[21:22] glc dlc
	s_waitcnt vmcnt(0)
	flat_load_b32 v23, v[23:24] glc dlc
	s_waitcnt vmcnt(0) lgkmcnt(0)
	v_dual_max_f32 v24, v25, v25 :: v_dual_max_f32 v23, v23, v23
	s_delay_alu instid0(VALU_DEP_1)
	v_max_f32_e32 v23, v24, v23
	flat_store_b32 v[21:22], v23 dlc
	s_waitcnt_vscnt null, 0x0
	s_branch .LBB75_28
.LBB75_46:
	v_cmp_lt_i64_e32 vcc_lo, v[7:8], v[5:6]
	v_cmp_eq_u32_e64 s3, 0, v3
	s_mul_i32 s13, s17, s15
	s_mul_hi_u32 s17, s16, s15
	s_mul_i32 s8, s16, s15
	s_waitcnt lgkmcnt(0)
	s_and_b32 s9, s3, vcc_lo
	s_barrier
	buffer_gl0_inv
	s_and_saveexec_b32 s3, s9
	s_cbranch_execz .LBB75_50
; %bb.47:
	s_load_b64 s[0:1], s[0:1], 0x20
	ds_load_b32 v3, v29
	s_waitcnt lgkmcnt(0)
	s_cmp_eq_u64 s[0:1], 0
	s_cbranch_scc1 .LBB75_49
; %bb.48:
	s_load_b32 s0, s[0:1], 0x0
	v_max_f32_e32 v3, v3, v3
	s_waitcnt lgkmcnt(0)
	v_max_f32_e64 v4, s0, s0
	s_delay_alu instid0(VALU_DEP_1)
	v_min_f32_e32 v3, v3, v4
.LBB75_49:
	s_delay_alu instid0(VALU_DEP_1) | instskip(SKIP_2) | instid1(VALU_DEP_2)
	v_div_scale_f32 v4, null, 0x43e00000, 0x43e00000, v3
	v_div_scale_f32 v7, vcc_lo, v3, 0x43e00000, v3
	s_add_i32 s9, s17, s13
	v_rcp_f32_e32 v5, v4
	v_lshlrev_b64 v[1:2], 2, v[1:2]
	s_lshl_b64 s[0:1], s[8:9], 2
	s_delay_alu instid0(SALU_CYCLE_1) | instskip(SKIP_3) | instid1(VALU_DEP_1)
	s_add_u32 s0, s6, s0
	s_addc_u32 s1, s7, s1
	s_waitcnt_depctr 0xfff
	v_fma_f32 v6, -v4, v5, 1.0
	v_fmac_f32_e32 v5, v6, v5
	s_delay_alu instid0(VALU_DEP_1) | instskip(NEXT) | instid1(VALU_DEP_1)
	v_mul_f32_e32 v6, v7, v5
	v_fma_f32 v8, -v4, v6, v7
	s_delay_alu instid0(VALU_DEP_1) | instskip(NEXT) | instid1(VALU_DEP_1)
	v_fmac_f32_e32 v6, v8, v5
	v_fma_f32 v4, -v4, v6, v7
	s_delay_alu instid0(VALU_DEP_1) | instskip(SKIP_2) | instid1(VALU_DEP_3)
	v_div_fmas_f32 v4, v4, v5, v6
	v_add_co_u32 v1, vcc_lo, s0, v1
	v_add_co_ci_u32_e32 v2, vcc_lo, s1, v2, vcc_lo
	v_div_fixup_f32 v3, v4, 0x43e00000, v3
	s_delay_alu instid0(VALU_DEP_1)
	v_max_f32_e32 v3, 0x36924925, v3
	global_store_b32 v[1:2], v3, off
.LBB75_50:
	s_or_b32 exec_lo, exec_lo, s3
	s_waitcnt_vscnt null, 0x0
	s_barrier
	buffer_gl0_inv
	s_and_saveexec_b32 s0, s2
	s_cbranch_execz .LBB75_155
; %bb.51:
	s_mul_i32 s0, s19, s15
	s_mul_hi_u32 s1, s18, s15
	s_mul_i32 s2, s18, s15
	s_add_i32 s1, s1, s0
	s_add_u32 s2, s4, s2
	s_addc_u32 s3, s5, s1
	s_add_i32 s9, s17, s13
	v_mov_b32_e32 v1, 0
	s_lshl_b64 s[0:1], s[8:9], 2
	s_mul_i32 s4, s27, 3
	s_add_u32 s0, s6, s0
	s_addc_u32 s1, s7, s1
	s_lshl_b32 s5, s27, 1
	s_mov_b32 s6, 0
	s_mov_b32 s7, 0x43e00000
	s_add_i32 s8, s27, s27
	s_branch .LBB75_57
.LBB75_52:                              ;   in Loop: Header=BB75_57 Depth=1
	s_or_b32 exec_lo, exec_lo, s17
.LBB75_53:                              ;   in Loop: Header=BB75_57 Depth=1
	s_delay_alu instid0(SALU_CYCLE_1)
	s_or_b32 exec_lo, exec_lo, s16
	v_lshrrev_b32_e32 v6, 24, v12
	v_lshrrev_b32_e32 v10, 24, v11
	v_and_b32_e32 v11, 0x80000000, v4
	v_lshrrev_b32_e32 v9, 24, v9
	v_and_b32_e32 v8, 0xff, v8
	v_and_b32_e32 v6, 0x80, v6
	;; [unrolled: 1-line block ×3, first 2 shown]
	s_delay_alu instid0(VALU_DEP_3) | instskip(NEXT) | instid1(VALU_DEP_3)
	v_and_or_b32 v8, 0x80, v9, v8
	v_and_or_b32 v5, 0xff, v5, v6
	v_lshlrev_b32_e32 v6, 24, v3
	v_lshlrev_b64 v[3:4], 2, v[0:1]
	v_and_or_b32 v7, 0xff, v7, v10
	v_add3_u32 v0, s8, s27, v2
	v_lshlrev_b32_e32 v5, 16, v5
	s_delay_alu instid0(VALU_DEP_3) | instskip(SKIP_1) | instid1(VALU_DEP_3)
	v_lshlrev_b32_e32 v7, 8, v7
	v_add_co_u32 v2, vcc_lo, s2, v3
	v_or3_b32 v5, v11, v6, v5
	v_add_co_ci_u32_e32 v3, vcc_lo, s3, v4, vcc_lo
	v_cmp_le_u32_e32 vcc_lo, s12, v0
	s_delay_alu instid0(VALU_DEP_3)
	v_or3_b32 v4, v5, v7, v8
	s_or_not1_b32 s16, vcc_lo, exec_lo
	global_store_b32 v[2:3], v4, off
.LBB75_54:                              ;   in Loop: Header=BB75_57 Depth=1
	s_or_b32 exec_lo, exec_lo, s15
	s_delay_alu instid0(SALU_CYCLE_1)
	s_or_not1_b32 s15, s16, exec_lo
.LBB75_55:                              ;   in Loop: Header=BB75_57 Depth=1
	s_or_b32 exec_lo, exec_lo, s13
	s_delay_alu instid0(SALU_CYCLE_1)
	s_or_not1_b32 s13, s15, exec_lo
.LBB75_56:                              ;   in Loop: Header=BB75_57 Depth=1
	s_or_b32 exec_lo, exec_lo, s9
	s_delay_alu instid0(SALU_CYCLE_1) | instskip(NEXT) | instid1(SALU_CYCLE_1)
	s_and_b32 s9, exec_lo, s13
	s_or_b32 s6, s9, s6
	s_delay_alu instid0(SALU_CYCLE_1)
	s_and_not1_b32 exec_lo, exec_lo, s6
	s_cbranch_execz .LBB75_155
.LBB75_57:                              ; =>This Inner Loop Header: Depth=1
	v_lshlrev_b64 v[2:3], 3, v[0:1]
	v_lshrrev_b32_e32 v6, 3, v0
	s_mov_b32 s9, exec_lo
	s_delay_alu instid0(VALU_DEP_1) | instskip(NEXT) | instid1(VALU_DEP_3)
	v_and_b32_e32 v6, 0x7fffffc, v6
	v_add_co_u32 v4, vcc_lo, s14, v2
	s_delay_alu instid0(VALU_DEP_4)
	v_add_co_ci_u32_e32 v5, vcc_lo, s26, v3, vcc_lo
	v_add_co_u32 v2, vcc_lo, s10, v2
	v_add_co_ci_u32_e32 v3, vcc_lo, s11, v3, vcc_lo
	global_load_b64 v[4:5], v[4:5], off
	global_load_b32 v9, v6, s[0:1]
	global_load_b64 v[2:3], v[2:3], off
	s_waitcnt vmcnt(2)
	v_lshlrev_b32_e32 v6, 16, v4
	s_waitcnt vmcnt(0)
	v_lshlrev_b32_e32 v8, 16, v2
	s_delay_alu instid0(VALU_DEP_2) | instskip(NEXT) | instid1(VALU_DEP_1)
	v_mul_f32_e32 v6, v28, v6
	v_bfe_u32 v7, v6, 16, 1
	s_delay_alu instid0(VALU_DEP_1) | instskip(NEXT) | instid1(VALU_DEP_1)
	v_add3_u32 v7, v6, v7, 0x7fff
	v_and_b32_e32 v7, 0xffff0000, v7
	v_cmp_o_f32_e32 vcc_lo, v6, v6
	s_delay_alu instid0(VALU_DEP_2) | instskip(NEXT) | instid1(VALU_DEP_1)
	v_cndmask_b32_e32 v6, 0x7fc00000, v7, vcc_lo
	v_mul_f32_e32 v6, v6, v8
	s_delay_alu instid0(VALU_DEP_1) | instskip(NEXT) | instid1(VALU_DEP_1)
	v_bfe_u32 v7, v6, 16, 1
	v_add3_u32 v7, v6, v7, 0x7fff
	s_delay_alu instid0(VALU_DEP_1) | instskip(SKIP_1) | instid1(VALU_DEP_2)
	v_and_b32_e32 v7, 0xffff0000, v7
	v_cmp_o_f32_e32 vcc_lo, v6, v6
	v_cndmask_b32_e32 v6, 0x7fc00000, v7, vcc_lo
	s_delay_alu instid0(VALU_DEP_1) | instskip(SKIP_1) | instid1(VALU_DEP_2)
	v_div_scale_f32 v7, null, v9, v9, v6
	v_div_scale_f32 v11, vcc_lo, v6, v9, v6
	v_rcp_f32_e32 v8, v7
	s_waitcnt_depctr 0xfff
	v_fma_f32 v10, -v7, v8, 1.0
	s_delay_alu instid0(VALU_DEP_1) | instskip(NEXT) | instid1(VALU_DEP_1)
	v_fmac_f32_e32 v8, v10, v8
	v_mul_f32_e32 v10, v11, v8
	s_delay_alu instid0(VALU_DEP_1) | instskip(NEXT) | instid1(VALU_DEP_1)
	v_fma_f32 v12, -v7, v10, v11
	v_fmac_f32_e32 v10, v12, v8
	s_delay_alu instid0(VALU_DEP_1) | instskip(NEXT) | instid1(VALU_DEP_1)
	v_fma_f32 v7, -v7, v10, v11
	v_div_fmas_f32 v7, v7, v8, v10
	s_delay_alu instid0(VALU_DEP_1) | instskip(SKIP_1) | instid1(VALU_DEP_2)
	v_div_fixup_f32 v6, v7, v9, v6
	v_mov_b32_e32 v7, 0x7f
	v_minmax_f32 v8, v6, s7, 0xc3e00000
	v_mov_b32_e32 v6, 0x7f
	s_delay_alu instid0(VALU_DEP_2) | instskip(NEXT) | instid1(VALU_DEP_1)
	v_and_b32_e32 v10, 0x7fffffff, v8
	v_cmpx_gt_u32_e32 0x43f00000, v10
	s_cbranch_execz .LBB75_63
; %bb.58:                               ;   in Loop: Header=BB75_57 Depth=1
	s_mov_b32 s13, exec_lo
                                        ; implicit-def: $vgpr7
	v_cmpx_lt_u32_e32 0x3c7fffff, v10
	s_xor_b32 s13, exec_lo, s13
; %bb.59:                               ;   in Loop: Header=BB75_57 Depth=1
	v_bfe_u32 v7, v8, 20, 1
	s_delay_alu instid0(VALU_DEP_1) | instskip(NEXT) | instid1(VALU_DEP_1)
	v_add3_u32 v7, v8, v7, 0x407ffff
	v_lshrrev_b32_e32 v7, 20, v7
; %bb.60:                               ;   in Loop: Header=BB75_57 Depth=1
	s_and_not1_saveexec_b32 s13, s13
; %bb.61:                               ;   in Loop: Header=BB75_57 Depth=1
	v_add_f32_e64 v7, 0x46800000, |v8|
; %bb.62:                               ;   in Loop: Header=BB75_57 Depth=1
	s_or_b32 exec_lo, exec_lo, s13
.LBB75_63:                              ;   in Loop: Header=BB75_57 Depth=1
	s_delay_alu instid0(SALU_CYCLE_1) | instskip(SKIP_3) | instid1(VALU_DEP_2)
	s_or_b32 exec_lo, exec_lo, s9
	v_and_b32_e32 v10, 0xffff0000, v4
	v_and_b32_e32 v12, 0xffff0000, v2
	s_mov_b32 s9, exec_lo
	v_mul_f32_e32 v10, v28, v10
	s_delay_alu instid0(VALU_DEP_1) | instskip(NEXT) | instid1(VALU_DEP_1)
	v_bfe_u32 v11, v10, 16, 1
	v_add3_u32 v11, v10, v11, 0x7fff
	s_delay_alu instid0(VALU_DEP_1) | instskip(SKIP_1) | instid1(VALU_DEP_2)
	v_and_b32_e32 v11, 0xffff0000, v11
	v_cmp_o_f32_e32 vcc_lo, v10, v10
	v_cndmask_b32_e32 v10, 0x7fc00000, v11, vcc_lo
	s_delay_alu instid0(VALU_DEP_1) | instskip(NEXT) | instid1(VALU_DEP_1)
	v_mul_f32_e32 v10, v10, v12
	v_bfe_u32 v11, v10, 16, 1
	s_delay_alu instid0(VALU_DEP_1) | instskip(NEXT) | instid1(VALU_DEP_1)
	v_add3_u32 v11, v10, v11, 0x7fff
	v_and_b32_e32 v11, 0xffff0000, v11
	v_cmp_o_f32_e32 vcc_lo, v10, v10
	s_delay_alu instid0(VALU_DEP_2) | instskip(NEXT) | instid1(VALU_DEP_1)
	v_cndmask_b32_e32 v10, 0x7fc00000, v11, vcc_lo
	v_div_scale_f32 v11, null, v9, v9, v10
	s_delay_alu instid0(VALU_DEP_1) | instskip(SKIP_2) | instid1(VALU_DEP_1)
	v_rcp_f32_e32 v12, v11
	s_waitcnt_depctr 0xfff
	v_fma_f32 v13, -v11, v12, 1.0
	v_fmac_f32_e32 v12, v13, v12
	v_div_scale_f32 v13, vcc_lo, v10, v9, v10
	s_delay_alu instid0(VALU_DEP_1) | instskip(NEXT) | instid1(VALU_DEP_1)
	v_mul_f32_e32 v14, v13, v12
	v_fma_f32 v15, -v11, v14, v13
	s_delay_alu instid0(VALU_DEP_1) | instskip(NEXT) | instid1(VALU_DEP_1)
	v_fmac_f32_e32 v14, v15, v12
	v_fma_f32 v11, -v11, v14, v13
	s_delay_alu instid0(VALU_DEP_1) | instskip(NEXT) | instid1(VALU_DEP_1)
	v_div_fmas_f32 v11, v11, v12, v14
	v_div_fixup_f32 v10, v11, v9, v10
	s_delay_alu instid0(VALU_DEP_1) | instskip(NEXT) | instid1(VALU_DEP_1)
	v_minmax_f32 v10, v10, s7, 0xc3e00000
	v_and_b32_e32 v11, 0x7fffffff, v10
	s_delay_alu instid0(VALU_DEP_1)
	v_cmpx_gt_u32_e32 0x43f00000, v11
	s_cbranch_execz .LBB75_69
; %bb.64:                               ;   in Loop: Header=BB75_57 Depth=1
	s_mov_b32 s13, exec_lo
                                        ; implicit-def: $vgpr6
	v_cmpx_lt_u32_e32 0x3c7fffff, v11
	s_xor_b32 s13, exec_lo, s13
; %bb.65:                               ;   in Loop: Header=BB75_57 Depth=1
	v_bfe_u32 v6, v10, 20, 1
	s_delay_alu instid0(VALU_DEP_1) | instskip(NEXT) | instid1(VALU_DEP_1)
	v_add3_u32 v6, v10, v6, 0x407ffff
	v_lshrrev_b32_e32 v6, 20, v6
; %bb.66:                               ;   in Loop: Header=BB75_57 Depth=1
	s_and_not1_saveexec_b32 s13, s13
; %bb.67:                               ;   in Loop: Header=BB75_57 Depth=1
	v_add_f32_e64 v6, 0x46800000, |v10|
; %bb.68:                               ;   in Loop: Header=BB75_57 Depth=1
	s_or_b32 exec_lo, exec_lo, s13
.LBB75_69:                              ;   in Loop: Header=BB75_57 Depth=1
	s_delay_alu instid0(SALU_CYCLE_1) | instskip(SKIP_3) | instid1(VALU_DEP_2)
	s_or_b32 exec_lo, exec_lo, s9
	v_alignbit_b32 v4, v5, v4, 16
	v_alignbit_b32 v2, v3, v2, 16
	s_mov_b32 s9, exec_lo
	v_and_b32_e32 v4, 0xffff0000, v4
	s_delay_alu instid0(VALU_DEP_2) | instskip(NEXT) | instid1(VALU_DEP_2)
	v_and_b32_e32 v2, 0xffff0000, v2
	v_mul_f32_e32 v4, v28, v4
	s_delay_alu instid0(VALU_DEP_1) | instskip(NEXT) | instid1(VALU_DEP_1)
	v_bfe_u32 v11, v4, 16, 1
	v_add3_u32 v11, v4, v11, 0x7fff
	s_delay_alu instid0(VALU_DEP_1) | instskip(SKIP_1) | instid1(VALU_DEP_2)
	v_and_b32_e32 v11, 0xffff0000, v11
	v_cmp_o_f32_e32 vcc_lo, v4, v4
	v_cndmask_b32_e32 v4, 0x7fc00000, v11, vcc_lo
	s_delay_alu instid0(VALU_DEP_1) | instskip(NEXT) | instid1(VALU_DEP_1)
	v_mul_f32_e32 v2, v4, v2
	v_bfe_u32 v4, v2, 16, 1
	v_cmp_o_f32_e32 vcc_lo, v2, v2
	s_delay_alu instid0(VALU_DEP_2) | instskip(NEXT) | instid1(VALU_DEP_1)
	v_add3_u32 v4, v2, v4, 0x7fff
	v_and_b32_e32 v4, 0xffff0000, v4
	s_delay_alu instid0(VALU_DEP_1) | instskip(NEXT) | instid1(VALU_DEP_1)
	v_cndmask_b32_e32 v2, 0x7fc00000, v4, vcc_lo
	v_div_scale_f32 v4, null, v9, v9, v2
	v_div_scale_f32 v13, vcc_lo, v2, v9, v2
	s_delay_alu instid0(VALU_DEP_2) | instskip(SKIP_2) | instid1(VALU_DEP_1)
	v_rcp_f32_e32 v11, v4
	s_waitcnt_depctr 0xfff
	v_fma_f32 v12, -v4, v11, 1.0
	v_fmac_f32_e32 v11, v12, v11
	s_delay_alu instid0(VALU_DEP_1) | instskip(NEXT) | instid1(VALU_DEP_1)
	v_mul_f32_e32 v12, v13, v11
	v_fma_f32 v14, -v4, v12, v13
	s_delay_alu instid0(VALU_DEP_1) | instskip(NEXT) | instid1(VALU_DEP_1)
	v_fmac_f32_e32 v12, v14, v11
	v_fma_f32 v4, -v4, v12, v13
	s_delay_alu instid0(VALU_DEP_1) | instskip(NEXT) | instid1(VALU_DEP_1)
	v_div_fmas_f32 v4, v4, v11, v12
	v_div_fixup_f32 v2, v4, v9, v2
	v_mov_b32_e32 v4, 0x7f
	s_delay_alu instid0(VALU_DEP_2) | instskip(SKIP_1) | instid1(VALU_DEP_2)
	v_minmax_f32 v11, v2, s7, 0xc3e00000
	v_mov_b32_e32 v2, 0x7f
	v_and_b32_e32 v12, 0x7fffffff, v11
	s_delay_alu instid0(VALU_DEP_1)
	v_cmpx_gt_u32_e32 0x43f00000, v12
	s_cbranch_execz .LBB75_75
; %bb.70:                               ;   in Loop: Header=BB75_57 Depth=1
	s_mov_b32 s13, exec_lo
                                        ; implicit-def: $vgpr4
	v_cmpx_lt_u32_e32 0x3c7fffff, v12
	s_xor_b32 s13, exec_lo, s13
; %bb.71:                               ;   in Loop: Header=BB75_57 Depth=1
	v_bfe_u32 v4, v11, 20, 1
	s_delay_alu instid0(VALU_DEP_1) | instskip(NEXT) | instid1(VALU_DEP_1)
	v_add3_u32 v4, v11, v4, 0x407ffff
	v_lshrrev_b32_e32 v4, 20, v4
; %bb.72:                               ;   in Loop: Header=BB75_57 Depth=1
	s_and_not1_saveexec_b32 s13, s13
; %bb.73:                               ;   in Loop: Header=BB75_57 Depth=1
	v_add_f32_e64 v4, 0x46800000, |v11|
; %bb.74:                               ;   in Loop: Header=BB75_57 Depth=1
	s_or_b32 exec_lo, exec_lo, s13
.LBB75_75:                              ;   in Loop: Header=BB75_57 Depth=1
	s_delay_alu instid0(SALU_CYCLE_1) | instskip(SKIP_3) | instid1(VALU_DEP_2)
	s_or_b32 exec_lo, exec_lo, s9
	v_and_b32_e32 v5, 0xffff0000, v5
	v_and_b32_e32 v3, 0xffff0000, v3
	s_mov_b32 s9, exec_lo
	v_mul_f32_e32 v5, v28, v5
	s_delay_alu instid0(VALU_DEP_1) | instskip(NEXT) | instid1(VALU_DEP_1)
	v_bfe_u32 v12, v5, 16, 1
	v_add3_u32 v12, v5, v12, 0x7fff
	s_delay_alu instid0(VALU_DEP_1) | instskip(SKIP_1) | instid1(VALU_DEP_2)
	v_and_b32_e32 v12, 0xffff0000, v12
	v_cmp_o_f32_e32 vcc_lo, v5, v5
	v_cndmask_b32_e32 v5, 0x7fc00000, v12, vcc_lo
	s_delay_alu instid0(VALU_DEP_1) | instskip(NEXT) | instid1(VALU_DEP_1)
	v_mul_f32_e32 v3, v5, v3
	v_bfe_u32 v5, v3, 16, 1
	v_cmp_o_f32_e32 vcc_lo, v3, v3
	s_delay_alu instid0(VALU_DEP_2) | instskip(NEXT) | instid1(VALU_DEP_1)
	v_add3_u32 v5, v3, v5, 0x7fff
	v_and_b32_e32 v5, 0xffff0000, v5
	s_delay_alu instid0(VALU_DEP_1) | instskip(NEXT) | instid1(VALU_DEP_1)
	v_cndmask_b32_e32 v3, 0x7fc00000, v5, vcc_lo
	v_div_scale_f32 v5, null, v9, v9, v3
	s_delay_alu instid0(VALU_DEP_1) | instskip(SKIP_2) | instid1(VALU_DEP_1)
	v_rcp_f32_e32 v12, v5
	s_waitcnt_depctr 0xfff
	v_fma_f32 v13, -v5, v12, 1.0
	v_fmac_f32_e32 v12, v13, v12
	v_div_scale_f32 v13, vcc_lo, v3, v9, v3
	s_delay_alu instid0(VALU_DEP_1) | instskip(NEXT) | instid1(VALU_DEP_1)
	v_mul_f32_e32 v14, v13, v12
	v_fma_f32 v15, -v5, v14, v13
	s_delay_alu instid0(VALU_DEP_1) | instskip(NEXT) | instid1(VALU_DEP_1)
	v_fmac_f32_e32 v14, v15, v12
	v_fma_f32 v5, -v5, v14, v13
	s_delay_alu instid0(VALU_DEP_1) | instskip(NEXT) | instid1(VALU_DEP_1)
	v_div_fmas_f32 v5, v5, v12, v14
	v_div_fixup_f32 v3, v5, v9, v3
	s_delay_alu instid0(VALU_DEP_1) | instskip(NEXT) | instid1(VALU_DEP_1)
	v_minmax_f32 v3, v3, s7, 0xc3e00000
	v_and_b32_e32 v5, 0x7fffffff, v3
	s_delay_alu instid0(VALU_DEP_1)
	v_cmpx_gt_u32_e32 0x43f00000, v5
	s_cbranch_execz .LBB75_81
; %bb.76:                               ;   in Loop: Header=BB75_57 Depth=1
	s_mov_b32 s13, exec_lo
                                        ; implicit-def: $vgpr2
	v_cmpx_lt_u32_e32 0x3c7fffff, v5
	s_xor_b32 s13, exec_lo, s13
; %bb.77:                               ;   in Loop: Header=BB75_57 Depth=1
	v_bfe_u32 v2, v3, 20, 1
	s_delay_alu instid0(VALU_DEP_1) | instskip(NEXT) | instid1(VALU_DEP_1)
	v_add3_u32 v2, v3, v2, 0x407ffff
	v_lshrrev_b32_e32 v2, 20, v2
; %bb.78:                               ;   in Loop: Header=BB75_57 Depth=1
	s_and_not1_saveexec_b32 s13, s13
; %bb.79:                               ;   in Loop: Header=BB75_57 Depth=1
	v_add_f32_e64 v2, 0x46800000, |v3|
; %bb.80:                               ;   in Loop: Header=BB75_57 Depth=1
	s_or_b32 exec_lo, exec_lo, s13
.LBB75_81:                              ;   in Loop: Header=BB75_57 Depth=1
	s_delay_alu instid0(SALU_CYCLE_1)
	s_or_b32 exec_lo, exec_lo, s9
	v_lshrrev_b32_e32 v5, 24, v11
	v_lshrrev_b32_e32 v9, 24, v10
	;; [unrolled: 1-line block ×3, first 2 shown]
	v_lshlrev_b32_e32 v2, 24, v2
	v_and_b32_e32 v7, 0xff, v7
	v_and_b32_e32 v5, 0x80, v5
	;; [unrolled: 1-line block ×3, first 2 shown]
	s_mov_b32 s13, -1
	s_mov_b32 s9, exec_lo
	v_and_or_b32 v7, 0x80, v8, v7
	v_and_or_b32 v4, 0xff, v4, v5
	v_and_b32_e32 v5, 0x80000000, v3
	v_and_or_b32 v6, 0xff, v6, v9
	s_delay_alu instid0(VALU_DEP_3) | instskip(SKIP_1) | instid1(VALU_DEP_3)
	v_lshlrev_b32_e32 v9, 16, v4
	v_lshlrev_b64 v[3:4], 2, v[0:1]
	v_lshlrev_b32_e32 v6, 8, v6
	s_delay_alu instid0(VALU_DEP_3) | instskip(SKIP_1) | instid1(VALU_DEP_4)
	v_or3_b32 v5, v5, v2, v9
	v_add_nc_u32_e32 v2, s27, v0
	v_add_co_u32 v3, vcc_lo, s2, v3
	v_add_co_ci_u32_e32 v4, vcc_lo, s3, v4, vcc_lo
	s_delay_alu instid0(VALU_DEP_4)
	v_or3_b32 v5, v5, v6, v7
	global_store_b32 v[3:4], v5, off
	v_cmpx_gt_u32_e64 s12, v2
	s_cbranch_execz .LBB75_56
; %bb.82:                               ;   in Loop: Header=BB75_57 Depth=1
	v_lshrrev_b32_e32 v8, 3, v2
	v_mov_b32_e32 v3, v1
	s_mov_b32 s13, exec_lo
	s_delay_alu instid0(VALU_DEP_2) | instskip(NEXT) | instid1(VALU_DEP_2)
	v_and_b32_e32 v8, 0x7fffffc, v8
	v_lshlrev_b64 v[4:5], 3, v[2:3]
	global_load_b32 v11, v8, s[0:1]
	v_add_co_u32 v6, vcc_lo, s14, v4
	v_add_co_ci_u32_e32 v7, vcc_lo, s26, v5, vcc_lo
	v_add_co_u32 v4, vcc_lo, s10, v4
	v_add_co_ci_u32_e32 v5, vcc_lo, s11, v5, vcc_lo
	global_load_b64 v[6:7], v[6:7], off
	global_load_b64 v[4:5], v[4:5], off
	s_waitcnt vmcnt(1)
	v_lshlrev_b32_e32 v8, 16, v6
	s_waitcnt vmcnt(0)
	v_lshlrev_b32_e32 v10, 16, v4
	s_delay_alu instid0(VALU_DEP_2) | instskip(NEXT) | instid1(VALU_DEP_1)
	v_mul_f32_e32 v8, v28, v8
	v_bfe_u32 v9, v8, 16, 1
	s_delay_alu instid0(VALU_DEP_1) | instskip(NEXT) | instid1(VALU_DEP_1)
	v_add3_u32 v9, v8, v9, 0x7fff
	v_and_b32_e32 v9, 0xffff0000, v9
	v_cmp_o_f32_e32 vcc_lo, v8, v8
	s_delay_alu instid0(VALU_DEP_2) | instskip(NEXT) | instid1(VALU_DEP_1)
	v_cndmask_b32_e32 v8, 0x7fc00000, v9, vcc_lo
	v_mul_f32_e32 v8, v8, v10
	s_delay_alu instid0(VALU_DEP_1) | instskip(NEXT) | instid1(VALU_DEP_1)
	v_bfe_u32 v9, v8, 16, 1
	v_add3_u32 v9, v8, v9, 0x7fff
	s_delay_alu instid0(VALU_DEP_1) | instskip(SKIP_1) | instid1(VALU_DEP_2)
	v_and_b32_e32 v9, 0xffff0000, v9
	v_cmp_o_f32_e32 vcc_lo, v8, v8
	v_cndmask_b32_e32 v8, 0x7fc00000, v9, vcc_lo
	s_delay_alu instid0(VALU_DEP_1) | instskip(SKIP_1) | instid1(VALU_DEP_2)
	v_div_scale_f32 v9, null, v11, v11, v8
	v_div_scale_f32 v13, vcc_lo, v8, v11, v8
	v_rcp_f32_e32 v10, v9
	s_waitcnt_depctr 0xfff
	v_fma_f32 v12, -v9, v10, 1.0
	s_delay_alu instid0(VALU_DEP_1) | instskip(NEXT) | instid1(VALU_DEP_1)
	v_fmac_f32_e32 v10, v12, v10
	v_mul_f32_e32 v12, v13, v10
	s_delay_alu instid0(VALU_DEP_1) | instskip(NEXT) | instid1(VALU_DEP_1)
	v_fma_f32 v14, -v9, v12, v13
	v_fmac_f32_e32 v12, v14, v10
	s_delay_alu instid0(VALU_DEP_1) | instskip(NEXT) | instid1(VALU_DEP_1)
	v_fma_f32 v9, -v9, v12, v13
	v_div_fmas_f32 v9, v9, v10, v12
	s_delay_alu instid0(VALU_DEP_1) | instskip(SKIP_1) | instid1(VALU_DEP_2)
	v_div_fixup_f32 v8, v9, v11, v8
	v_mov_b32_e32 v9, 0x7f
	v_minmax_f32 v10, v8, s7, 0xc3e00000
	v_mov_b32_e32 v8, 0x7f
	s_delay_alu instid0(VALU_DEP_2) | instskip(NEXT) | instid1(VALU_DEP_1)
	v_and_b32_e32 v12, 0x7fffffff, v10
	v_cmpx_gt_u32_e32 0x43f00000, v12
	s_cbranch_execz .LBB75_88
; %bb.83:                               ;   in Loop: Header=BB75_57 Depth=1
	s_mov_b32 s15, exec_lo
                                        ; implicit-def: $vgpr9
	v_cmpx_lt_u32_e32 0x3c7fffff, v12
	s_xor_b32 s15, exec_lo, s15
; %bb.84:                               ;   in Loop: Header=BB75_57 Depth=1
	v_bfe_u32 v9, v10, 20, 1
	s_delay_alu instid0(VALU_DEP_1) | instskip(NEXT) | instid1(VALU_DEP_1)
	v_add3_u32 v9, v10, v9, 0x407ffff
	v_lshrrev_b32_e32 v9, 20, v9
; %bb.85:                               ;   in Loop: Header=BB75_57 Depth=1
	s_and_not1_saveexec_b32 s15, s15
; %bb.86:                               ;   in Loop: Header=BB75_57 Depth=1
	v_add_f32_e64 v9, 0x46800000, |v10|
; %bb.87:                               ;   in Loop: Header=BB75_57 Depth=1
	s_or_b32 exec_lo, exec_lo, s15
.LBB75_88:                              ;   in Loop: Header=BB75_57 Depth=1
	s_delay_alu instid0(SALU_CYCLE_1) | instskip(SKIP_3) | instid1(VALU_DEP_2)
	s_or_b32 exec_lo, exec_lo, s13
	v_and_b32_e32 v12, 0xffff0000, v6
	v_and_b32_e32 v14, 0xffff0000, v4
	s_mov_b32 s13, exec_lo
	v_mul_f32_e32 v12, v28, v12
	s_delay_alu instid0(VALU_DEP_1) | instskip(NEXT) | instid1(VALU_DEP_1)
	v_bfe_u32 v13, v12, 16, 1
	v_add3_u32 v13, v12, v13, 0x7fff
	s_delay_alu instid0(VALU_DEP_1) | instskip(SKIP_1) | instid1(VALU_DEP_2)
	v_and_b32_e32 v13, 0xffff0000, v13
	v_cmp_o_f32_e32 vcc_lo, v12, v12
	v_cndmask_b32_e32 v12, 0x7fc00000, v13, vcc_lo
	s_delay_alu instid0(VALU_DEP_1) | instskip(NEXT) | instid1(VALU_DEP_1)
	v_mul_f32_e32 v12, v12, v14
	v_bfe_u32 v13, v12, 16, 1
	s_delay_alu instid0(VALU_DEP_1) | instskip(NEXT) | instid1(VALU_DEP_1)
	v_add3_u32 v13, v12, v13, 0x7fff
	v_and_b32_e32 v13, 0xffff0000, v13
	v_cmp_o_f32_e32 vcc_lo, v12, v12
	s_delay_alu instid0(VALU_DEP_2) | instskip(NEXT) | instid1(VALU_DEP_1)
	v_cndmask_b32_e32 v12, 0x7fc00000, v13, vcc_lo
	v_div_scale_f32 v13, null, v11, v11, v12
	s_delay_alu instid0(VALU_DEP_1) | instskip(SKIP_2) | instid1(VALU_DEP_1)
	v_rcp_f32_e32 v14, v13
	s_waitcnt_depctr 0xfff
	v_fma_f32 v15, -v13, v14, 1.0
	v_fmac_f32_e32 v14, v15, v14
	v_div_scale_f32 v15, vcc_lo, v12, v11, v12
	s_delay_alu instid0(VALU_DEP_1) | instskip(NEXT) | instid1(VALU_DEP_1)
	v_mul_f32_e32 v16, v15, v14
	v_fma_f32 v17, -v13, v16, v15
	s_delay_alu instid0(VALU_DEP_1) | instskip(NEXT) | instid1(VALU_DEP_1)
	v_fmac_f32_e32 v16, v17, v14
	v_fma_f32 v13, -v13, v16, v15
	s_delay_alu instid0(VALU_DEP_1) | instskip(NEXT) | instid1(VALU_DEP_1)
	v_div_fmas_f32 v13, v13, v14, v16
	v_div_fixup_f32 v12, v13, v11, v12
	s_delay_alu instid0(VALU_DEP_1) | instskip(NEXT) | instid1(VALU_DEP_1)
	v_minmax_f32 v12, v12, s7, 0xc3e00000
	v_and_b32_e32 v13, 0x7fffffff, v12
	s_delay_alu instid0(VALU_DEP_1)
	v_cmpx_gt_u32_e32 0x43f00000, v13
	s_cbranch_execz .LBB75_94
; %bb.89:                               ;   in Loop: Header=BB75_57 Depth=1
	s_mov_b32 s15, exec_lo
                                        ; implicit-def: $vgpr8
	v_cmpx_lt_u32_e32 0x3c7fffff, v13
	s_xor_b32 s15, exec_lo, s15
; %bb.90:                               ;   in Loop: Header=BB75_57 Depth=1
	v_bfe_u32 v8, v12, 20, 1
	s_delay_alu instid0(VALU_DEP_1) | instskip(NEXT) | instid1(VALU_DEP_1)
	v_add3_u32 v8, v12, v8, 0x407ffff
	v_lshrrev_b32_e32 v8, 20, v8
; %bb.91:                               ;   in Loop: Header=BB75_57 Depth=1
	s_and_not1_saveexec_b32 s15, s15
; %bb.92:                               ;   in Loop: Header=BB75_57 Depth=1
	v_add_f32_e64 v8, 0x46800000, |v12|
; %bb.93:                               ;   in Loop: Header=BB75_57 Depth=1
	s_or_b32 exec_lo, exec_lo, s15
.LBB75_94:                              ;   in Loop: Header=BB75_57 Depth=1
	s_delay_alu instid0(SALU_CYCLE_1) | instskip(SKIP_3) | instid1(VALU_DEP_2)
	s_or_b32 exec_lo, exec_lo, s13
	v_alignbit_b32 v6, v7, v6, 16
	v_alignbit_b32 v4, v5, v4, 16
	s_mov_b32 s13, exec_lo
	v_and_b32_e32 v6, 0xffff0000, v6
	s_delay_alu instid0(VALU_DEP_2) | instskip(NEXT) | instid1(VALU_DEP_2)
	v_and_b32_e32 v4, 0xffff0000, v4
	v_mul_f32_e32 v6, v28, v6
	s_delay_alu instid0(VALU_DEP_1) | instskip(NEXT) | instid1(VALU_DEP_1)
	v_bfe_u32 v13, v6, 16, 1
	v_add3_u32 v13, v6, v13, 0x7fff
	s_delay_alu instid0(VALU_DEP_1) | instskip(SKIP_1) | instid1(VALU_DEP_2)
	v_and_b32_e32 v13, 0xffff0000, v13
	v_cmp_o_f32_e32 vcc_lo, v6, v6
	v_cndmask_b32_e32 v6, 0x7fc00000, v13, vcc_lo
	s_delay_alu instid0(VALU_DEP_1) | instskip(NEXT) | instid1(VALU_DEP_1)
	v_mul_f32_e32 v4, v6, v4
	v_bfe_u32 v6, v4, 16, 1
	v_cmp_o_f32_e32 vcc_lo, v4, v4
	s_delay_alu instid0(VALU_DEP_2) | instskip(NEXT) | instid1(VALU_DEP_1)
	v_add3_u32 v6, v4, v6, 0x7fff
	v_and_b32_e32 v6, 0xffff0000, v6
	s_delay_alu instid0(VALU_DEP_1) | instskip(NEXT) | instid1(VALU_DEP_1)
	v_cndmask_b32_e32 v4, 0x7fc00000, v6, vcc_lo
	v_div_scale_f32 v6, null, v11, v11, v4
	v_div_scale_f32 v15, vcc_lo, v4, v11, v4
	s_delay_alu instid0(VALU_DEP_2) | instskip(SKIP_2) | instid1(VALU_DEP_1)
	v_rcp_f32_e32 v13, v6
	s_waitcnt_depctr 0xfff
	v_fma_f32 v14, -v6, v13, 1.0
	v_fmac_f32_e32 v13, v14, v13
	s_delay_alu instid0(VALU_DEP_1) | instskip(NEXT) | instid1(VALU_DEP_1)
	v_mul_f32_e32 v14, v15, v13
	v_fma_f32 v16, -v6, v14, v15
	s_delay_alu instid0(VALU_DEP_1) | instskip(NEXT) | instid1(VALU_DEP_1)
	v_fmac_f32_e32 v14, v16, v13
	v_fma_f32 v6, -v6, v14, v15
	s_delay_alu instid0(VALU_DEP_1) | instskip(NEXT) | instid1(VALU_DEP_1)
	v_div_fmas_f32 v6, v6, v13, v14
	v_div_fixup_f32 v4, v6, v11, v4
	v_mov_b32_e32 v6, 0x7f
	s_delay_alu instid0(VALU_DEP_2) | instskip(SKIP_1) | instid1(VALU_DEP_2)
	v_minmax_f32 v13, v4, s7, 0xc3e00000
	v_mov_b32_e32 v4, 0x7f
	v_and_b32_e32 v14, 0x7fffffff, v13
	s_delay_alu instid0(VALU_DEP_1)
	v_cmpx_gt_u32_e32 0x43f00000, v14
	s_cbranch_execz .LBB75_100
; %bb.95:                               ;   in Loop: Header=BB75_57 Depth=1
	s_mov_b32 s15, exec_lo
                                        ; implicit-def: $vgpr6
	v_cmpx_lt_u32_e32 0x3c7fffff, v14
	s_xor_b32 s15, exec_lo, s15
; %bb.96:                               ;   in Loop: Header=BB75_57 Depth=1
	v_bfe_u32 v6, v13, 20, 1
	s_delay_alu instid0(VALU_DEP_1) | instskip(NEXT) | instid1(VALU_DEP_1)
	v_add3_u32 v6, v13, v6, 0x407ffff
	v_lshrrev_b32_e32 v6, 20, v6
; %bb.97:                               ;   in Loop: Header=BB75_57 Depth=1
	s_and_not1_saveexec_b32 s15, s15
; %bb.98:                               ;   in Loop: Header=BB75_57 Depth=1
	v_add_f32_e64 v6, 0x46800000, |v13|
; %bb.99:                               ;   in Loop: Header=BB75_57 Depth=1
	s_or_b32 exec_lo, exec_lo, s15
.LBB75_100:                             ;   in Loop: Header=BB75_57 Depth=1
	s_delay_alu instid0(SALU_CYCLE_1) | instskip(SKIP_3) | instid1(VALU_DEP_2)
	s_or_b32 exec_lo, exec_lo, s13
	v_and_b32_e32 v7, 0xffff0000, v7
	v_and_b32_e32 v5, 0xffff0000, v5
	s_mov_b32 s13, exec_lo
	v_mul_f32_e32 v7, v28, v7
	s_delay_alu instid0(VALU_DEP_1) | instskip(NEXT) | instid1(VALU_DEP_1)
	v_bfe_u32 v14, v7, 16, 1
	v_add3_u32 v14, v7, v14, 0x7fff
	s_delay_alu instid0(VALU_DEP_1) | instskip(SKIP_1) | instid1(VALU_DEP_2)
	v_and_b32_e32 v14, 0xffff0000, v14
	v_cmp_o_f32_e32 vcc_lo, v7, v7
	v_cndmask_b32_e32 v7, 0x7fc00000, v14, vcc_lo
	s_delay_alu instid0(VALU_DEP_1) | instskip(NEXT) | instid1(VALU_DEP_1)
	v_mul_f32_e32 v5, v7, v5
	v_bfe_u32 v7, v5, 16, 1
	v_cmp_o_f32_e32 vcc_lo, v5, v5
	s_delay_alu instid0(VALU_DEP_2) | instskip(NEXT) | instid1(VALU_DEP_1)
	v_add3_u32 v7, v5, v7, 0x7fff
	v_and_b32_e32 v7, 0xffff0000, v7
	s_delay_alu instid0(VALU_DEP_1) | instskip(NEXT) | instid1(VALU_DEP_1)
	v_cndmask_b32_e32 v5, 0x7fc00000, v7, vcc_lo
	v_div_scale_f32 v7, null, v11, v11, v5
	s_delay_alu instid0(VALU_DEP_1) | instskip(SKIP_2) | instid1(VALU_DEP_1)
	v_rcp_f32_e32 v14, v7
	s_waitcnt_depctr 0xfff
	v_fma_f32 v15, -v7, v14, 1.0
	v_fmac_f32_e32 v14, v15, v14
	v_div_scale_f32 v15, vcc_lo, v5, v11, v5
	s_delay_alu instid0(VALU_DEP_1) | instskip(NEXT) | instid1(VALU_DEP_1)
	v_mul_f32_e32 v16, v15, v14
	v_fma_f32 v17, -v7, v16, v15
	s_delay_alu instid0(VALU_DEP_1) | instskip(NEXT) | instid1(VALU_DEP_1)
	v_fmac_f32_e32 v16, v17, v14
	v_fma_f32 v7, -v7, v16, v15
	s_delay_alu instid0(VALU_DEP_1) | instskip(NEXT) | instid1(VALU_DEP_1)
	v_div_fmas_f32 v7, v7, v14, v16
	v_div_fixup_f32 v5, v7, v11, v5
	s_delay_alu instid0(VALU_DEP_1) | instskip(NEXT) | instid1(VALU_DEP_1)
	v_minmax_f32 v5, v5, s7, 0xc3e00000
	v_and_b32_e32 v7, 0x7fffffff, v5
	s_delay_alu instid0(VALU_DEP_1)
	v_cmpx_gt_u32_e32 0x43f00000, v7
	s_cbranch_execz .LBB75_106
; %bb.101:                              ;   in Loop: Header=BB75_57 Depth=1
	s_mov_b32 s15, exec_lo
                                        ; implicit-def: $vgpr4
	v_cmpx_lt_u32_e32 0x3c7fffff, v7
	s_xor_b32 s15, exec_lo, s15
; %bb.102:                              ;   in Loop: Header=BB75_57 Depth=1
	v_bfe_u32 v4, v5, 20, 1
	s_delay_alu instid0(VALU_DEP_1) | instskip(NEXT) | instid1(VALU_DEP_1)
	v_add3_u32 v4, v5, v4, 0x407ffff
	v_lshrrev_b32_e32 v4, 20, v4
; %bb.103:                              ;   in Loop: Header=BB75_57 Depth=1
	s_and_not1_saveexec_b32 s15, s15
; %bb.104:                              ;   in Loop: Header=BB75_57 Depth=1
	v_add_f32_e64 v4, 0x46800000, |v5|
; %bb.105:                              ;   in Loop: Header=BB75_57 Depth=1
	s_or_b32 exec_lo, exec_lo, s15
.LBB75_106:                             ;   in Loop: Header=BB75_57 Depth=1
	s_delay_alu instid0(SALU_CYCLE_1)
	s_or_b32 exec_lo, exec_lo, s13
	v_lshrrev_b32_e32 v7, 24, v13
	v_lshrrev_b32_e32 v11, 24, v12
	;; [unrolled: 1-line block ×3, first 2 shown]
	v_and_b32_e32 v12, 0x80000000, v5
	v_and_b32_e32 v9, 0xff, v9
	;; [unrolled: 1-line block ×4, first 2 shown]
	s_mov_b32 s15, -1
	s_mov_b32 s13, exec_lo
	v_and_or_b32 v9, 0x80, v10, v9
	v_and_or_b32 v6, 0xff, v6, v7
	v_lshlrev_b32_e32 v7, 24, v4
	v_and_or_b32 v8, 0xff, v8, v11
	v_lshlrev_b64 v[4:5], 2, v[2:3]
	v_add_nc_u32_e32 v3, s5, v0
	v_lshlrev_b32_e32 v6, 16, v6
	s_delay_alu instid0(VALU_DEP_4) | instskip(NEXT) | instid1(VALU_DEP_4)
	v_lshlrev_b32_e32 v8, 8, v8
	v_add_co_u32 v4, vcc_lo, s2, v4
	s_delay_alu instid0(VALU_DEP_3) | instskip(SKIP_1) | instid1(VALU_DEP_2)
	v_or3_b32 v6, v12, v7, v6
	v_add_co_ci_u32_e32 v5, vcc_lo, s3, v5, vcc_lo
	v_or3_b32 v6, v6, v8, v9
	global_store_b32 v[4:5], v6, off
	v_cmpx_gt_u32_e64 s12, v3
	s_cbranch_execz .LBB75_55
; %bb.107:                              ;   in Loop: Header=BB75_57 Depth=1
	v_lshrrev_b32_e32 v9, 3, v3
	v_mov_b32_e32 v4, v1
	s_mov_b32 s15, exec_lo
	s_delay_alu instid0(VALU_DEP_2) | instskip(NEXT) | instid1(VALU_DEP_2)
	v_and_b32_e32 v9, 0x7fffffc, v9
	v_lshlrev_b64 v[5:6], 3, v[3:4]
	global_load_b32 v12, v9, s[0:1]
	v_add_co_u32 v7, vcc_lo, s14, v5
	v_add_co_ci_u32_e32 v8, vcc_lo, s26, v6, vcc_lo
	v_add_co_u32 v5, vcc_lo, s10, v5
	v_add_co_ci_u32_e32 v6, vcc_lo, s11, v6, vcc_lo
	global_load_b64 v[7:8], v[7:8], off
	global_load_b64 v[5:6], v[5:6], off
	s_waitcnt vmcnt(1)
	v_lshlrev_b32_e32 v9, 16, v7
	s_waitcnt vmcnt(0)
	v_lshlrev_b32_e32 v11, 16, v5
	s_delay_alu instid0(VALU_DEP_2) | instskip(NEXT) | instid1(VALU_DEP_1)
	v_mul_f32_e32 v9, v28, v9
	v_bfe_u32 v10, v9, 16, 1
	s_delay_alu instid0(VALU_DEP_1) | instskip(NEXT) | instid1(VALU_DEP_1)
	v_add3_u32 v10, v9, v10, 0x7fff
	v_and_b32_e32 v10, 0xffff0000, v10
	v_cmp_o_f32_e32 vcc_lo, v9, v9
	s_delay_alu instid0(VALU_DEP_2) | instskip(NEXT) | instid1(VALU_DEP_1)
	v_cndmask_b32_e32 v9, 0x7fc00000, v10, vcc_lo
	v_mul_f32_e32 v9, v9, v11
	s_delay_alu instid0(VALU_DEP_1) | instskip(NEXT) | instid1(VALU_DEP_1)
	v_bfe_u32 v10, v9, 16, 1
	v_add3_u32 v10, v9, v10, 0x7fff
	s_delay_alu instid0(VALU_DEP_1) | instskip(SKIP_1) | instid1(VALU_DEP_2)
	v_and_b32_e32 v10, 0xffff0000, v10
	v_cmp_o_f32_e32 vcc_lo, v9, v9
	v_cndmask_b32_e32 v9, 0x7fc00000, v10, vcc_lo
	s_delay_alu instid0(VALU_DEP_1) | instskip(SKIP_1) | instid1(VALU_DEP_2)
	v_div_scale_f32 v10, null, v12, v12, v9
	v_div_scale_f32 v14, vcc_lo, v9, v12, v9
	v_rcp_f32_e32 v11, v10
	s_waitcnt_depctr 0xfff
	v_fma_f32 v13, -v10, v11, 1.0
	s_delay_alu instid0(VALU_DEP_1) | instskip(NEXT) | instid1(VALU_DEP_1)
	v_fmac_f32_e32 v11, v13, v11
	v_mul_f32_e32 v13, v14, v11
	s_delay_alu instid0(VALU_DEP_1) | instskip(NEXT) | instid1(VALU_DEP_1)
	v_fma_f32 v15, -v10, v13, v14
	v_fmac_f32_e32 v13, v15, v11
	s_delay_alu instid0(VALU_DEP_1) | instskip(NEXT) | instid1(VALU_DEP_1)
	v_fma_f32 v10, -v10, v13, v14
	v_div_fmas_f32 v10, v10, v11, v13
	s_delay_alu instid0(VALU_DEP_1) | instskip(SKIP_1) | instid1(VALU_DEP_2)
	v_div_fixup_f32 v9, v10, v12, v9
	v_mov_b32_e32 v10, 0x7f
	v_minmax_f32 v11, v9, s7, 0xc3e00000
	v_mov_b32_e32 v9, 0x7f
	s_delay_alu instid0(VALU_DEP_2) | instskip(NEXT) | instid1(VALU_DEP_1)
	v_and_b32_e32 v13, 0x7fffffff, v11
	v_cmpx_gt_u32_e32 0x43f00000, v13
	s_cbranch_execz .LBB75_113
; %bb.108:                              ;   in Loop: Header=BB75_57 Depth=1
	s_mov_b32 s16, exec_lo
                                        ; implicit-def: $vgpr10
	v_cmpx_lt_u32_e32 0x3c7fffff, v13
	s_xor_b32 s16, exec_lo, s16
; %bb.109:                              ;   in Loop: Header=BB75_57 Depth=1
	v_bfe_u32 v10, v11, 20, 1
	s_delay_alu instid0(VALU_DEP_1) | instskip(NEXT) | instid1(VALU_DEP_1)
	v_add3_u32 v10, v11, v10, 0x407ffff
	v_lshrrev_b32_e32 v10, 20, v10
; %bb.110:                              ;   in Loop: Header=BB75_57 Depth=1
	s_and_not1_saveexec_b32 s16, s16
; %bb.111:                              ;   in Loop: Header=BB75_57 Depth=1
	v_add_f32_e64 v10, 0x46800000, |v11|
; %bb.112:                              ;   in Loop: Header=BB75_57 Depth=1
	s_or_b32 exec_lo, exec_lo, s16
.LBB75_113:                             ;   in Loop: Header=BB75_57 Depth=1
	s_delay_alu instid0(SALU_CYCLE_1) | instskip(SKIP_3) | instid1(VALU_DEP_2)
	s_or_b32 exec_lo, exec_lo, s15
	v_and_b32_e32 v13, 0xffff0000, v7
	v_and_b32_e32 v15, 0xffff0000, v5
	s_mov_b32 s15, exec_lo
	v_mul_f32_e32 v13, v28, v13
	s_delay_alu instid0(VALU_DEP_1) | instskip(NEXT) | instid1(VALU_DEP_1)
	v_bfe_u32 v14, v13, 16, 1
	v_add3_u32 v14, v13, v14, 0x7fff
	s_delay_alu instid0(VALU_DEP_1) | instskip(SKIP_1) | instid1(VALU_DEP_2)
	v_and_b32_e32 v14, 0xffff0000, v14
	v_cmp_o_f32_e32 vcc_lo, v13, v13
	v_cndmask_b32_e32 v13, 0x7fc00000, v14, vcc_lo
	s_delay_alu instid0(VALU_DEP_1) | instskip(NEXT) | instid1(VALU_DEP_1)
	v_mul_f32_e32 v13, v13, v15
	v_bfe_u32 v14, v13, 16, 1
	s_delay_alu instid0(VALU_DEP_1) | instskip(NEXT) | instid1(VALU_DEP_1)
	v_add3_u32 v14, v13, v14, 0x7fff
	v_and_b32_e32 v14, 0xffff0000, v14
	v_cmp_o_f32_e32 vcc_lo, v13, v13
	s_delay_alu instid0(VALU_DEP_2) | instskip(NEXT) | instid1(VALU_DEP_1)
	v_cndmask_b32_e32 v13, 0x7fc00000, v14, vcc_lo
	v_div_scale_f32 v14, null, v12, v12, v13
	s_delay_alu instid0(VALU_DEP_1) | instskip(SKIP_2) | instid1(VALU_DEP_1)
	v_rcp_f32_e32 v15, v14
	s_waitcnt_depctr 0xfff
	v_fma_f32 v16, -v14, v15, 1.0
	v_fmac_f32_e32 v15, v16, v15
	v_div_scale_f32 v16, vcc_lo, v13, v12, v13
	s_delay_alu instid0(VALU_DEP_1) | instskip(NEXT) | instid1(VALU_DEP_1)
	v_mul_f32_e32 v17, v16, v15
	v_fma_f32 v18, -v14, v17, v16
	s_delay_alu instid0(VALU_DEP_1) | instskip(NEXT) | instid1(VALU_DEP_1)
	v_fmac_f32_e32 v17, v18, v15
	v_fma_f32 v14, -v14, v17, v16
	s_delay_alu instid0(VALU_DEP_1) | instskip(NEXT) | instid1(VALU_DEP_1)
	v_div_fmas_f32 v14, v14, v15, v17
	v_div_fixup_f32 v13, v14, v12, v13
	s_delay_alu instid0(VALU_DEP_1) | instskip(NEXT) | instid1(VALU_DEP_1)
	v_minmax_f32 v13, v13, s7, 0xc3e00000
	v_and_b32_e32 v14, 0x7fffffff, v13
	s_delay_alu instid0(VALU_DEP_1)
	v_cmpx_gt_u32_e32 0x43f00000, v14
	s_cbranch_execz .LBB75_119
; %bb.114:                              ;   in Loop: Header=BB75_57 Depth=1
	s_mov_b32 s16, exec_lo
                                        ; implicit-def: $vgpr9
	v_cmpx_lt_u32_e32 0x3c7fffff, v14
	s_xor_b32 s16, exec_lo, s16
; %bb.115:                              ;   in Loop: Header=BB75_57 Depth=1
	v_bfe_u32 v9, v13, 20, 1
	s_delay_alu instid0(VALU_DEP_1) | instskip(NEXT) | instid1(VALU_DEP_1)
	v_add3_u32 v9, v13, v9, 0x407ffff
	v_lshrrev_b32_e32 v9, 20, v9
; %bb.116:                              ;   in Loop: Header=BB75_57 Depth=1
	s_and_not1_saveexec_b32 s16, s16
; %bb.117:                              ;   in Loop: Header=BB75_57 Depth=1
	v_add_f32_e64 v9, 0x46800000, |v13|
; %bb.118:                              ;   in Loop: Header=BB75_57 Depth=1
	s_or_b32 exec_lo, exec_lo, s16
.LBB75_119:                             ;   in Loop: Header=BB75_57 Depth=1
	s_delay_alu instid0(SALU_CYCLE_1) | instskip(SKIP_3) | instid1(VALU_DEP_2)
	s_or_b32 exec_lo, exec_lo, s15
	v_alignbit_b32 v7, v8, v7, 16
	v_alignbit_b32 v5, v6, v5, 16
	s_mov_b32 s15, exec_lo
	v_and_b32_e32 v7, 0xffff0000, v7
	s_delay_alu instid0(VALU_DEP_2) | instskip(NEXT) | instid1(VALU_DEP_2)
	v_and_b32_e32 v5, 0xffff0000, v5
	v_mul_f32_e32 v7, v28, v7
	s_delay_alu instid0(VALU_DEP_1) | instskip(NEXT) | instid1(VALU_DEP_1)
	v_bfe_u32 v14, v7, 16, 1
	v_add3_u32 v14, v7, v14, 0x7fff
	s_delay_alu instid0(VALU_DEP_1) | instskip(SKIP_1) | instid1(VALU_DEP_2)
	v_and_b32_e32 v14, 0xffff0000, v14
	v_cmp_o_f32_e32 vcc_lo, v7, v7
	v_cndmask_b32_e32 v7, 0x7fc00000, v14, vcc_lo
	s_delay_alu instid0(VALU_DEP_1) | instskip(NEXT) | instid1(VALU_DEP_1)
	v_mul_f32_e32 v5, v7, v5
	v_bfe_u32 v7, v5, 16, 1
	v_cmp_o_f32_e32 vcc_lo, v5, v5
	s_delay_alu instid0(VALU_DEP_2) | instskip(NEXT) | instid1(VALU_DEP_1)
	v_add3_u32 v7, v5, v7, 0x7fff
	v_and_b32_e32 v7, 0xffff0000, v7
	s_delay_alu instid0(VALU_DEP_1) | instskip(NEXT) | instid1(VALU_DEP_1)
	v_cndmask_b32_e32 v5, 0x7fc00000, v7, vcc_lo
	v_div_scale_f32 v7, null, v12, v12, v5
	v_div_scale_f32 v16, vcc_lo, v5, v12, v5
	s_delay_alu instid0(VALU_DEP_2) | instskip(SKIP_2) | instid1(VALU_DEP_1)
	v_rcp_f32_e32 v14, v7
	s_waitcnt_depctr 0xfff
	v_fma_f32 v15, -v7, v14, 1.0
	v_fmac_f32_e32 v14, v15, v14
	s_delay_alu instid0(VALU_DEP_1) | instskip(NEXT) | instid1(VALU_DEP_1)
	v_mul_f32_e32 v15, v16, v14
	v_fma_f32 v17, -v7, v15, v16
	s_delay_alu instid0(VALU_DEP_1) | instskip(NEXT) | instid1(VALU_DEP_1)
	v_fmac_f32_e32 v15, v17, v14
	v_fma_f32 v7, -v7, v15, v16
	s_delay_alu instid0(VALU_DEP_1) | instskip(NEXT) | instid1(VALU_DEP_1)
	v_div_fmas_f32 v7, v7, v14, v15
	v_div_fixup_f32 v5, v7, v12, v5
	v_mov_b32_e32 v7, 0x7f
	s_delay_alu instid0(VALU_DEP_2) | instskip(SKIP_1) | instid1(VALU_DEP_2)
	v_minmax_f32 v14, v5, s7, 0xc3e00000
	v_mov_b32_e32 v5, 0x7f
	v_and_b32_e32 v15, 0x7fffffff, v14
	s_delay_alu instid0(VALU_DEP_1)
	v_cmpx_gt_u32_e32 0x43f00000, v15
	s_cbranch_execz .LBB75_125
; %bb.120:                              ;   in Loop: Header=BB75_57 Depth=1
	s_mov_b32 s16, exec_lo
                                        ; implicit-def: $vgpr7
	v_cmpx_lt_u32_e32 0x3c7fffff, v15
	s_xor_b32 s16, exec_lo, s16
; %bb.121:                              ;   in Loop: Header=BB75_57 Depth=1
	v_bfe_u32 v7, v14, 20, 1
	s_delay_alu instid0(VALU_DEP_1) | instskip(NEXT) | instid1(VALU_DEP_1)
	v_add3_u32 v7, v14, v7, 0x407ffff
	v_lshrrev_b32_e32 v7, 20, v7
; %bb.122:                              ;   in Loop: Header=BB75_57 Depth=1
	s_and_not1_saveexec_b32 s16, s16
; %bb.123:                              ;   in Loop: Header=BB75_57 Depth=1
	v_add_f32_e64 v7, 0x46800000, |v14|
; %bb.124:                              ;   in Loop: Header=BB75_57 Depth=1
	s_or_b32 exec_lo, exec_lo, s16
.LBB75_125:                             ;   in Loop: Header=BB75_57 Depth=1
	s_delay_alu instid0(SALU_CYCLE_1) | instskip(SKIP_3) | instid1(VALU_DEP_2)
	s_or_b32 exec_lo, exec_lo, s15
	v_and_b32_e32 v8, 0xffff0000, v8
	v_and_b32_e32 v6, 0xffff0000, v6
	s_mov_b32 s15, exec_lo
	v_mul_f32_e32 v8, v28, v8
	s_delay_alu instid0(VALU_DEP_1) | instskip(NEXT) | instid1(VALU_DEP_1)
	v_bfe_u32 v15, v8, 16, 1
	v_add3_u32 v15, v8, v15, 0x7fff
	s_delay_alu instid0(VALU_DEP_1) | instskip(SKIP_1) | instid1(VALU_DEP_2)
	v_and_b32_e32 v15, 0xffff0000, v15
	v_cmp_o_f32_e32 vcc_lo, v8, v8
	v_cndmask_b32_e32 v8, 0x7fc00000, v15, vcc_lo
	s_delay_alu instid0(VALU_DEP_1) | instskip(NEXT) | instid1(VALU_DEP_1)
	v_mul_f32_e32 v6, v8, v6
	v_bfe_u32 v8, v6, 16, 1
	v_cmp_o_f32_e32 vcc_lo, v6, v6
	s_delay_alu instid0(VALU_DEP_2) | instskip(NEXT) | instid1(VALU_DEP_1)
	v_add3_u32 v8, v6, v8, 0x7fff
	v_and_b32_e32 v8, 0xffff0000, v8
	s_delay_alu instid0(VALU_DEP_1) | instskip(NEXT) | instid1(VALU_DEP_1)
	v_cndmask_b32_e32 v6, 0x7fc00000, v8, vcc_lo
	v_div_scale_f32 v8, null, v12, v12, v6
	s_delay_alu instid0(VALU_DEP_1) | instskip(SKIP_2) | instid1(VALU_DEP_1)
	v_rcp_f32_e32 v15, v8
	s_waitcnt_depctr 0xfff
	v_fma_f32 v16, -v8, v15, 1.0
	v_fmac_f32_e32 v15, v16, v15
	v_div_scale_f32 v16, vcc_lo, v6, v12, v6
	s_delay_alu instid0(VALU_DEP_1) | instskip(NEXT) | instid1(VALU_DEP_1)
	v_mul_f32_e32 v17, v16, v15
	v_fma_f32 v18, -v8, v17, v16
	s_delay_alu instid0(VALU_DEP_1) | instskip(NEXT) | instid1(VALU_DEP_1)
	v_fmac_f32_e32 v17, v18, v15
	v_fma_f32 v8, -v8, v17, v16
	s_delay_alu instid0(VALU_DEP_1) | instskip(NEXT) | instid1(VALU_DEP_1)
	v_div_fmas_f32 v8, v8, v15, v17
	v_div_fixup_f32 v6, v8, v12, v6
	s_delay_alu instid0(VALU_DEP_1) | instskip(NEXT) | instid1(VALU_DEP_1)
	v_minmax_f32 v6, v6, s7, 0xc3e00000
	v_and_b32_e32 v8, 0x7fffffff, v6
	s_delay_alu instid0(VALU_DEP_1)
	v_cmpx_gt_u32_e32 0x43f00000, v8
	s_cbranch_execz .LBB75_131
; %bb.126:                              ;   in Loop: Header=BB75_57 Depth=1
	s_mov_b32 s16, exec_lo
                                        ; implicit-def: $vgpr5
	v_cmpx_lt_u32_e32 0x3c7fffff, v8
	s_xor_b32 s16, exec_lo, s16
; %bb.127:                              ;   in Loop: Header=BB75_57 Depth=1
	v_bfe_u32 v5, v6, 20, 1
	s_delay_alu instid0(VALU_DEP_1) | instskip(NEXT) | instid1(VALU_DEP_1)
	v_add3_u32 v5, v6, v5, 0x407ffff
	v_lshrrev_b32_e32 v5, 20, v5
; %bb.128:                              ;   in Loop: Header=BB75_57 Depth=1
	s_and_not1_saveexec_b32 s16, s16
; %bb.129:                              ;   in Loop: Header=BB75_57 Depth=1
	v_add_f32_e64 v5, 0x46800000, |v6|
; %bb.130:                              ;   in Loop: Header=BB75_57 Depth=1
	s_or_b32 exec_lo, exec_lo, s16
.LBB75_131:                             ;   in Loop: Header=BB75_57 Depth=1
	s_delay_alu instid0(SALU_CYCLE_1)
	s_or_b32 exec_lo, exec_lo, s15
	v_lshrrev_b32_e32 v8, 24, v14
	v_lshrrev_b32_e32 v12, 24, v13
	v_lshrrev_b32_e32 v11, 24, v11
	v_lshlrev_b32_e32 v5, 24, v5
	v_and_b32_e32 v6, 0x80000000, v6
	v_and_b32_e32 v8, 0x80, v8
	;; [unrolled: 1-line block ×3, first 2 shown]
	v_lshlrev_b64 v[3:4], 2, v[3:4]
	v_add_nc_u32_e32 v0, s4, v0
	s_mov_b32 s16, -1
	v_and_or_b32 v7, 0xff, v7, v8
	v_and_b32_e32 v8, 0xff, v10
	v_and_or_b32 v9, 0xff, v9, v12
	v_add_co_u32 v3, vcc_lo, s2, v3
	s_delay_alu instid0(VALU_DEP_4) | instskip(NEXT) | instid1(VALU_DEP_4)
	v_lshlrev_b32_e32 v7, 16, v7
	v_and_or_b32 v8, 0x80, v11, v8
	s_delay_alu instid0(VALU_DEP_4) | instskip(SKIP_1) | instid1(VALU_DEP_4)
	v_lshlrev_b32_e32 v9, 8, v9
	v_add_co_ci_u32_e32 v4, vcc_lo, s3, v4, vcc_lo
	v_or3_b32 v5, v6, v5, v7
	s_mov_b32 s15, exec_lo
	s_delay_alu instid0(VALU_DEP_1)
	v_or3_b32 v5, v5, v9, v8
	global_store_b32 v[3:4], v5, off
	v_cmpx_gt_u32_e64 s12, v0
	s_cbranch_execz .LBB75_54
; %bb.132:                              ;   in Loop: Header=BB75_57 Depth=1
	v_lshlrev_b64 v[3:4], 3, v[0:1]
	v_lshrrev_b32_e32 v7, 3, v0
	s_mov_b32 s16, exec_lo
	s_delay_alu instid0(VALU_DEP_1) | instskip(NEXT) | instid1(VALU_DEP_3)
	v_and_b32_e32 v7, 0x7fffffc, v7
	v_add_co_u32 v5, vcc_lo, s14, v3
	s_delay_alu instid0(VALU_DEP_4)
	v_add_co_ci_u32_e32 v6, vcc_lo, s26, v4, vcc_lo
	v_add_co_u32 v3, vcc_lo, s10, v3
	v_add_co_ci_u32_e32 v4, vcc_lo, s11, v4, vcc_lo
	global_load_b64 v[5:6], v[5:6], off
	global_load_b32 v10, v7, s[0:1]
	global_load_b64 v[3:4], v[3:4], off
	s_waitcnt vmcnt(2)
	v_lshlrev_b32_e32 v7, 16, v5
	s_waitcnt vmcnt(0)
	v_lshlrev_b32_e32 v9, 16, v3
	s_delay_alu instid0(VALU_DEP_2) | instskip(NEXT) | instid1(VALU_DEP_1)
	v_mul_f32_e32 v7, v28, v7
	v_bfe_u32 v8, v7, 16, 1
	s_delay_alu instid0(VALU_DEP_1) | instskip(NEXT) | instid1(VALU_DEP_1)
	v_add3_u32 v8, v7, v8, 0x7fff
	v_and_b32_e32 v8, 0xffff0000, v8
	v_cmp_o_f32_e32 vcc_lo, v7, v7
	s_delay_alu instid0(VALU_DEP_2) | instskip(NEXT) | instid1(VALU_DEP_1)
	v_cndmask_b32_e32 v7, 0x7fc00000, v8, vcc_lo
	v_mul_f32_e32 v7, v7, v9
	s_delay_alu instid0(VALU_DEP_1) | instskip(NEXT) | instid1(VALU_DEP_1)
	v_bfe_u32 v8, v7, 16, 1
	v_add3_u32 v8, v7, v8, 0x7fff
	s_delay_alu instid0(VALU_DEP_1) | instskip(SKIP_1) | instid1(VALU_DEP_2)
	v_and_b32_e32 v8, 0xffff0000, v8
	v_cmp_o_f32_e32 vcc_lo, v7, v7
	v_cndmask_b32_e32 v7, 0x7fc00000, v8, vcc_lo
	s_delay_alu instid0(VALU_DEP_1) | instskip(SKIP_1) | instid1(VALU_DEP_2)
	v_div_scale_f32 v8, null, v10, v10, v7
	v_div_scale_f32 v12, vcc_lo, v7, v10, v7
	v_rcp_f32_e32 v9, v8
	s_waitcnt_depctr 0xfff
	v_fma_f32 v11, -v8, v9, 1.0
	s_delay_alu instid0(VALU_DEP_1) | instskip(NEXT) | instid1(VALU_DEP_1)
	v_fmac_f32_e32 v9, v11, v9
	v_mul_f32_e32 v11, v12, v9
	s_delay_alu instid0(VALU_DEP_1) | instskip(NEXT) | instid1(VALU_DEP_1)
	v_fma_f32 v13, -v8, v11, v12
	v_fmac_f32_e32 v11, v13, v9
	s_delay_alu instid0(VALU_DEP_1) | instskip(NEXT) | instid1(VALU_DEP_1)
	v_fma_f32 v8, -v8, v11, v12
	v_div_fmas_f32 v8, v8, v9, v11
	s_delay_alu instid0(VALU_DEP_1) | instskip(SKIP_1) | instid1(VALU_DEP_2)
	v_div_fixup_f32 v7, v8, v10, v7
	v_mov_b32_e32 v8, 0x7f
	v_minmax_f32 v9, v7, s7, 0xc3e00000
	v_mov_b32_e32 v7, 0x7f
	s_delay_alu instid0(VALU_DEP_2) | instskip(NEXT) | instid1(VALU_DEP_1)
	v_and_b32_e32 v11, 0x7fffffff, v9
	v_cmpx_gt_u32_e32 0x43f00000, v11
	s_cbranch_execz .LBB75_138
; %bb.133:                              ;   in Loop: Header=BB75_57 Depth=1
	s_mov_b32 s17, exec_lo
                                        ; implicit-def: $vgpr8
	v_cmpx_lt_u32_e32 0x3c7fffff, v11
	s_xor_b32 s17, exec_lo, s17
; %bb.134:                              ;   in Loop: Header=BB75_57 Depth=1
	v_bfe_u32 v8, v9, 20, 1
	s_delay_alu instid0(VALU_DEP_1) | instskip(NEXT) | instid1(VALU_DEP_1)
	v_add3_u32 v8, v9, v8, 0x407ffff
	v_lshrrev_b32_e32 v8, 20, v8
; %bb.135:                              ;   in Loop: Header=BB75_57 Depth=1
	s_and_not1_saveexec_b32 s17, s17
; %bb.136:                              ;   in Loop: Header=BB75_57 Depth=1
	v_add_f32_e64 v8, 0x46800000, |v9|
; %bb.137:                              ;   in Loop: Header=BB75_57 Depth=1
	s_or_b32 exec_lo, exec_lo, s17
.LBB75_138:                             ;   in Loop: Header=BB75_57 Depth=1
	s_delay_alu instid0(SALU_CYCLE_1) | instskip(SKIP_3) | instid1(VALU_DEP_2)
	s_or_b32 exec_lo, exec_lo, s16
	v_and_b32_e32 v11, 0xffff0000, v5
	v_and_b32_e32 v13, 0xffff0000, v3
	s_mov_b32 s16, exec_lo
	v_mul_f32_e32 v11, v28, v11
	s_delay_alu instid0(VALU_DEP_1) | instskip(NEXT) | instid1(VALU_DEP_1)
	v_bfe_u32 v12, v11, 16, 1
	v_add3_u32 v12, v11, v12, 0x7fff
	s_delay_alu instid0(VALU_DEP_1) | instskip(SKIP_1) | instid1(VALU_DEP_2)
	v_and_b32_e32 v12, 0xffff0000, v12
	v_cmp_o_f32_e32 vcc_lo, v11, v11
	v_cndmask_b32_e32 v11, 0x7fc00000, v12, vcc_lo
	s_delay_alu instid0(VALU_DEP_1) | instskip(NEXT) | instid1(VALU_DEP_1)
	v_mul_f32_e32 v11, v11, v13
	v_bfe_u32 v12, v11, 16, 1
	s_delay_alu instid0(VALU_DEP_1) | instskip(NEXT) | instid1(VALU_DEP_1)
	v_add3_u32 v12, v11, v12, 0x7fff
	v_and_b32_e32 v12, 0xffff0000, v12
	v_cmp_o_f32_e32 vcc_lo, v11, v11
	s_delay_alu instid0(VALU_DEP_2) | instskip(NEXT) | instid1(VALU_DEP_1)
	v_cndmask_b32_e32 v11, 0x7fc00000, v12, vcc_lo
	v_div_scale_f32 v12, null, v10, v10, v11
	s_delay_alu instid0(VALU_DEP_1) | instskip(SKIP_2) | instid1(VALU_DEP_1)
	v_rcp_f32_e32 v13, v12
	s_waitcnt_depctr 0xfff
	v_fma_f32 v14, -v12, v13, 1.0
	v_fmac_f32_e32 v13, v14, v13
	v_div_scale_f32 v14, vcc_lo, v11, v10, v11
	s_delay_alu instid0(VALU_DEP_1) | instskip(NEXT) | instid1(VALU_DEP_1)
	v_mul_f32_e32 v15, v14, v13
	v_fma_f32 v16, -v12, v15, v14
	s_delay_alu instid0(VALU_DEP_1) | instskip(NEXT) | instid1(VALU_DEP_1)
	v_fmac_f32_e32 v15, v16, v13
	v_fma_f32 v12, -v12, v15, v14
	s_delay_alu instid0(VALU_DEP_1) | instskip(NEXT) | instid1(VALU_DEP_1)
	v_div_fmas_f32 v12, v12, v13, v15
	v_div_fixup_f32 v11, v12, v10, v11
	s_delay_alu instid0(VALU_DEP_1) | instskip(NEXT) | instid1(VALU_DEP_1)
	v_minmax_f32 v11, v11, s7, 0xc3e00000
	v_and_b32_e32 v12, 0x7fffffff, v11
	s_delay_alu instid0(VALU_DEP_1)
	v_cmpx_gt_u32_e32 0x43f00000, v12
	s_cbranch_execz .LBB75_144
; %bb.139:                              ;   in Loop: Header=BB75_57 Depth=1
	s_mov_b32 s17, exec_lo
                                        ; implicit-def: $vgpr7
	v_cmpx_lt_u32_e32 0x3c7fffff, v12
	s_xor_b32 s17, exec_lo, s17
; %bb.140:                              ;   in Loop: Header=BB75_57 Depth=1
	v_bfe_u32 v7, v11, 20, 1
	s_delay_alu instid0(VALU_DEP_1) | instskip(NEXT) | instid1(VALU_DEP_1)
	v_add3_u32 v7, v11, v7, 0x407ffff
	v_lshrrev_b32_e32 v7, 20, v7
; %bb.141:                              ;   in Loop: Header=BB75_57 Depth=1
	s_and_not1_saveexec_b32 s17, s17
; %bb.142:                              ;   in Loop: Header=BB75_57 Depth=1
	v_add_f32_e64 v7, 0x46800000, |v11|
; %bb.143:                              ;   in Loop: Header=BB75_57 Depth=1
	s_or_b32 exec_lo, exec_lo, s17
.LBB75_144:                             ;   in Loop: Header=BB75_57 Depth=1
	s_delay_alu instid0(SALU_CYCLE_1) | instskip(SKIP_3) | instid1(VALU_DEP_2)
	s_or_b32 exec_lo, exec_lo, s16
	v_alignbit_b32 v5, v6, v5, 16
	v_alignbit_b32 v3, v4, v3, 16
	s_mov_b32 s16, exec_lo
	v_and_b32_e32 v5, 0xffff0000, v5
	s_delay_alu instid0(VALU_DEP_2) | instskip(NEXT) | instid1(VALU_DEP_2)
	v_and_b32_e32 v3, 0xffff0000, v3
	v_mul_f32_e32 v5, v28, v5
	s_delay_alu instid0(VALU_DEP_1) | instskip(NEXT) | instid1(VALU_DEP_1)
	v_bfe_u32 v12, v5, 16, 1
	v_add3_u32 v12, v5, v12, 0x7fff
	s_delay_alu instid0(VALU_DEP_1) | instskip(SKIP_1) | instid1(VALU_DEP_2)
	v_and_b32_e32 v12, 0xffff0000, v12
	v_cmp_o_f32_e32 vcc_lo, v5, v5
	v_cndmask_b32_e32 v5, 0x7fc00000, v12, vcc_lo
	s_delay_alu instid0(VALU_DEP_1) | instskip(NEXT) | instid1(VALU_DEP_1)
	v_mul_f32_e32 v3, v5, v3
	v_bfe_u32 v5, v3, 16, 1
	v_cmp_o_f32_e32 vcc_lo, v3, v3
	s_delay_alu instid0(VALU_DEP_2) | instskip(NEXT) | instid1(VALU_DEP_1)
	v_add3_u32 v5, v3, v5, 0x7fff
	v_and_b32_e32 v5, 0xffff0000, v5
	s_delay_alu instid0(VALU_DEP_1) | instskip(NEXT) | instid1(VALU_DEP_1)
	v_cndmask_b32_e32 v3, 0x7fc00000, v5, vcc_lo
	v_div_scale_f32 v5, null, v10, v10, v3
	v_div_scale_f32 v14, vcc_lo, v3, v10, v3
	s_delay_alu instid0(VALU_DEP_2) | instskip(SKIP_2) | instid1(VALU_DEP_1)
	v_rcp_f32_e32 v12, v5
	s_waitcnt_depctr 0xfff
	v_fma_f32 v13, -v5, v12, 1.0
	v_fmac_f32_e32 v12, v13, v12
	s_delay_alu instid0(VALU_DEP_1) | instskip(NEXT) | instid1(VALU_DEP_1)
	v_mul_f32_e32 v13, v14, v12
	v_fma_f32 v15, -v5, v13, v14
	s_delay_alu instid0(VALU_DEP_1) | instskip(NEXT) | instid1(VALU_DEP_1)
	v_fmac_f32_e32 v13, v15, v12
	v_fma_f32 v5, -v5, v13, v14
	s_delay_alu instid0(VALU_DEP_1) | instskip(NEXT) | instid1(VALU_DEP_1)
	v_div_fmas_f32 v5, v5, v12, v13
	v_div_fixup_f32 v3, v5, v10, v3
	v_mov_b32_e32 v5, 0x7f
	s_delay_alu instid0(VALU_DEP_2) | instskip(SKIP_1) | instid1(VALU_DEP_2)
	v_minmax_f32 v12, v3, s7, 0xc3e00000
	v_mov_b32_e32 v3, 0x7f
	v_and_b32_e32 v13, 0x7fffffff, v12
	s_delay_alu instid0(VALU_DEP_1)
	v_cmpx_gt_u32_e32 0x43f00000, v13
	s_cbranch_execz .LBB75_150
; %bb.145:                              ;   in Loop: Header=BB75_57 Depth=1
	s_mov_b32 s17, exec_lo
                                        ; implicit-def: $vgpr5
	v_cmpx_lt_u32_e32 0x3c7fffff, v13
	s_xor_b32 s17, exec_lo, s17
; %bb.146:                              ;   in Loop: Header=BB75_57 Depth=1
	v_bfe_u32 v5, v12, 20, 1
	s_delay_alu instid0(VALU_DEP_1) | instskip(NEXT) | instid1(VALU_DEP_1)
	v_add3_u32 v5, v12, v5, 0x407ffff
	v_lshrrev_b32_e32 v5, 20, v5
; %bb.147:                              ;   in Loop: Header=BB75_57 Depth=1
	s_and_not1_saveexec_b32 s17, s17
; %bb.148:                              ;   in Loop: Header=BB75_57 Depth=1
	v_add_f32_e64 v5, 0x46800000, |v12|
; %bb.149:                              ;   in Loop: Header=BB75_57 Depth=1
	s_or_b32 exec_lo, exec_lo, s17
.LBB75_150:                             ;   in Loop: Header=BB75_57 Depth=1
	s_delay_alu instid0(SALU_CYCLE_1) | instskip(SKIP_3) | instid1(VALU_DEP_2)
	s_or_b32 exec_lo, exec_lo, s16
	v_and_b32_e32 v6, 0xffff0000, v6
	v_and_b32_e32 v4, 0xffff0000, v4
	s_mov_b32 s16, exec_lo
	v_mul_f32_e32 v6, v28, v6
	s_delay_alu instid0(VALU_DEP_1) | instskip(NEXT) | instid1(VALU_DEP_1)
	v_bfe_u32 v13, v6, 16, 1
	v_add3_u32 v13, v6, v13, 0x7fff
	s_delay_alu instid0(VALU_DEP_1) | instskip(SKIP_1) | instid1(VALU_DEP_2)
	v_and_b32_e32 v13, 0xffff0000, v13
	v_cmp_o_f32_e32 vcc_lo, v6, v6
	v_cndmask_b32_e32 v6, 0x7fc00000, v13, vcc_lo
	s_delay_alu instid0(VALU_DEP_1) | instskip(NEXT) | instid1(VALU_DEP_1)
	v_mul_f32_e32 v4, v6, v4
	v_bfe_u32 v6, v4, 16, 1
	v_cmp_o_f32_e32 vcc_lo, v4, v4
	s_delay_alu instid0(VALU_DEP_2) | instskip(NEXT) | instid1(VALU_DEP_1)
	v_add3_u32 v6, v4, v6, 0x7fff
	v_and_b32_e32 v6, 0xffff0000, v6
	s_delay_alu instid0(VALU_DEP_1) | instskip(NEXT) | instid1(VALU_DEP_1)
	v_cndmask_b32_e32 v4, 0x7fc00000, v6, vcc_lo
	v_div_scale_f32 v6, null, v10, v10, v4
	s_delay_alu instid0(VALU_DEP_1) | instskip(SKIP_2) | instid1(VALU_DEP_1)
	v_rcp_f32_e32 v13, v6
	s_waitcnt_depctr 0xfff
	v_fma_f32 v14, -v6, v13, 1.0
	v_fmac_f32_e32 v13, v14, v13
	v_div_scale_f32 v14, vcc_lo, v4, v10, v4
	s_delay_alu instid0(VALU_DEP_1) | instskip(NEXT) | instid1(VALU_DEP_1)
	v_mul_f32_e32 v15, v14, v13
	v_fma_f32 v16, -v6, v15, v14
	s_delay_alu instid0(VALU_DEP_1) | instskip(NEXT) | instid1(VALU_DEP_1)
	v_fmac_f32_e32 v15, v16, v13
	v_fma_f32 v6, -v6, v15, v14
	s_delay_alu instid0(VALU_DEP_1) | instskip(NEXT) | instid1(VALU_DEP_1)
	v_div_fmas_f32 v6, v6, v13, v15
	v_div_fixup_f32 v4, v6, v10, v4
	s_delay_alu instid0(VALU_DEP_1) | instskip(NEXT) | instid1(VALU_DEP_1)
	v_minmax_f32 v4, v4, s7, 0xc3e00000
	v_and_b32_e32 v6, 0x7fffffff, v4
	s_delay_alu instid0(VALU_DEP_1)
	v_cmpx_gt_u32_e32 0x43f00000, v6
	s_cbranch_execz .LBB75_53
; %bb.151:                              ;   in Loop: Header=BB75_57 Depth=1
	s_mov_b32 s17, exec_lo
                                        ; implicit-def: $vgpr3
	v_cmpx_lt_u32_e32 0x3c7fffff, v6
	s_xor_b32 s17, exec_lo, s17
; %bb.152:                              ;   in Loop: Header=BB75_57 Depth=1
	v_bfe_u32 v3, v4, 20, 1
	s_delay_alu instid0(VALU_DEP_1) | instskip(NEXT) | instid1(VALU_DEP_1)
	v_add3_u32 v3, v4, v3, 0x407ffff
	v_lshrrev_b32_e32 v3, 20, v3
; %bb.153:                              ;   in Loop: Header=BB75_57 Depth=1
	s_and_not1_saveexec_b32 s17, s17
	s_cbranch_execz .LBB75_52
; %bb.154:                              ;   in Loop: Header=BB75_57 Depth=1
	v_add_f32_e64 v3, 0x46800000, |v4|
	s_branch .LBB75_52
.LBB75_155:
	s_nop 0
	s_sendmsg sendmsg(MSG_DEALLOC_VGPRS)
	s_endpgm
	.section	.rodata,"a",@progbits
	.p2align	6, 0x0
	.amdhsa_kernel _ZN4vllm31rms_norm_per_block_quant_kernelIN3c108BFloat16ENS1_13Float8_e4m3fnELb0ELb0ELi128EEEvPT0_PfPKT_S9_PKffiiPS7_l
		.amdhsa_group_segment_fixed_size 4228
		.amdhsa_private_segment_fixed_size 0
		.amdhsa_kernarg_size 328
		.amdhsa_user_sgpr_count 15
		.amdhsa_user_sgpr_dispatch_ptr 0
		.amdhsa_user_sgpr_queue_ptr 0
		.amdhsa_user_sgpr_kernarg_segment_ptr 1
		.amdhsa_user_sgpr_dispatch_id 0
		.amdhsa_user_sgpr_private_segment_size 0
		.amdhsa_wavefront_size32 1
		.amdhsa_uses_dynamic_stack 0
		.amdhsa_enable_private_segment 0
		.amdhsa_system_sgpr_workgroup_id_x 1
		.amdhsa_system_sgpr_workgroup_id_y 0
		.amdhsa_system_sgpr_workgroup_id_z 0
		.amdhsa_system_sgpr_workgroup_info 0
		.amdhsa_system_vgpr_workitem_id 0
		.amdhsa_next_free_vgpr 46
		.amdhsa_next_free_sgpr 34
		.amdhsa_reserve_vcc 1
		.amdhsa_float_round_mode_32 0
		.amdhsa_float_round_mode_16_64 0
		.amdhsa_float_denorm_mode_32 3
		.amdhsa_float_denorm_mode_16_64 3
		.amdhsa_dx10_clamp 1
		.amdhsa_ieee_mode 1
		.amdhsa_fp16_overflow 0
		.amdhsa_workgroup_processor_mode 1
		.amdhsa_memory_ordered 1
		.amdhsa_forward_progress 0
		.amdhsa_shared_vgpr_count 0
		.amdhsa_exception_fp_ieee_invalid_op 0
		.amdhsa_exception_fp_denorm_src 0
		.amdhsa_exception_fp_ieee_div_zero 0
		.amdhsa_exception_fp_ieee_overflow 0
		.amdhsa_exception_fp_ieee_underflow 0
		.amdhsa_exception_fp_ieee_inexact 0
		.amdhsa_exception_int_div_zero 0
	.end_amdhsa_kernel
	.section	.text._ZN4vllm31rms_norm_per_block_quant_kernelIN3c108BFloat16ENS1_13Float8_e4m3fnELb0ELb0ELi128EEEvPT0_PfPKT_S9_PKffiiPS7_l,"axG",@progbits,_ZN4vllm31rms_norm_per_block_quant_kernelIN3c108BFloat16ENS1_13Float8_e4m3fnELb0ELb0ELi128EEEvPT0_PfPKT_S9_PKffiiPS7_l,comdat
.Lfunc_end75:
	.size	_ZN4vllm31rms_norm_per_block_quant_kernelIN3c108BFloat16ENS1_13Float8_e4m3fnELb0ELb0ELi128EEEvPT0_PfPKT_S9_PKffiiPS7_l, .Lfunc_end75-_ZN4vllm31rms_norm_per_block_quant_kernelIN3c108BFloat16ENS1_13Float8_e4m3fnELb0ELb0ELi128EEEvPT0_PfPKT_S9_PKffiiPS7_l
                                        ; -- End function
	.section	.AMDGPU.csdata,"",@progbits
; Kernel info:
; codeLenInByte = 12800
; NumSgprs: 36
; NumVgprs: 46
; ScratchSize: 0
; MemoryBound: 0
; FloatMode: 240
; IeeeMode: 1
; LDSByteSize: 4228 bytes/workgroup (compile time only)
; SGPRBlocks: 4
; VGPRBlocks: 5
; NumSGPRsForWavesPerEU: 36
; NumVGPRsForWavesPerEU: 46
; Occupancy: 16
; WaveLimiterHint : 0
; COMPUTE_PGM_RSRC2:SCRATCH_EN: 0
; COMPUTE_PGM_RSRC2:USER_SGPR: 15
; COMPUTE_PGM_RSRC2:TRAP_HANDLER: 0
; COMPUTE_PGM_RSRC2:TGID_X_EN: 1
; COMPUTE_PGM_RSRC2:TGID_Y_EN: 0
; COMPUTE_PGM_RSRC2:TGID_Z_EN: 0
; COMPUTE_PGM_RSRC2:TIDIG_COMP_CNT: 0
	.section	.text._ZN4vllm31rms_norm_per_block_quant_kernelIN3c108BFloat16ENS1_15Float8_e4m3fnuzELb0ELb0ELi128EEEvPT0_PfPKT_S9_PKffiiPS7_l,"axG",@progbits,_ZN4vllm31rms_norm_per_block_quant_kernelIN3c108BFloat16ENS1_15Float8_e4m3fnuzELb0ELb0ELi128EEEvPT0_PfPKT_S9_PKffiiPS7_l,comdat
	.protected	_ZN4vllm31rms_norm_per_block_quant_kernelIN3c108BFloat16ENS1_15Float8_e4m3fnuzELb0ELb0ELi128EEEvPT0_PfPKT_S9_PKffiiPS7_l ; -- Begin function _ZN4vllm31rms_norm_per_block_quant_kernelIN3c108BFloat16ENS1_15Float8_e4m3fnuzELb0ELb0ELi128EEEvPT0_PfPKT_S9_PKffiiPS7_l
	.globl	_ZN4vllm31rms_norm_per_block_quant_kernelIN3c108BFloat16ENS1_15Float8_e4m3fnuzELb0ELb0ELi128EEEvPT0_PfPKT_S9_PKffiiPS7_l
	.p2align	8
	.type	_ZN4vllm31rms_norm_per_block_quant_kernelIN3c108BFloat16ENS1_15Float8_e4m3fnuzELb0ELb0ELi128EEEvPT0_PfPKT_S9_PKffiiPS7_l,@function
_ZN4vllm31rms_norm_per_block_quant_kernelIN3c108BFloat16ENS1_15Float8_e4m3fnuzELb0ELb0ELi128EEEvPT0_PfPKT_S9_PKffiiPS7_l: ; @_ZN4vllm31rms_norm_per_block_quant_kernelIN3c108BFloat16ENS1_15Float8_e4m3fnuzELb0ELb0ELi128EEEvPT0_PfPKT_S9_PKffiiPS7_l
; %bb.0:
	s_clause 0x1
	s_load_b128 s[16:19], s[0:1], 0x28
	s_load_b256 s[4:11], s[0:1], 0x0
	v_mov_b32_e32 v6, 0
	s_mov_b32 s13, 0
	s_waitcnt lgkmcnt(0)
	s_ashr_i32 s2, s18, 31
	s_mul_hi_u32 s3, s18, s15
	s_mul_i32 s12, s2, s15
	s_mul_i32 s2, s18, s15
	s_add_i32 s3, s3, s12
	s_mov_b32 s18, s17
	s_lshl_b64 s[22:23], s[2:3], 1
	s_delay_alu instid0(SALU_CYCLE_1)
	s_add_u32 s14, s8, s22
	s_addc_u32 s26, s9, s23
	s_ashr_i32 s12, s17, 2
	s_add_u32 s20, s0, 0x48
	v_cmp_gt_u32_e64 s2, s12, v0
	s_addc_u32 s21, s1, 0
	s_delay_alu instid0(VALU_DEP_1)
	s_and_saveexec_b32 s3, s2
	s_cbranch_execz .LBB76_10
; %bb.1:
	s_load_b32 s19, s[20:21], 0x0
	v_dual_mov_b32 v2, 0 :: v_dual_mov_b32 v1, v0
	s_waitcnt lgkmcnt(0)
	s_cmp_lt_u32 s15, s19
	s_cselect_b32 s19, 12, 18
	s_delay_alu instid0(SALU_CYCLE_1)
	s_add_u32 s24, s20, s19
	s_addc_u32 s25, s21, 0
                                        ; implicit-def: $sgpr19
	global_load_u16 v7, v2, s[24:25]
	s_waitcnt vmcnt(0)
	v_lshlrev_b32_e32 v9, 1, v7
	v_mul_lo_u32 v8, v7, 3
	v_add_nc_u32_e32 v10, v7, v7
	v_mov_b32_e32 v6, v2
	s_branch .LBB76_5
.LBB76_2:                               ;   in Loop: Header=BB76_5 Depth=1
	s_or_b32 exec_lo, exec_lo, s27
	s_delay_alu instid0(SALU_CYCLE_1)
	s_or_not1_b32 s27, s28, exec_lo
.LBB76_3:                               ;   in Loop: Header=BB76_5 Depth=1
	s_or_b32 exec_lo, exec_lo, s25
	s_delay_alu instid0(SALU_CYCLE_1) | instskip(SKIP_1) | instid1(SALU_CYCLE_1)
	s_and_not1_b32 s19, s19, exec_lo
	s_and_b32 s25, s27, exec_lo
	s_or_b32 s19, s19, s25
.LBB76_4:                               ;   in Loop: Header=BB76_5 Depth=1
	s_or_b32 exec_lo, exec_lo, s24
	s_delay_alu instid0(SALU_CYCLE_1) | instskip(NEXT) | instid1(SALU_CYCLE_1)
	s_and_b32 s24, exec_lo, s19
	s_or_b32 s13, s24, s13
	s_delay_alu instid0(SALU_CYCLE_1)
	s_and_not1_b32 exec_lo, exec_lo, s13
	s_cbranch_execz .LBB76_9
.LBB76_5:                               ; =>This Inner Loop Header: Depth=1
	v_lshlrev_b64 v[3:4], 3, v[1:2]
	s_or_b32 s19, s19, exec_lo
	s_mov_b32 s24, exec_lo
	s_delay_alu instid0(VALU_DEP_1) | instskip(NEXT) | instid1(VALU_DEP_2)
	v_add_co_u32 v3, vcc_lo, s14, v3
	v_add_co_ci_u32_e32 v4, vcc_lo, s26, v4, vcc_lo
	global_load_b64 v[3:4], v[3:4], off
	s_waitcnt vmcnt(0)
	v_lshlrev_b32_e32 v5, 16, v3
	v_and_b32_e32 v11, 0xffff0000, v3
	v_alignbit_b32 v3, v4, v3, 16
	v_and_b32_e32 v4, 0xffff0000, v4
	s_delay_alu instid0(VALU_DEP_2) | instskip(NEXT) | instid1(VALU_DEP_1)
	v_dual_fmac_f32 v6, v5, v5 :: v_dual_and_b32 v3, 0xffff0000, v3
	v_fmac_f32_e32 v6, v11, v11
	s_delay_alu instid0(VALU_DEP_1) | instskip(NEXT) | instid1(VALU_DEP_1)
	v_fmac_f32_e32 v6, v3, v3
	v_dual_fmac_f32 v6, v4, v4 :: v_dual_add_nc_u32 v3, v1, v7
	s_delay_alu instid0(VALU_DEP_1)
	v_cmpx_gt_u32_e64 s12, v3
	s_cbranch_execz .LBB76_4
; %bb.6:                                ;   in Loop: Header=BB76_5 Depth=1
	v_mov_b32_e32 v4, v2
	s_mov_b32 s27, -1
	s_mov_b32 s25, exec_lo
	s_delay_alu instid0(VALU_DEP_1) | instskip(NEXT) | instid1(VALU_DEP_1)
	v_lshlrev_b64 v[4:5], 3, v[3:4]
	v_add_co_u32 v4, vcc_lo, s14, v4
	s_delay_alu instid0(VALU_DEP_2)
	v_add_co_ci_u32_e32 v5, vcc_lo, s26, v5, vcc_lo
	global_load_b64 v[4:5], v[4:5], off
	s_waitcnt vmcnt(0)
	v_lshlrev_b32_e32 v11, 16, v4
	v_and_b32_e32 v12, 0xffff0000, v4
	v_alignbit_b32 v4, v5, v4, 16
	s_delay_alu instid0(VALU_DEP_3) | instskip(NEXT) | instid1(VALU_DEP_2)
	v_dual_fmac_f32 v6, v11, v11 :: v_dual_and_b32 v5, 0xffff0000, v5
	v_and_b32_e32 v4, 0xffff0000, v4
	s_delay_alu instid0(VALU_DEP_2) | instskip(NEXT) | instid1(VALU_DEP_1)
	v_fmac_f32_e32 v6, v12, v12
	v_fmac_f32_e32 v6, v4, v4
	v_add_nc_u32_e32 v4, v9, v1
	s_delay_alu instid0(VALU_DEP_2) | instskip(NEXT) | instid1(VALU_DEP_2)
	v_fmac_f32_e32 v6, v5, v5
	v_cmpx_gt_u32_e64 s12, v4
	s_cbranch_execz .LBB76_3
; %bb.7:                                ;   in Loop: Header=BB76_5 Depth=1
	v_mov_b32_e32 v5, v2
	v_add_nc_u32_e32 v1, v8, v1
	s_mov_b32 s28, -1
	s_mov_b32 s27, exec_lo
	s_delay_alu instid0(VALU_DEP_2) | instskip(NEXT) | instid1(VALU_DEP_1)
	v_lshlrev_b64 v[4:5], 3, v[4:5]
	v_add_co_u32 v4, vcc_lo, s14, v4
	s_delay_alu instid0(VALU_DEP_2)
	v_add_co_ci_u32_e32 v5, vcc_lo, s26, v5, vcc_lo
	global_load_b64 v[4:5], v[4:5], off
	s_waitcnt vmcnt(0)
	v_and_b32_e32 v12, 0xffff0000, v4
	v_lshlrev_b32_e32 v11, 16, v4
	v_alignbit_b32 v4, v5, v4, 16
	s_delay_alu instid0(VALU_DEP_2) | instskip(NEXT) | instid1(VALU_DEP_2)
	v_dual_fmac_f32 v6, v11, v11 :: v_dual_and_b32 v5, 0xffff0000, v5
	v_and_b32_e32 v4, 0xffff0000, v4
	s_delay_alu instid0(VALU_DEP_2) | instskip(NEXT) | instid1(VALU_DEP_1)
	v_fmac_f32_e32 v6, v12, v12
	v_fmac_f32_e32 v6, v4, v4
	s_delay_alu instid0(VALU_DEP_1)
	v_fmac_f32_e32 v6, v5, v5
	v_cmpx_gt_u32_e64 s12, v1
	s_xor_b32 s27, exec_lo, s27
	s_cbranch_execz .LBB76_2
; %bb.8:                                ;   in Loop: Header=BB76_5 Depth=1
	v_lshlrev_b64 v[4:5], 3, v[1:2]
	s_delay_alu instid0(VALU_DEP_1) | instskip(NEXT) | instid1(VALU_DEP_2)
	v_add_co_u32 v4, vcc_lo, s14, v4
	v_add_co_ci_u32_e32 v5, vcc_lo, s26, v5, vcc_lo
	global_load_b64 v[4:5], v[4:5], off
	s_waitcnt vmcnt(0)
	v_and_b32_e32 v11, 0xffff0000, v4
	v_lshlrev_b32_e32 v1, 16, v4
	v_alignbit_b32 v4, v5, v4, 16
	s_delay_alu instid0(VALU_DEP_2) | instskip(NEXT) | instid1(VALU_DEP_2)
	v_fmac_f32_e32 v6, v1, v1
	v_and_b32_e32 v4, 0xffff0000, v4
	v_add3_u32 v1, v10, v7, v3
	s_delay_alu instid0(VALU_DEP_3) | instskip(NEXT) | instid1(VALU_DEP_2)
	v_dual_fmac_f32 v6, v11, v11 :: v_dual_and_b32 v3, 0xffff0000, v5
	v_cmp_le_u32_e32 vcc_lo, s12, v1
	s_delay_alu instid0(VALU_DEP_2) | instskip(SKIP_1) | instid1(VALU_DEP_1)
	v_fmac_f32_e32 v6, v4, v4
	s_or_not1_b32 s28, vcc_lo, exec_lo
	v_fmac_f32_e32 v6, v3, v3
	s_branch .LBB76_2
.LBB76_9:
	s_or_b32 exec_lo, exec_lo, s13
.LBB76_10:
	s_delay_alu instid0(SALU_CYCLE_1) | instskip(SKIP_3) | instid1(VALU_DEP_2)
	s_or_b32 exec_lo, exec_lo, s3
	v_mbcnt_lo_u32_b32 v1, -1, 0
	s_load_b32 s3, s[20:21], 0xc
	v_and_b32_e32 v7, 0x3e0, v0
	v_cmp_ne_u32_e32 vcc_lo, 31, v1
	v_add_nc_u32_e32 v3, 1, v1
	v_add_co_ci_u32_e32 v2, vcc_lo, 0, v1, vcc_lo
	v_cmp_gt_u32_e32 vcc_lo, 30, v1
	s_delay_alu instid0(VALU_DEP_2)
	v_lshlrev_b32_e32 v2, 2, v2
	v_cndmask_b32_e64 v5, 0, 1, vcc_lo
	ds_bpermute_b32 v4, v2, v6
	s_waitcnt lgkmcnt(0)
	s_and_b32 s27, s3, 0xffff
	v_lshlrev_b32_e32 v5, 1, v5
	v_sub_nc_u32_e64 v12, s27, v7 clamp
	s_mov_b32 s3, exec_lo
	s_delay_alu instid0(VALU_DEP_1) | instskip(SKIP_2) | instid1(VALU_DEP_2)
	v_cmp_lt_u32_e32 vcc_lo, v3, v12
	v_add_f32_e32 v7, v6, v4
	v_add_lshl_u32 v4, v5, v1, 2
	v_cndmask_b32_e32 v7, v6, v7, vcc_lo
	v_cmp_gt_u32_e32 vcc_lo, 28, v1
	v_cndmask_b32_e64 v5, 0, 1, vcc_lo
	s_delay_alu instid0(VALU_DEP_1) | instskip(SKIP_2) | instid1(VALU_DEP_1)
	v_lshlrev_b32_e32 v8, 2, v5
	ds_bpermute_b32 v6, v4, v7
	v_add_nc_u32_e32 v5, 2, v1
	v_cmp_lt_u32_e32 vcc_lo, v5, v12
	s_waitcnt lgkmcnt(0)
	v_add_f32_e32 v9, v7, v6
	v_add_lshl_u32 v6, v8, v1, 2
	s_delay_alu instid0(VALU_DEP_2) | instskip(SKIP_3) | instid1(VALU_DEP_1)
	v_cndmask_b32_e32 v9, v7, v9, vcc_lo
	v_cmp_gt_u32_e32 vcc_lo, 24, v1
	ds_bpermute_b32 v8, v6, v9
	v_cndmask_b32_e64 v7, 0, 1, vcc_lo
	v_lshlrev_b32_e32 v10, 3, v7
	v_add_nc_u32_e32 v7, 4, v1
	s_delay_alu instid0(VALU_DEP_1) | instskip(SKIP_3) | instid1(VALU_DEP_2)
	v_cmp_lt_u32_e32 vcc_lo, v7, v12
	s_waitcnt lgkmcnt(0)
	v_add_f32_e32 v11, v9, v8
	v_add_lshl_u32 v8, v10, v1, 2
	v_cndmask_b32_e32 v11, v9, v11, vcc_lo
	v_cmp_gt_u32_e32 vcc_lo, 16, v1
	ds_bpermute_b32 v10, v8, v11
	v_cndmask_b32_e64 v9, 0, 1, vcc_lo
	s_delay_alu instid0(VALU_DEP_1) | instskip(SKIP_1) | instid1(VALU_DEP_1)
	v_lshlrev_b32_e32 v13, 4, v9
	v_add_nc_u32_e32 v9, 8, v1
	v_cmp_lt_u32_e32 vcc_lo, v9, v12
	s_waitcnt lgkmcnt(0)
	v_add_f32_e32 v14, v11, v10
	v_add_lshl_u32 v10, v13, v1, 2
	s_delay_alu instid0(VALU_DEP_2)
	v_cndmask_b32_e32 v13, v11, v14, vcc_lo
	v_add_nc_u32_e32 v11, 16, v1
	ds_bpermute_b32 v14, v10, v13
	v_cmp_lt_u32_e32 vcc_lo, v11, v12
	s_waitcnt lgkmcnt(0)
	v_add_f32_e32 v14, v13, v14
	s_delay_alu instid0(VALU_DEP_1)
	v_cndmask_b32_e32 v12, v13, v14, vcc_lo
	v_cmpx_eq_u32_e32 0, v1
	s_cbranch_execz .LBB76_12
; %bb.11:
	v_lshrrev_b32_e32 v13, 3, v0
	s_delay_alu instid0(VALU_DEP_1)
	v_and_b32_e32 v13, 0x7c, v13
	ds_store_b32 v13, v12 offset:4096
.LBB76_12:
	s_or_b32 exec_lo, exec_lo, s3
	s_delay_alu instid0(SALU_CYCLE_1)
	s_mov_b32 s3, exec_lo
	s_waitcnt lgkmcnt(0)
	s_barrier
	buffer_gl0_inv
	v_cmpx_gt_u32_e32 32, v0
	s_cbranch_execz .LBB76_14
; %bb.13:
	v_lshlrev_b32_e32 v1, 2, v1
	s_add_i32 s13, s27, 31
	s_delay_alu instid0(SALU_CYCLE_1) | instskip(NEXT) | instid1(SALU_CYCLE_1)
	s_lshr_b32 s13, s13, 5
	v_cmp_gt_u32_e32 vcc_lo, s13, v3
	ds_load_b32 v1, v1 offset:4096
	s_waitcnt lgkmcnt(0)
	ds_bpermute_b32 v2, v2, v1
	s_waitcnt lgkmcnt(0)
	v_add_f32_e32 v2, v1, v2
	s_delay_alu instid0(VALU_DEP_1) | instskip(SKIP_4) | instid1(VALU_DEP_1)
	v_cndmask_b32_e32 v1, v1, v2, vcc_lo
	v_cmp_gt_u32_e32 vcc_lo, s13, v5
	ds_bpermute_b32 v2, v4, v1
	s_waitcnt lgkmcnt(0)
	v_add_f32_e32 v2, v1, v2
	v_cndmask_b32_e32 v1, v1, v2, vcc_lo
	v_cmp_gt_u32_e32 vcc_lo, s13, v7
	ds_bpermute_b32 v2, v6, v1
	s_waitcnt lgkmcnt(0)
	v_add_f32_e32 v2, v1, v2
	s_delay_alu instid0(VALU_DEP_1) | instskip(SKIP_4) | instid1(VALU_DEP_1)
	v_cndmask_b32_e32 v1, v1, v2, vcc_lo
	v_cmp_gt_u32_e32 vcc_lo, s13, v9
	ds_bpermute_b32 v2, v8, v1
	s_waitcnt lgkmcnt(0)
	v_add_f32_e32 v2, v1, v2
	v_cndmask_b32_e32 v1, v1, v2, vcc_lo
	v_cmp_gt_u32_e32 vcc_lo, s13, v11
	ds_bpermute_b32 v2, v10, v1
	s_waitcnt lgkmcnt(0)
	v_add_f32_e32 v2, v1, v2
	s_delay_alu instid0(VALU_DEP_1)
	v_cndmask_b32_e32 v12, v1, v2, vcc_lo
.LBB76_14:
	s_or_b32 exec_lo, exec_lo, s3
	s_delay_alu instid0(SALU_CYCLE_1)
	s_mov_b32 s3, exec_lo
	v_cmpx_eq_u32_e32 0, v0
	s_cbranch_execz .LBB76_16
; %bb.15:
	v_cvt_f32_i32_e32 v1, s17
	s_delay_alu instid0(VALU_DEP_1) | instskip(SKIP_1) | instid1(VALU_DEP_2)
	v_div_scale_f32 v2, null, v1, v1, v12
	v_div_scale_f32 v5, vcc_lo, v12, v1, v12
	v_rcp_f32_e32 v3, v2
	s_waitcnt_depctr 0xfff
	v_fma_f32 v4, -v2, v3, 1.0
	s_delay_alu instid0(VALU_DEP_1) | instskip(NEXT) | instid1(VALU_DEP_1)
	v_fmac_f32_e32 v3, v4, v3
	v_mul_f32_e32 v4, v5, v3
	s_delay_alu instid0(VALU_DEP_1) | instskip(NEXT) | instid1(VALU_DEP_1)
	v_fma_f32 v6, -v2, v4, v5
	v_fmac_f32_e32 v4, v6, v3
	s_delay_alu instid0(VALU_DEP_1) | instskip(NEXT) | instid1(VALU_DEP_1)
	v_fma_f32 v2, -v2, v4, v5
	v_div_fmas_f32 v2, v2, v3, v4
	s_delay_alu instid0(VALU_DEP_1) | instskip(NEXT) | instid1(VALU_DEP_1)
	v_div_fixup_f32 v1, v2, v1, v12
	v_add_f32_e32 v1, s16, v1
	s_delay_alu instid0(VALU_DEP_1) | instskip(SKIP_1) | instid1(VALU_DEP_2)
	v_mul_f32_e32 v2, 0x4b800000, v1
	v_cmp_gt_f32_e32 vcc_lo, 0x800000, v1
	v_cndmask_b32_e32 v1, v1, v2, vcc_lo
	s_delay_alu instid0(VALU_DEP_1) | instskip(SKIP_2) | instid1(VALU_DEP_1)
	v_rsq_f32_e32 v1, v1
	s_waitcnt_depctr 0xfff
	v_mul_f32_e32 v2, 0x45800000, v1
	v_dual_cndmask_b32 v1, v1, v2 :: v_dual_mov_b32 v2, 0
	ds_store_b32 v2, v1 offset:4224
.LBB76_16:
	s_or_b32 exec_lo, exec_lo, s3
	s_ashr_i32 s19, s17, 31
	s_waitcnt lgkmcnt(0)
	s_lshr_b32 s3, s19, 25
	s_barrier
	s_add_i32 s3, s17, s3
	buffer_gl0_inv
	s_ashr_i32 s16, s3, 7
	s_ashr_i32 s3, s3, 31
	s_abs_i32 s13, s16
	s_delay_alu instid0(SALU_CYCLE_1) | instskip(SKIP_1) | instid1(VALU_DEP_1)
	v_cvt_f32_u32_e32 v1, s13
	s_sub_i32 s20, 0, s13
	v_rcp_iflag_f32_e32 v1, v1
	s_waitcnt_depctr 0xfff
	v_mul_f32_e32 v1, 0x4f7ffffe, v1
	s_delay_alu instid0(VALU_DEP_1) | instskip(NEXT) | instid1(VALU_DEP_1)
	v_cvt_u32_f32_e32 v1, v1
	v_readfirstlane_b32 s17, v1
	s_delay_alu instid0(VALU_DEP_1) | instskip(NEXT) | instid1(SALU_CYCLE_1)
	s_mul_i32 s20, s20, s17
	s_mul_hi_u32 s20, s17, s20
	s_delay_alu instid0(SALU_CYCLE_1) | instskip(NEXT) | instid1(SALU_CYCLE_1)
	s_add_i32 s17, s17, s20
	s_mul_hi_u32 s17, s27, s17
	s_delay_alu instid0(SALU_CYCLE_1) | instskip(SKIP_2) | instid1(SALU_CYCLE_1)
	s_mul_i32 s20, s17, s13
	s_add_i32 s21, s17, 1
	s_sub_i32 s20, s27, s20
	s_sub_i32 s24, s20, s13
	s_cmp_ge_u32 s20, s13
	s_cselect_b32 s17, s21, s17
	s_cselect_b32 s20, s24, s20
	s_add_i32 s21, s17, 1
	s_cmp_ge_u32 s20, s13
	s_cselect_b32 s13, s21, s17
	s_delay_alu instid0(SALU_CYCLE_1) | instskip(NEXT) | instid1(SALU_CYCLE_1)
	s_xor_b32 s13, s13, s3
	s_sub_i32 s20, s13, s3
	s_delay_alu instid0(SALU_CYCLE_1) | instskip(SKIP_3) | instid1(VALU_DEP_1)
	s_abs_i32 s3, s20
	s_ashr_i32 s21, s20, 31
	v_cvt_f32_u32_e32 v1, s3
	s_sub_i32 s13, 0, s3
	v_rcp_iflag_f32_e32 v1, v1
	s_waitcnt_depctr 0xfff
	v_mul_f32_e32 v1, 0x4f7ffffe, v1
	s_delay_alu instid0(VALU_DEP_1) | instskip(NEXT) | instid1(VALU_DEP_1)
	v_cvt_u32_f32_e32 v1, v1
	v_mul_lo_u32 v2, s13, v1
	s_ashr_i32 s13, s12, 31
	s_delay_alu instid0(VALU_DEP_1) | instskip(NEXT) | instid1(VALU_DEP_1)
	v_mul_hi_u32 v2, v1, v2
	v_add_nc_u32_e32 v1, v1, v2
	s_delay_alu instid0(VALU_DEP_1) | instskip(NEXT) | instid1(VALU_DEP_1)
	v_mul_hi_u32 v1, v0, v1
	v_mul_lo_u32 v2, v1, s3
	v_add_nc_u32_e32 v3, 1, v1
	s_delay_alu instid0(VALU_DEP_2) | instskip(NEXT) | instid1(VALU_DEP_1)
	v_sub_nc_u32_e32 v2, v0, v2
	v_subrev_nc_u32_e32 v4, s3, v2
	v_cmp_le_u32_e32 vcc_lo, s3, v2
	s_delay_alu instid0(VALU_DEP_2) | instskip(NEXT) | instid1(VALU_DEP_1)
	v_dual_cndmask_b32 v1, v1, v3 :: v_dual_cndmask_b32 v2, v2, v4
	v_dual_mov_b32 v4, 0 :: v_dual_add_nc_u32 v3, 1, v1
	s_delay_alu instid0(VALU_DEP_2) | instskip(SKIP_2) | instid1(VALU_DEP_1)
	v_cmp_le_u32_e32 vcc_lo, s3, v2
	ds_load_b32 v28, v4 offset:4224
	v_cndmask_b32_e32 v1, v1, v3, vcc_lo
	v_xor_b32_e32 v1, s21, v1
	s_delay_alu instid0(VALU_DEP_1) | instskip(NEXT) | instid1(VALU_DEP_1)
	v_subrev_nc_u32_e32 v1, s21, v1
	v_ashrrev_i32_e32 v2, 31, v1
	v_mul_lo_u32 v3, v1, s20
	s_delay_alu instid0(VALU_DEP_2) | instskip(NEXT) | instid1(VALU_DEP_2)
	v_lshlrev_b64 v[7:8], 5, v[1:2]
	v_sub_nc_u32_e32 v3, v0, v3
	s_delay_alu instid0(VALU_DEP_2) | instskip(NEXT) | instid1(VALU_DEP_3)
	v_add_co_u32 v5, vcc_lo, v7, 32
	v_add_co_ci_u32_e32 v6, vcc_lo, 0, v8, vcc_lo
	s_delay_alu instid0(VALU_DEP_1) | instskip(SKIP_4) | instid1(VALU_DEP_3)
	v_cmp_gt_i64_e32 vcc_lo, s[12:13], v[5:6]
	v_cndmask_b32_e32 v6, s13, v6, vcc_lo
	v_cndmask_b32_e32 v5, s12, v5, vcc_lo
	v_add_co_u32 v7, vcc_lo, v7, v3
	v_add_co_ci_u32_e32 v8, vcc_lo, 0, v8, vcc_lo
	v_ashrrev_i32_e32 v10, 31, v5
	v_mov_b32_e32 v9, v5
	s_mov_b32 s13, exec_lo
	s_delay_alu instid0(VALU_DEP_1)
	v_cmpx_lt_i64_e64 v[7:8], v[9:10]
	s_cbranch_execz .LBB76_26
; %bb.17:
	v_lshlrev_b64 v[13:14], 8, v[1:2]
	v_lshlrev_b64 v[11:12], 3, v[3:4]
	s_mul_i32 s3, s20, 24
	s_mul_hi_i32 s17, s20, 24
	s_add_u32 s24, s8, s3
	s_delay_alu instid0(VALU_DEP_2) | instskip(SKIP_2) | instid1(VALU_DEP_2)
	v_add_co_u32 v4, vcc_lo, s22, v13
	v_add_co_ci_u32_e32 v15, vcc_lo, s23, v14, vcc_lo
	s_addc_u32 s22, s9, s17
	v_add_co_u32 v17, vcc_lo, s24, v4
	s_lshl_b64 s[24:25], s[20:21], 4
	s_delay_alu instid0(VALU_DEP_2)
	v_add_co_ci_u32_e32 v18, vcc_lo, s22, v15, vcc_lo
	s_lshl_b64 s[22:23], s[20:21], 5
	s_add_u32 s30, s8, s24
	s_addc_u32 s31, s9, s25
	s_lshl_b64 s[28:29], s[20:21], 3
	v_add_co_u32 v19, vcc_lo, s30, v4
	s_add_u32 s30, s8, s28
	v_add_co_ci_u32_e32 v20, vcc_lo, s31, v15, vcc_lo
	s_addc_u32 s31, s9, s29
	v_add_co_u32 v21, vcc_lo, s30, v4
	v_add_co_ci_u32_e32 v22, vcc_lo, s31, v15, vcc_lo
	v_add_co_u32 v23, vcc_lo, s8, v4
	s_add_u32 s3, s10, s3
	v_add_co_ci_u32_e32 v24, vcc_lo, s9, v15, vcc_lo
	s_addc_u32 s8, s11, s17
	v_add_co_u32 v25, vcc_lo, s3, v13
	s_add_u32 s3, s10, s24
	v_add_co_ci_u32_e32 v26, vcc_lo, s8, v14, vcc_lo
	s_addc_u32 s8, s11, s25
	;; [unrolled: 4-line block ×3, first 2 shown]
	v_add_co_u32 v30, vcc_lo, s3, v13
	v_add_co_ci_u32_e32 v31, vcc_lo, s8, v14, vcc_lo
	v_add_co_u32 v32, vcc_lo, s10, v13
	v_add_co_ci_u32_e32 v33, vcc_lo, s11, v14, vcc_lo
	v_mov_b32_e32 v14, v8
	v_dual_mov_b32 v4, 0 :: v_dual_mov_b32 v13, v7
	s_mul_hi_i32 s17, s20, 3
	s_mul_i32 s24, s20, 3
	s_lshl_b64 s[8:9], s[20:21], 1
	s_mov_b32 s25, 0
                                        ; implicit-def: $sgpr28
	s_branch .LBB76_21
.LBB76_18:                              ;   in Loop: Header=BB76_21 Depth=1
	s_or_b32 exec_lo, exec_lo, s31
	s_delay_alu instid0(SALU_CYCLE_1)
	s_or_not1_b32 s3, s3, exec_lo
.LBB76_19:                              ;   in Loop: Header=BB76_21 Depth=1
	s_or_b32 exec_lo, exec_lo, s30
	s_delay_alu instid0(SALU_CYCLE_1) | instskip(SKIP_1) | instid1(SALU_CYCLE_1)
	s_and_not1_b32 s28, s28, exec_lo
	s_and_b32 s3, s3, exec_lo
	s_or_b32 s28, s28, s3
.LBB76_20:                              ;   in Loop: Header=BB76_21 Depth=1
	s_or_b32 exec_lo, exec_lo, s29
	s_delay_alu instid0(SALU_CYCLE_1) | instskip(NEXT) | instid1(SALU_CYCLE_1)
	s_and_b32 s3, exec_lo, s28
	s_or_b32 s25, s3, s25
	s_delay_alu instid0(SALU_CYCLE_1)
	s_and_not1_b32 exec_lo, exec_lo, s25
	s_cbranch_execz .LBB76_25
.LBB76_21:                              ; =>This Inner Loop Header: Depth=1
	v_add_co_u32 v15, vcc_lo, v23, v11
	v_add_co_ci_u32_e32 v16, vcc_lo, v24, v12, vcc_lo
	v_add_co_u32 v34, vcc_lo, v32, v11
	v_add_co_ci_u32_e32 v35, vcc_lo, v33, v12, vcc_lo
	s_or_b32 s28, s28, exec_lo
	global_load_b64 v[15:16], v[15:16], off
	global_load_b64 v[34:35], v[34:35], off
	s_mov_b32 s29, exec_lo
	s_waitcnt vmcnt(1)
	v_lshlrev_b32_e32 v37, 16, v15
	v_and_b32_e32 v36, 0xffff0000, v15
	v_alignbit_b32 v15, v16, v15, 16
	s_waitcnt vmcnt(0)
	v_lshlrev_b32_e32 v39, 16, v34
	s_waitcnt lgkmcnt(0)
	v_mul_f32_e32 v37, v28, v37
	v_mul_f32_e32 v36, v28, v36
	s_delay_alu instid0(VALU_DEP_2) | instskip(NEXT) | instid1(VALU_DEP_2)
	v_bfe_u32 v40, v37, 16, 1
	v_bfe_u32 v41, v36, 16, 1
	v_cmp_o_f32_e32 vcc_lo, v37, v37
	s_delay_alu instid0(VALU_DEP_3) | instskip(NEXT) | instid1(VALU_DEP_3)
	v_add3_u32 v40, v37, v40, 0x7fff
	v_add3_u32 v41, v36, v41, 0x7fff
	s_delay_alu instid0(VALU_DEP_2) | instskip(NEXT) | instid1(VALU_DEP_2)
	v_and_b32_e32 v40, 0xffff0000, v40
	v_and_b32_e32 v41, 0xffff0000, v41
	s_delay_alu instid0(VALU_DEP_2) | instskip(SKIP_2) | instid1(VALU_DEP_2)
	v_cndmask_b32_e32 v37, 0x7fc00000, v40, vcc_lo
	v_and_b32_e32 v16, 0xffff0000, v16
	v_cmp_o_f32_e32 vcc_lo, v36, v36
	v_dual_mul_f32 v37, v37, v39 :: v_dual_mul_f32 v16, v28, v16
	v_cndmask_b32_e32 v36, 0x7fc00000, v41, vcc_lo
	v_and_b32_e32 v15, 0xffff0000, v15
	v_and_b32_e32 v38, 0xffff0000, v34
	v_alignbit_b32 v34, v35, v34, 16
	v_bfe_u32 v42, v16, 16, 1
	v_cmp_o_f32_e32 vcc_lo, v16, v16
	v_mul_f32_e32 v15, v28, v15
	v_mul_f32_e32 v36, v36, v38
	v_bfe_u32 v38, v37, 16, 1
	v_add3_u32 v42, v16, v42, 0x7fff
	s_delay_alu instid0(VALU_DEP_4) | instskip(NEXT) | instid1(VALU_DEP_2)
	v_bfe_u32 v43, v15, 16, 1
	v_and_b32_e32 v42, 0xffff0000, v42
	s_delay_alu instid0(VALU_DEP_2) | instskip(NEXT) | instid1(VALU_DEP_2)
	v_add3_u32 v43, v15, v43, 0x7fff
	v_cndmask_b32_e32 v16, 0x7fc00000, v42, vcc_lo
	v_cmp_o_f32_e32 vcc_lo, v15, v15
	s_delay_alu instid0(VALU_DEP_3) | instskip(SKIP_1) | instid1(VALU_DEP_2)
	v_and_b32_e32 v40, 0xffff0000, v43
	v_and_b32_e32 v34, 0xffff0000, v34
	v_cndmask_b32_e32 v15, 0x7fc00000, v40, vcc_lo
	v_and_b32_e32 v35, 0xffff0000, v35
	v_cmp_o_f32_e32 vcc_lo, v37, v37
	s_delay_alu instid0(VALU_DEP_2) | instskip(SKIP_2) | instid1(VALU_DEP_3)
	v_dual_mul_f32 v34, v15, v34 :: v_dual_mul_f32 v35, v16, v35
	v_bfe_u32 v16, v36, 16, 1
	v_add3_u32 v15, v37, v38, 0x7fff
	v_bfe_u32 v39, v34, 16, 1
	s_delay_alu instid0(VALU_DEP_4) | instskip(NEXT) | instid1(VALU_DEP_4)
	v_bfe_u32 v38, v35, 16, 1
	v_add3_u32 v16, v36, v16, 0x7fff
	s_delay_alu instid0(VALU_DEP_4) | instskip(NEXT) | instid1(VALU_DEP_4)
	v_and_b32_e32 v15, 0xffff0000, v15
	v_add3_u32 v39, v34, v39, 0x7fff
	s_delay_alu instid0(VALU_DEP_4) | instskip(NEXT) | instid1(VALU_DEP_4)
	v_add3_u32 v38, v35, v38, 0x7fff
	v_and_b32_e32 v16, 0xffff0000, v16
	s_delay_alu instid0(VALU_DEP_4)
	v_cndmask_b32_e64 v37, 0x7fc00000, |v15|, vcc_lo
	v_cmp_o_f32_e32 vcc_lo, v36, v36
	v_and_b32_e32 v39, 0xffff0000, v39
	v_and_b32_e32 v38, 0xffff0000, v38
	v_cndmask_b32_e64 v36, 0x7fc00000, |v16|, vcc_lo
	v_add_co_u32 v15, vcc_lo, v13, s20
	v_add_co_ci_u32_e32 v16, vcc_lo, s21, v14, vcc_lo
	v_cmp_o_f32_e32 vcc_lo, v34, v34
	s_delay_alu instid0(VALU_DEP_4) | instskip(SKIP_3) | instid1(VALU_DEP_1)
	v_max3_f32 v4, v4, v37, v36
	v_cndmask_b32_e64 v34, 0x7fc00000, |v39|, vcc_lo
	v_cmp_o_f32_e32 vcc_lo, v35, v35
	v_cndmask_b32_e64 v35, 0x7fc00000, |v38|, vcc_lo
	v_max3_f32 v4, v4, v34, v35
	v_cmpx_lt_i64_e64 v[15:16], v[9:10]
	s_cbranch_execz .LBB76_20
; %bb.22:                               ;   in Loop: Header=BB76_21 Depth=1
	v_add_co_u32 v34, vcc_lo, v21, v11
	v_add_co_ci_u32_e32 v35, vcc_lo, v22, v12, vcc_lo
	v_add_co_u32 v36, vcc_lo, v30, v11
	v_add_co_ci_u32_e32 v37, vcc_lo, v31, v12, vcc_lo
	s_mov_b32 s3, -1
	global_load_b64 v[34:35], v[34:35], off
	global_load_b64 v[36:37], v[36:37], off
	s_mov_b32 s30, exec_lo
	s_waitcnt vmcnt(1)
	v_lshlrev_b32_e32 v39, 16, v34
	v_and_b32_e32 v38, 0xffff0000, v34
	v_alignbit_b32 v34, v35, v34, 16
	s_delay_alu instid0(VALU_DEP_3) | instskip(NEXT) | instid1(VALU_DEP_3)
	v_mul_f32_e32 v39, v28, v39
	v_dual_mul_f32 v38, v28, v38 :: v_dual_and_b32 v35, 0xffff0000, v35
	s_waitcnt vmcnt(0)
	v_and_b32_e32 v40, 0xffff0000, v36
	s_delay_alu instid0(VALU_DEP_3) | instskip(NEXT) | instid1(VALU_DEP_3)
	v_bfe_u32 v42, v39, 16, 1
	v_mul_f32_e32 v35, v28, v35
	v_cmp_o_f32_e32 vcc_lo, v39, v39
	v_bfe_u32 v43, v38, 16, 1
	s_delay_alu instid0(VALU_DEP_4) | instskip(NEXT) | instid1(VALU_DEP_4)
	v_add3_u32 v42, v39, v42, 0x7fff
	v_bfe_u32 v44, v35, 16, 1
	s_delay_alu instid0(VALU_DEP_3) | instskip(NEXT) | instid1(VALU_DEP_3)
	v_add3_u32 v43, v38, v43, 0x7fff
	v_and_b32_e32 v42, 0xffff0000, v42
	s_delay_alu instid0(VALU_DEP_3) | instskip(NEXT) | instid1(VALU_DEP_3)
	v_add3_u32 v44, v35, v44, 0x7fff
	v_and_b32_e32 v43, 0xffff0000, v43
	s_delay_alu instid0(VALU_DEP_3)
	v_cndmask_b32_e32 v39, 0x7fc00000, v42, vcc_lo
	v_and_b32_e32 v34, 0xffff0000, v34
	v_lshlrev_b32_e32 v41, 16, v36
	v_cmp_o_f32_e32 vcc_lo, v38, v38
	v_and_b32_e32 v44, 0xffff0000, v44
	v_alignbit_b32 v36, v37, v36, 16
	s_delay_alu instid0(VALU_DEP_4) | instskip(SKIP_3) | instid1(VALU_DEP_4)
	v_dual_mul_f32 v34, v28, v34 :: v_dual_mul_f32 v39, v39, v41
	v_cndmask_b32_e32 v38, 0x7fc00000, v43, vcc_lo
	v_cmp_o_f32_e32 vcc_lo, v35, v35
	v_and_b32_e32 v37, 0xffff0000, v37
	v_bfe_u32 v45, v34, 16, 1
	s_delay_alu instid0(VALU_DEP_4) | instskip(SKIP_2) | instid1(VALU_DEP_4)
	v_mul_f32_e32 v38, v38, v40
	v_cndmask_b32_e32 v35, 0x7fc00000, v44, vcc_lo
	v_cmp_o_f32_e32 vcc_lo, v34, v34
	v_add3_u32 v45, v34, v45, 0x7fff
	v_and_b32_e32 v36, 0xffff0000, v36
	v_bfe_u32 v40, v39, 16, 1
	v_mul_f32_e32 v37, v35, v37
	v_bfe_u32 v35, v38, 16, 1
	v_and_b32_e32 v42, 0xffff0000, v45
	s_delay_alu instid0(VALU_DEP_2) | instskip(NEXT) | instid1(VALU_DEP_2)
	v_add3_u32 v35, v38, v35, 0x7fff
	v_cndmask_b32_e32 v34, 0x7fc00000, v42, vcc_lo
	v_cmp_o_f32_e32 vcc_lo, v39, v39
	s_delay_alu instid0(VALU_DEP_2) | instskip(SKIP_2) | instid1(VALU_DEP_3)
	v_dual_mul_f32 v36, v34, v36 :: v_dual_and_b32 v35, 0xffff0000, v35
	v_add3_u32 v34, v39, v40, 0x7fff
	v_bfe_u32 v40, v37, 16, 1
	v_bfe_u32 v41, v36, 16, 1
	s_delay_alu instid0(VALU_DEP_3) | instskip(NEXT) | instid1(VALU_DEP_3)
	v_and_b32_e32 v34, 0xffff0000, v34
	v_add3_u32 v40, v37, v40, 0x7fff
	s_delay_alu instid0(VALU_DEP_3) | instskip(NEXT) | instid1(VALU_DEP_3)
	v_add3_u32 v41, v36, v41, 0x7fff
	v_cndmask_b32_e64 v39, 0x7fc00000, |v34|, vcc_lo
	v_cmp_o_f32_e32 vcc_lo, v38, v38
	s_delay_alu instid0(VALU_DEP_4) | instskip(NEXT) | instid1(VALU_DEP_4)
	v_and_b32_e32 v40, 0xffff0000, v40
	v_and_b32_e32 v41, 0xffff0000, v41
	v_cndmask_b32_e64 v38, 0x7fc00000, |v35|, vcc_lo
	v_add_co_u32 v34, vcc_lo, s8, v13
	v_add_co_ci_u32_e32 v35, vcc_lo, s9, v14, vcc_lo
	v_cmp_o_f32_e32 vcc_lo, v36, v36
	s_delay_alu instid0(VALU_DEP_4) | instskip(SKIP_3) | instid1(VALU_DEP_1)
	v_max3_f32 v4, v4, v39, v38
	v_cndmask_b32_e64 v36, 0x7fc00000, |v41|, vcc_lo
	v_cmp_o_f32_e32 vcc_lo, v37, v37
	v_cndmask_b32_e64 v37, 0x7fc00000, |v40|, vcc_lo
	v_max3_f32 v4, v4, v36, v37
	v_cmpx_lt_i64_e64 v[34:35], v[9:10]
	s_cbranch_execz .LBB76_19
; %bb.23:                               ;   in Loop: Header=BB76_21 Depth=1
	v_add_co_u32 v34, vcc_lo, v19, v11
	v_add_co_ci_u32_e32 v35, vcc_lo, v20, v12, vcc_lo
	v_add_co_u32 v36, vcc_lo, v27, v11
	v_add_co_ci_u32_e32 v37, vcc_lo, v29, v12, vcc_lo
	global_load_b64 v[34:35], v[34:35], off
	global_load_b64 v[36:37], v[36:37], off
	s_waitcnt vmcnt(1)
	v_lshlrev_b32_e32 v39, 16, v34
	v_and_b32_e32 v38, 0xffff0000, v34
	v_alignbit_b32 v34, v35, v34, 16
	s_delay_alu instid0(VALU_DEP_3) | instskip(NEXT) | instid1(VALU_DEP_3)
	v_mul_f32_e32 v39, v28, v39
	v_dual_mul_f32 v38, v28, v38 :: v_dual_and_b32 v35, 0xffff0000, v35
	s_waitcnt vmcnt(0)
	v_and_b32_e32 v40, 0xffff0000, v36
	s_delay_alu instid0(VALU_DEP_3) | instskip(NEXT) | instid1(VALU_DEP_3)
	v_bfe_u32 v42, v39, 16, 1
	v_mul_f32_e32 v35, v28, v35
	v_cmp_o_f32_e32 vcc_lo, v39, v39
	v_bfe_u32 v43, v38, 16, 1
	s_delay_alu instid0(VALU_DEP_4) | instskip(NEXT) | instid1(VALU_DEP_4)
	v_add3_u32 v42, v39, v42, 0x7fff
	v_bfe_u32 v44, v35, 16, 1
	s_delay_alu instid0(VALU_DEP_3) | instskip(NEXT) | instid1(VALU_DEP_3)
	v_add3_u32 v43, v38, v43, 0x7fff
	v_and_b32_e32 v42, 0xffff0000, v42
	s_delay_alu instid0(VALU_DEP_3) | instskip(NEXT) | instid1(VALU_DEP_3)
	v_add3_u32 v44, v35, v44, 0x7fff
	v_and_b32_e32 v43, 0xffff0000, v43
	s_delay_alu instid0(VALU_DEP_3)
	v_cndmask_b32_e32 v39, 0x7fc00000, v42, vcc_lo
	v_and_b32_e32 v34, 0xffff0000, v34
	v_lshlrev_b32_e32 v41, 16, v36
	v_cmp_o_f32_e32 vcc_lo, v38, v38
	v_and_b32_e32 v44, 0xffff0000, v44
	v_alignbit_b32 v36, v37, v36, 16
	s_delay_alu instid0(VALU_DEP_4) | instskip(SKIP_3) | instid1(VALU_DEP_4)
	v_dual_mul_f32 v34, v28, v34 :: v_dual_mul_f32 v39, v39, v41
	v_cndmask_b32_e32 v38, 0x7fc00000, v43, vcc_lo
	v_cmp_o_f32_e32 vcc_lo, v35, v35
	v_and_b32_e32 v37, 0xffff0000, v37
	v_bfe_u32 v45, v34, 16, 1
	s_delay_alu instid0(VALU_DEP_4) | instskip(SKIP_2) | instid1(VALU_DEP_4)
	v_mul_f32_e32 v38, v38, v40
	v_cndmask_b32_e32 v35, 0x7fc00000, v44, vcc_lo
	v_cmp_o_f32_e32 vcc_lo, v34, v34
	v_add3_u32 v45, v34, v45, 0x7fff
	v_and_b32_e32 v36, 0xffff0000, v36
	v_bfe_u32 v40, v39, 16, 1
	v_mul_f32_e32 v35, v35, v37
	v_bfe_u32 v37, v38, 16, 1
	v_and_b32_e32 v42, 0xffff0000, v45
	s_delay_alu instid0(VALU_DEP_2) | instskip(NEXT) | instid1(VALU_DEP_2)
	v_add3_u32 v37, v38, v37, 0x7fff
	v_cndmask_b32_e32 v34, 0x7fc00000, v42, vcc_lo
	v_cmp_o_f32_e32 vcc_lo, v39, v39
	s_delay_alu instid0(VALU_DEP_2) | instskip(SKIP_2) | instid1(VALU_DEP_3)
	v_dual_mul_f32 v34, v34, v36 :: v_dual_and_b32 v37, 0xffff0000, v37
	v_add3_u32 v36, v39, v40, 0x7fff
	v_bfe_u32 v40, v35, 16, 1
	v_bfe_u32 v41, v34, 16, 1
	s_delay_alu instid0(VALU_DEP_3) | instskip(NEXT) | instid1(VALU_DEP_3)
	v_and_b32_e32 v36, 0xffff0000, v36
	v_add3_u32 v40, v35, v40, 0x7fff
	s_delay_alu instid0(VALU_DEP_3) | instskip(NEXT) | instid1(VALU_DEP_3)
	v_add3_u32 v41, v34, v41, 0x7fff
	v_cndmask_b32_e64 v36, 0x7fc00000, |v36|, vcc_lo
	v_cmp_o_f32_e32 vcc_lo, v38, v38
	s_delay_alu instid0(VALU_DEP_4) | instskip(NEXT) | instid1(VALU_DEP_4)
	v_and_b32_e32 v39, 0xffff0000, v40
	v_and_b32_e32 v38, 0xffff0000, v41
	v_cndmask_b32_e64 v37, 0x7fc00000, |v37|, vcc_lo
	v_add_co_u32 v13, vcc_lo, s24, v13
	v_add_co_ci_u32_e32 v14, vcc_lo, s17, v14, vcc_lo
	v_cmp_o_f32_e32 vcc_lo, v34, v34
	s_delay_alu instid0(VALU_DEP_4) | instskip(SKIP_4) | instid1(VALU_DEP_2)
	v_max3_f32 v4, v4, v36, v37
	v_cndmask_b32_e64 v34, 0x7fc00000, |v38|, vcc_lo
	v_cmp_o_f32_e32 vcc_lo, v35, v35
	v_cndmask_b32_e64 v35, 0x7fc00000, |v39|, vcc_lo
	v_cmp_lt_i64_e32 vcc_lo, v[13:14], v[9:10]
                                        ; implicit-def: $vgpr13_vgpr14
	v_max3_f32 v4, v4, v34, v35
	s_and_saveexec_b32 s31, vcc_lo
	s_delay_alu instid0(SALU_CYCLE_1)
	s_xor_b32 s31, exec_lo, s31
	s_cbranch_execz .LBB76_18
; %bb.24:                               ;   in Loop: Header=BB76_21 Depth=1
	v_add_co_u32 v13, vcc_lo, v17, v11
	v_add_co_ci_u32_e32 v14, vcc_lo, v18, v12, vcc_lo
	v_add_co_u32 v34, vcc_lo, v25, v11
	v_add_co_ci_u32_e32 v35, vcc_lo, v26, v12, vcc_lo
	v_add_co_u32 v17, vcc_lo, v17, s22
	global_load_b64 v[13:14], v[13:14], off
	global_load_b64 v[34:35], v[34:35], off
	v_add_co_ci_u32_e32 v18, vcc_lo, s23, v18, vcc_lo
	v_add_co_u32 v19, vcc_lo, v19, s22
	v_add_co_ci_u32_e32 v20, vcc_lo, s23, v20, vcc_lo
	v_add_co_u32 v21, vcc_lo, v21, s22
	;; [unrolled: 2-line block ×5, first 2 shown]
	v_add_co_ci_u32_e32 v29, vcc_lo, s23, v29, vcc_lo
	s_add_u32 s3, s20, s20
	s_addc_u32 s33, s21, s21
	s_add_u32 s3, s3, s20
	s_addc_u32 s33, s33, s21
	s_waitcnt vmcnt(1)
	v_lshlrev_b32_e32 v37, 16, v13
	s_waitcnt vmcnt(0)
	v_and_b32_e32 v38, 0xffff0000, v34
	v_lshlrev_b32_e32 v39, 16, v34
	v_alignbit_b32 v34, v35, v34, 16
	v_mul_f32_e32 v37, v28, v37
	s_delay_alu instid0(VALU_DEP_1) | instskip(SKIP_1) | instid1(VALU_DEP_2)
	v_bfe_u32 v40, v37, 16, 1
	v_cmp_o_f32_e32 vcc_lo, v37, v37
	v_add3_u32 v40, v37, v40, 0x7fff
	s_delay_alu instid0(VALU_DEP_1) | instskip(NEXT) | instid1(VALU_DEP_1)
	v_and_b32_e32 v40, 0xffff0000, v40
	v_cndmask_b32_e32 v37, 0x7fc00000, v40, vcc_lo
	v_and_b32_e32 v36, 0xffff0000, v13
	v_alignbit_b32 v13, v14, v13, 16
	s_delay_alu instid0(VALU_DEP_2) | instskip(NEXT) | instid1(VALU_DEP_2)
	v_dual_mul_f32 v37, v37, v39 :: v_dual_mul_f32 v36, v28, v36
	v_and_b32_e32 v13, 0xffff0000, v13
	v_and_b32_e32 v14, 0xffff0000, v14
	s_delay_alu instid0(VALU_DEP_3) | instskip(NEXT) | instid1(VALU_DEP_3)
	v_bfe_u32 v41, v36, 16, 1
	v_mul_f32_e32 v13, v28, v13
	s_delay_alu instid0(VALU_DEP_3) | instskip(SKIP_1) | instid1(VALU_DEP_4)
	v_mul_f32_e32 v14, v28, v14
	v_cmp_o_f32_e32 vcc_lo, v36, v36
	v_add3_u32 v41, v36, v41, 0x7fff
	s_delay_alu instid0(VALU_DEP_4) | instskip(NEXT) | instid1(VALU_DEP_4)
	v_bfe_u32 v43, v13, 16, 1
	v_bfe_u32 v42, v14, 16, 1
	s_delay_alu instid0(VALU_DEP_3) | instskip(NEXT) | instid1(VALU_DEP_3)
	v_and_b32_e32 v41, 0xffff0000, v41
	v_add3_u32 v43, v13, v43, 0x7fff
	s_delay_alu instid0(VALU_DEP_3) | instskip(NEXT) | instid1(VALU_DEP_3)
	v_add3_u32 v42, v14, v42, 0x7fff
	v_cndmask_b32_e32 v36, 0x7fc00000, v41, vcc_lo
	v_cmp_o_f32_e32 vcc_lo, v14, v14
	s_delay_alu instid0(VALU_DEP_3) | instskip(SKIP_3) | instid1(VALU_DEP_4)
	v_and_b32_e32 v42, 0xffff0000, v42
	v_and_b32_e32 v35, 0xffff0000, v35
	;; [unrolled: 1-line block ×3, first 2 shown]
	v_mul_f32_e32 v36, v36, v38
	v_cndmask_b32_e32 v14, 0x7fc00000, v42, vcc_lo
	v_and_b32_e32 v34, 0xffff0000, v34
	v_cmp_o_f32_e32 vcc_lo, v13, v13
	s_delay_alu instid0(VALU_DEP_4) | instskip(NEXT) | instid1(VALU_DEP_4)
	v_bfe_u32 v38, v36, 16, 1
	v_mul_f32_e32 v35, v14, v35
	v_bfe_u32 v14, v37, 16, 1
	v_cndmask_b32_e32 v13, 0x7fc00000, v40, vcc_lo
	s_delay_alu instid0(VALU_DEP_4) | instskip(SKIP_1) | instid1(VALU_DEP_4)
	v_add3_u32 v38, v36, v38, 0x7fff
	v_cmp_o_f32_e32 vcc_lo, v37, v37
	v_add3_u32 v14, v37, v14, 0x7fff
	s_delay_alu instid0(VALU_DEP_4) | instskip(SKIP_2) | instid1(VALU_DEP_4)
	v_mul_f32_e32 v34, v13, v34
	v_bfe_u32 v13, v35, 16, 1
	v_and_b32_e32 v38, 0xffff0000, v38
	v_and_b32_e32 v14, 0xffff0000, v14
	s_delay_alu instid0(VALU_DEP_4) | instskip(NEXT) | instid1(VALU_DEP_4)
	v_bfe_u32 v39, v34, 16, 1
	v_add3_u32 v13, v35, v13, 0x7fff
	s_delay_alu instid0(VALU_DEP_3) | instskip(SKIP_1) | instid1(VALU_DEP_3)
	v_cndmask_b32_e64 v37, 0x7fc00000, |v14|, vcc_lo
	v_cmp_o_f32_e32 vcc_lo, v36, v36
	v_and_b32_e32 v40, 0xffff0000, v13
	v_add3_u32 v39, v34, v39, 0x7fff
	v_cndmask_b32_e64 v36, 0x7fc00000, |v38|, vcc_lo
	v_add_co_u32 v13, vcc_lo, s3, v15
	v_add_co_ci_u32_e32 v14, vcc_lo, s33, v16, vcc_lo
	v_cmp_o_f32_e32 vcc_lo, v35, v35
	v_and_b32_e32 v15, 0xffff0000, v39
	v_max3_f32 v4, v4, v37, v36
	v_add_co_u32 v32, s3, v32, s22
	v_cndmask_b32_e64 v16, 0x7fc00000, |v40|, vcc_lo
	v_cmp_o_f32_e32 vcc_lo, v34, v34
	v_add_co_ci_u32_e64 v33, s3, s23, v33, s3
	v_cndmask_b32_e64 v15, 0x7fc00000, |v15|, vcc_lo
	v_add_co_u32 v30, vcc_lo, v30, s22
	v_add_co_ci_u32_e32 v31, vcc_lo, s23, v31, vcc_lo
	v_cmp_ge_i64_e32 vcc_lo, v[13:14], v[9:10]
	s_delay_alu instid0(VALU_DEP_4)
	v_max3_f32 v4, v4, v15, v16
	s_or_not1_b32 s3, vcc_lo, exec_lo
	s_branch .LBB76_18
.LBB76_25:
	s_or_b32 exec_lo, exec_lo, s25
.LBB76_26:
	s_delay_alu instid0(SALU_CYCLE_1)
	s_or_b32 exec_lo, exec_lo, s13
	s_lshr_b32 s13, s27, 5
	s_ashr_i32 s17, s16, 31
	v_cvt_f32_u32_e32 v9, s13
	s_sub_i32 s8, 0, s13
	s_add_i32 s9, s16, s13
	v_lshlrev_b32_e32 v29, 2, v0
	s_add_i32 s9, s9, -1
	v_rcp_iflag_f32_e32 v9, v9
	s_abs_i32 s22, s9
	s_ashr_i32 s9, s9, 31
	ds_store_b32 v29, v4
	s_waitcnt lgkmcnt(0)
	s_barrier
	buffer_gl0_inv
	v_mul_f32_e32 v9, 0x4f7ffffe, v9
	s_delay_alu instid0(VALU_DEP_1) | instskip(NEXT) | instid1(VALU_DEP_1)
	v_cvt_u32_f32_e32 v9, v9
	v_readfirstlane_b32 s3, v9
	s_delay_alu instid0(VALU_DEP_1) | instskip(NEXT) | instid1(SALU_CYCLE_1)
	s_mul_i32 s8, s8, s3
	s_mul_hi_u32 s8, s3, s8
	s_delay_alu instid0(SALU_CYCLE_1) | instskip(NEXT) | instid1(SALU_CYCLE_1)
	s_add_i32 s3, s3, s8
	s_mul_hi_u32 s3, s22, s3
	s_delay_alu instid0(SALU_CYCLE_1) | instskip(NEXT) | instid1(SALU_CYCLE_1)
	s_mul_i32 s8, s3, s13
	s_sub_i32 s8, s22, s8
	s_add_i32 s22, s3, 1
	s_sub_i32 s23, s8, s13
	s_cmp_ge_u32 s8, s13
	s_cselect_b32 s3, s22, s3
	s_cselect_b32 s8, s23, s8
	s_add_i32 s22, s3, 1
	s_cmp_ge_u32 s8, s13
	s_cselect_b32 s3, s22, s3
	s_delay_alu instid0(SALU_CYCLE_1) | instskip(NEXT) | instid1(SALU_CYCLE_1)
	s_xor_b32 s3, s3, s9
	s_sub_i32 s8, s3, s9
	s_delay_alu instid0(SALU_CYCLE_1) | instskip(NEXT) | instid1(SALU_CYCLE_1)
	s_ashr_i32 s9, s8, 31
	v_cmp_lt_i64_e64 s3, s[8:9], 1
	s_delay_alu instid0(VALU_DEP_1)
	s_and_b32 vcc_lo, exec_lo, s3
	s_cbranch_vccnz .LBB76_46
; %bb.27:
	v_lshrrev_b32_e32 v9, 5, v0
	v_and_b32_e32 v4, 31, v0
	s_mov_b64 s[22:23], 0
	s_mov_b64 s[24:25], src_shared_base
	s_delay_alu instid0(VALU_DEP_2) | instskip(NEXT) | instid1(VALU_DEP_2)
	v_mul_lo_u32 v19, s20, v9
	v_add_co_u32 v11, s3, v4, 16
	s_delay_alu instid0(VALU_DEP_1) | instskip(SKIP_1) | instid1(VALU_DEP_1)
	v_add_co_ci_u32_e64 v12, null, 0, 0, s3
	v_add_co_u32 v13, s3, v4, 8
	v_add_co_ci_u32_e64 v14, null, 0, 0, s3
	v_add_co_u32 v15, s3, v4, 4
	v_dual_mov_b32 v10, 0 :: v_dual_lshlrev_b32 v21, 2, v19
	v_lshlrev_b32_e32 v22, 2, v4
	v_add_co_ci_u32_e64 v16, null, 0, 0, s3
	v_add_co_u32 v17, s3, v4, 2
	s_delay_alu instid0(VALU_DEP_1) | instskip(SKIP_1) | instid1(VALU_DEP_1)
	v_add_co_ci_u32_e64 v18, null, 0, 0, s3
	v_add_co_u32 v19, s3, v4, 1
	v_add_co_ci_u32_e64 v20, null, 0, 0, s3
	v_add3_u32 v30, v21, v22, 0x80
	s_mul_i32 s3, s20, s13
	s_delay_alu instid0(SALU_CYCLE_1)
	s_lshl_b32 s28, s3, 2
	s_branch .LBB76_30
.LBB76_28:                              ;   in Loop: Header=BB76_30 Depth=1
	s_or_b32 exec_lo, exec_lo, s3
	v_mov_b32_e32 v22, s25
	flat_load_b32 v21, v[21:22] glc dlc
	s_waitcnt vmcnt(0)
.LBB76_29:                              ;   in Loop: Header=BB76_30 Depth=1
	s_or_b32 exec_lo, exec_lo, s24
	s_add_u32 s22, s22, 1
	v_add_nc_u32_e32 v30, s28, v30
	s_addc_u32 s23, s23, 0
	s_delay_alu instid0(SALU_CYCLE_1)
	s_cmp_eq_u64 s[22:23], s[8:9]
	s_cbranch_scc1 .LBB76_46
.LBB76_30:                              ; =>This Loop Header: Depth=1
                                        ;     Child Loop BB76_33 Depth 2
	s_waitcnt lgkmcnt(0)
	v_mad_u64_u32 v[21:22], null, s22, s13, v[9:10]
	s_mov_b32 s24, exec_lo
	s_delay_alu instid0(VALU_DEP_1) | instskip(NEXT) | instid1(VALU_DEP_1)
	v_mad_u64_u32 v[23:24], null, s23, s13, v[22:23]
	v_mov_b32_e32 v22, v23
	s_delay_alu instid0(VALU_DEP_1)
	v_cmpx_gt_i64_e64 s[16:17], v[21:22]
	s_cbranch_execz .LBB76_29
; %bb.31:                               ;   in Loop: Header=BB76_30 Depth=1
	v_mul_lo_u32 v24, v22, s20
	v_mul_lo_u32 v25, v21, s21
	v_mad_u64_u32 v[22:23], null, v21, s20, 0
	s_delay_alu instid0(VALU_DEP_1) | instskip(NEXT) | instid1(VALU_DEP_2)
	v_add3_u32 v23, v23, v25, v24
	v_add_co_u32 v24, vcc_lo, v22, s20
	v_add_co_u32 v31, s3, v22, v4
	s_delay_alu instid0(VALU_DEP_3) | instskip(SKIP_2) | instid1(VALU_DEP_2)
	v_add_co_ci_u32_e32 v25, vcc_lo, s21, v23, vcc_lo
	v_add_co_ci_u32_e64 v21, s3, 0, v23, s3
	s_mov_b32 s3, exec_lo
	v_cmp_gt_i64_e32 vcc_lo, s[18:19], v[24:25]
	v_cndmask_b32_e32 v25, s19, v25, vcc_lo
	v_cndmask_b32_e32 v24, s18, v24, vcc_lo
	v_add_co_u32 v26, vcc_lo, v31, 32
	v_add_co_ci_u32_e32 v27, vcc_lo, 0, v21, vcc_lo
	v_lshlrev_b32_e32 v21, 2, v31
	s_delay_alu instid0(VALU_DEP_2)
	v_cmpx_lt_i64_e64 v[26:27], v[24:25]
	s_cbranch_execz .LBB76_34
; %bb.32:                               ;   in Loop: Header=BB76_30 Depth=1
	ds_load_b32 v33, v21
	v_mov_b32_e32 v32, v30
	s_mov_b32 s29, 0
.LBB76_33:                              ;   Parent Loop BB76_30 Depth=1
                                        ; =>  This Inner Loop Header: Depth=2
	ds_load_b32 v34, v32
	v_add_co_u32 v26, vcc_lo, v26, 32
	v_add_co_ci_u32_e32 v27, vcc_lo, 0, v27, vcc_lo
	s_waitcnt lgkmcnt(1)
	v_dual_max_f32 v33, v33, v33 :: v_dual_add_nc_u32 v32, 0x80, v32
	s_delay_alu instid0(VALU_DEP_2) | instskip(SKIP_3) | instid1(VALU_DEP_1)
	v_cmp_ge_i64_e32 vcc_lo, v[26:27], v[24:25]
	s_or_b32 s29, vcc_lo, s29
	s_waitcnt lgkmcnt(0)
	v_max_f32_e32 v34, v34, v34
	v_max_f32_e32 v33, v33, v34
	ds_store_b32 v21, v33
	s_and_not1_b32 exec_lo, exec_lo, s29
	s_cbranch_execnz .LBB76_33
.LBB76_34:                              ;   in Loop: Header=BB76_30 Depth=1
	s_or_b32 exec_lo, exec_lo, s3
	v_sub_co_u32 v22, vcc_lo, v24, v22
	v_sub_co_ci_u32_e32 v23, vcc_lo, v25, v23, vcc_lo
	s_mov_b32 s3, exec_lo
	s_delay_alu instid0(VALU_DEP_1) | instskip(SKIP_1) | instid1(VALU_DEP_1)
	v_cmp_gt_i64_e32 vcc_lo, 32, v[22:23]
	v_dual_cndmask_b32 v24, 0, v23 :: v_dual_cndmask_b32 v23, 32, v22
	v_cmpx_lt_i64_e64 v[11:12], v[23:24]
	s_cbranch_execz .LBB76_36
; %bb.35:                               ;   in Loop: Header=BB76_30 Depth=1
	v_dual_mov_b32 v22, s25 :: v_dual_add_nc_u32 v25, 64, v21
	v_mov_b32_e32 v26, s25
	flat_load_b32 v27, v[21:22] glc dlc
	s_waitcnt vmcnt(0)
	flat_load_b32 v25, v[25:26] glc dlc
	s_waitcnt vmcnt(0) lgkmcnt(0)
	v_dual_max_f32 v26, v27, v27 :: v_dual_max_f32 v25, v25, v25
	s_delay_alu instid0(VALU_DEP_1)
	v_max_f32_e32 v25, v26, v25
	flat_store_b32 v[21:22], v25 dlc
	s_waitcnt_vscnt null, 0x0
.LBB76_36:                              ;   in Loop: Header=BB76_30 Depth=1
	s_or_b32 exec_lo, exec_lo, s3
	s_delay_alu instid0(SALU_CYCLE_1)
	s_mov_b32 s3, exec_lo
	v_cmpx_lt_i64_e64 v[13:14], v[23:24]
	s_cbranch_execz .LBB76_38
; %bb.37:                               ;   in Loop: Header=BB76_30 Depth=1
	v_dual_mov_b32 v22, s25 :: v_dual_add_nc_u32 v25, 32, v21
	v_mov_b32_e32 v26, s25
	flat_load_b32 v27, v[21:22] glc dlc
	s_waitcnt vmcnt(0)
	flat_load_b32 v25, v[25:26] glc dlc
	s_waitcnt vmcnt(0) lgkmcnt(0)
	v_dual_max_f32 v26, v27, v27 :: v_dual_max_f32 v25, v25, v25
	s_delay_alu instid0(VALU_DEP_1)
	v_max_f32_e32 v25, v26, v25
	flat_store_b32 v[21:22], v25 dlc
	s_waitcnt_vscnt null, 0x0
.LBB76_38:                              ;   in Loop: Header=BB76_30 Depth=1
	s_or_b32 exec_lo, exec_lo, s3
	s_delay_alu instid0(SALU_CYCLE_1)
	s_mov_b32 s3, exec_lo
	v_cmpx_ge_i64_e64 v[15:16], v[23:24]
	s_xor_b32 s3, exec_lo, s3
; %bb.39:                               ;   in Loop: Header=BB76_30 Depth=1
                                        ; implicit-def: $vgpr21
; %bb.40:                               ;   in Loop: Header=BB76_30 Depth=1
	s_delay_alu instid0(SALU_CYCLE_1)
	s_and_not1_saveexec_b32 s3, s3
	s_cbranch_execz .LBB76_42
; %bb.41:                               ;   in Loop: Header=BB76_30 Depth=1
	v_dual_mov_b32 v22, s25 :: v_dual_add_nc_u32 v25, 16, v21
	v_mov_b32_e32 v26, s25
	flat_load_b32 v27, v[21:22] glc dlc
	s_waitcnt vmcnt(0)
	flat_load_b32 v25, v[25:26] glc dlc
	s_waitcnt vmcnt(0) lgkmcnt(0)
	v_dual_max_f32 v26, v27, v27 :: v_dual_max_f32 v25, v25, v25
	s_delay_alu instid0(VALU_DEP_1)
	v_max_f32_e32 v25, v26, v25
	flat_store_b32 v[21:22], v25 dlc
	s_waitcnt_vscnt null, 0x0
.LBB76_42:                              ;   in Loop: Header=BB76_30 Depth=1
	s_or_b32 exec_lo, exec_lo, s3
	v_lshlrev_b32_e32 v21, 2, v31
	s_mov_b32 s3, exec_lo
	v_cmpx_lt_i64_e64 v[17:18], v[23:24]
	s_cbranch_execz .LBB76_44
; %bb.43:                               ;   in Loop: Header=BB76_30 Depth=1
	s_delay_alu instid0(VALU_DEP_2)
	v_dual_mov_b32 v22, s25 :: v_dual_add_nc_u32 v25, 8, v21
	v_mov_b32_e32 v26, s25
	flat_load_b32 v27, v[21:22] glc dlc
	s_waitcnt vmcnt(0)
	flat_load_b32 v25, v[25:26] glc dlc
	s_waitcnt vmcnt(0) lgkmcnt(0)
	v_dual_max_f32 v26, v27, v27 :: v_dual_max_f32 v25, v25, v25
	s_delay_alu instid0(VALU_DEP_1)
	v_max_f32_e32 v25, v26, v25
	flat_store_b32 v[21:22], v25 dlc
	s_waitcnt_vscnt null, 0x0
.LBB76_44:                              ;   in Loop: Header=BB76_30 Depth=1
	s_or_b32 exec_lo, exec_lo, s3
	s_delay_alu instid0(SALU_CYCLE_1)
	s_mov_b32 s3, exec_lo
	v_cmpx_lt_i64_e64 v[19:20], v[23:24]
	s_cbranch_execz .LBB76_28
; %bb.45:                               ;   in Loop: Header=BB76_30 Depth=1
	v_dual_mov_b32 v22, s25 :: v_dual_add_nc_u32 v23, 4, v21
	v_mov_b32_e32 v24, s25
	flat_load_b32 v25, v[21:22] glc dlc
	s_waitcnt vmcnt(0)
	flat_load_b32 v23, v[23:24] glc dlc
	s_waitcnt vmcnt(0) lgkmcnt(0)
	v_dual_max_f32 v24, v25, v25 :: v_dual_max_f32 v23, v23, v23
	s_delay_alu instid0(VALU_DEP_1)
	v_max_f32_e32 v23, v24, v23
	flat_store_b32 v[21:22], v23 dlc
	s_waitcnt_vscnt null, 0x0
	s_branch .LBB76_28
.LBB76_46:
	v_cmp_lt_i64_e32 vcc_lo, v[7:8], v[5:6]
	v_cmp_eq_u32_e64 s3, 0, v3
	s_mul_i32 s13, s17, s15
	s_mul_hi_u32 s17, s16, s15
	s_mul_i32 s8, s16, s15
	s_waitcnt lgkmcnt(0)
	s_and_b32 s9, s3, vcc_lo
	s_barrier
	buffer_gl0_inv
	s_and_saveexec_b32 s3, s9
	s_cbranch_execz .LBB76_50
; %bb.47:
	s_load_b64 s[0:1], s[0:1], 0x20
	ds_load_b32 v3, v29
	s_waitcnt lgkmcnt(0)
	s_cmp_eq_u64 s[0:1], 0
	s_cbranch_scc1 .LBB76_49
; %bb.48:
	s_load_b32 s0, s[0:1], 0x0
	v_max_f32_e32 v3, v3, v3
	s_waitcnt lgkmcnt(0)
	v_max_f32_e64 v4, s0, s0
	s_delay_alu instid0(VALU_DEP_1)
	v_min_f32_e32 v3, v3, v4
.LBB76_49:
	s_delay_alu instid0(VALU_DEP_1) | instskip(SKIP_2) | instid1(VALU_DEP_2)
	v_div_scale_f32 v4, null, 0x43600000, 0x43600000, v3
	v_div_scale_f32 v7, vcc_lo, v3, 0x43600000, v3
	s_add_i32 s9, s17, s13
	v_rcp_f32_e32 v5, v4
	v_lshlrev_b64 v[1:2], 2, v[1:2]
	s_lshl_b64 s[0:1], s[8:9], 2
	s_delay_alu instid0(SALU_CYCLE_1) | instskip(SKIP_3) | instid1(VALU_DEP_1)
	s_add_u32 s0, s6, s0
	s_addc_u32 s1, s7, s1
	s_waitcnt_depctr 0xfff
	v_fma_f32 v6, -v4, v5, 1.0
	v_fmac_f32_e32 v5, v6, v5
	s_delay_alu instid0(VALU_DEP_1) | instskip(NEXT) | instid1(VALU_DEP_1)
	v_mul_f32_e32 v6, v7, v5
	v_fma_f32 v8, -v4, v6, v7
	s_delay_alu instid0(VALU_DEP_1) | instskip(NEXT) | instid1(VALU_DEP_1)
	v_fmac_f32_e32 v6, v8, v5
	v_fma_f32 v4, -v4, v6, v7
	s_delay_alu instid0(VALU_DEP_1) | instskip(SKIP_2) | instid1(VALU_DEP_3)
	v_div_fmas_f32 v4, v4, v5, v6
	v_add_co_u32 v1, vcc_lo, s0, v1
	v_add_co_ci_u32_e32 v2, vcc_lo, s1, v2, vcc_lo
	v_div_fixup_f32 v3, v4, 0x43600000, v3
	s_delay_alu instid0(VALU_DEP_1)
	v_max_f32_e32 v3, 0x37124925, v3
	global_store_b32 v[1:2], v3, off
.LBB76_50:
	s_or_b32 exec_lo, exec_lo, s3
	s_waitcnt_vscnt null, 0x0
	s_barrier
	buffer_gl0_inv
	s_and_saveexec_b32 s0, s2
	s_cbranch_execz .LBB76_187
; %bb.51:
	s_mul_i32 s0, s19, s15
	s_mul_hi_u32 s1, s18, s15
	s_mul_i32 s2, s18, s15
	s_add_i32 s1, s1, s0
	s_add_u32 s2, s4, s2
	s_addc_u32 s3, s5, s1
	s_add_i32 s9, s17, s13
	v_mov_b32_e32 v1, 0
	s_lshl_b64 s[0:1], s[8:9], 2
	s_mul_i32 s4, s27, 3
	s_add_u32 s0, s6, s0
	s_addc_u32 s1, s7, s1
	s_lshl_b32 s5, s27, 1
	s_mov_b32 s6, 0
	s_mov_b32 s7, 0x43600000
	s_branch .LBB76_57
.LBB76_52:                              ;   in Loop: Header=BB76_57 Depth=1
	s_or_b32 exec_lo, exec_lo, s17
.LBB76_53:                              ;   in Loop: Header=BB76_57 Depth=1
	s_delay_alu instid0(SALU_CYCLE_1)
	s_or_b32 exec_lo, exec_lo, s15
	v_lshlrev_b32_e32 v6, 16, v5
	v_lshlrev_b64 v[4:5], 2, v[0:1]
	v_lshlrev_b32_e32 v8, 8, v9
	s_add_i32 s15, s27, s27
	v_and_b32_e32 v7, 0xff, v7
	v_add3_u32 v0, s15, s27, v2
	v_perm_b32 v6, v3, v6, 0x4020c0c
	v_and_b32_e32 v8, 0xff00, v8
	v_add_co_u32 v2, vcc_lo, s2, v4
	v_add_co_ci_u32_e32 v3, vcc_lo, s3, v5, vcc_lo
	v_cmp_le_u32_e32 vcc_lo, s12, v0
	s_delay_alu instid0(VALU_DEP_4)
	v_or3_b32 v4, v6, v8, v7
	s_or_not1_b32 s15, vcc_lo, exec_lo
	global_store_b32 v[2:3], v4, off
.LBB76_54:                              ;   in Loop: Header=BB76_57 Depth=1
	s_or_b32 exec_lo, exec_lo, s13
	s_delay_alu instid0(SALU_CYCLE_1)
	s_or_not1_b32 s13, s15, exec_lo
.LBB76_55:                              ;   in Loop: Header=BB76_57 Depth=1
	s_or_b32 exec_lo, exec_lo, s9
	s_delay_alu instid0(SALU_CYCLE_1)
	s_or_not1_b32 s9, s13, exec_lo
.LBB76_56:                              ;   in Loop: Header=BB76_57 Depth=1
	s_or_b32 exec_lo, exec_lo, s8
	s_delay_alu instid0(SALU_CYCLE_1) | instskip(NEXT) | instid1(SALU_CYCLE_1)
	s_and_b32 s8, exec_lo, s9
	s_or_b32 s6, s8, s6
	s_delay_alu instid0(SALU_CYCLE_1)
	s_and_not1_b32 exec_lo, exec_lo, s6
	s_cbranch_execz .LBB76_187
.LBB76_57:                              ; =>This Inner Loop Header: Depth=1
	v_lshlrev_b64 v[2:3], 3, v[0:1]
	v_lshrrev_b32_e32 v6, 3, v0
	s_mov_b32 s8, exec_lo
	s_delay_alu instid0(VALU_DEP_2) | instskip(NEXT) | instid1(VALU_DEP_3)
	v_add_co_u32 v4, vcc_lo, s14, v2
	v_add_co_ci_u32_e32 v5, vcc_lo, s26, v3, vcc_lo
	v_add_co_u32 v2, vcc_lo, s10, v2
	v_add_co_ci_u32_e32 v3, vcc_lo, s11, v3, vcc_lo
	global_load_b64 v[4:5], v[4:5], off
	global_load_b64 v[2:3], v[2:3], off
	s_waitcnt vmcnt(1)
	v_lshlrev_b32_e32 v7, 16, v4
	v_and_b32_e32 v6, 0x7fffffc, v6
	s_waitcnt vmcnt(0)
	v_lshlrev_b32_e32 v9, 16, v2
	s_delay_alu instid0(VALU_DEP_3) | instskip(SKIP_3) | instid1(VALU_DEP_2)
	v_mul_f32_e32 v7, v28, v7
	global_load_b32 v6, v6, s[0:1]
	v_bfe_u32 v8, v7, 16, 1
	v_cmp_o_f32_e32 vcc_lo, v7, v7
	v_add3_u32 v8, v7, v8, 0x7fff
	s_delay_alu instid0(VALU_DEP_1) | instskip(NEXT) | instid1(VALU_DEP_1)
	v_and_b32_e32 v8, 0xffff0000, v8
	v_cndmask_b32_e32 v7, 0x7fc00000, v8, vcc_lo
	s_delay_alu instid0(VALU_DEP_1) | instskip(NEXT) | instid1(VALU_DEP_1)
	v_mul_f32_e32 v7, v7, v9
	v_bfe_u32 v8, v7, 16, 1
	v_cmp_o_f32_e32 vcc_lo, v7, v7
	s_delay_alu instid0(VALU_DEP_2) | instskip(NEXT) | instid1(VALU_DEP_1)
	v_add3_u32 v8, v7, v8, 0x7fff
	v_and_b32_e32 v8, 0xffff0000, v8
	s_delay_alu instid0(VALU_DEP_1) | instskip(SKIP_1) | instid1(VALU_DEP_1)
	v_cndmask_b32_e32 v7, 0x7fc00000, v8, vcc_lo
	s_waitcnt vmcnt(0)
	v_div_scale_f32 v8, null, v6, v6, v7
	v_div_scale_f32 v11, vcc_lo, v7, v6, v7
	s_delay_alu instid0(VALU_DEP_2) | instskip(SKIP_2) | instid1(VALU_DEP_1)
	v_rcp_f32_e32 v9, v8
	s_waitcnt_depctr 0xfff
	v_fma_f32 v10, -v8, v9, 1.0
	v_fmac_f32_e32 v9, v10, v9
	s_delay_alu instid0(VALU_DEP_1) | instskip(NEXT) | instid1(VALU_DEP_1)
	v_mul_f32_e32 v10, v11, v9
	v_fma_f32 v12, -v8, v10, v11
	s_delay_alu instid0(VALU_DEP_1) | instskip(NEXT) | instid1(VALU_DEP_1)
	v_fmac_f32_e32 v10, v12, v9
	v_fma_f32 v8, -v8, v10, v11
	s_delay_alu instid0(VALU_DEP_1) | instskip(NEXT) | instid1(VALU_DEP_1)
	v_div_fmas_f32 v8, v8, v9, v10
	v_div_fixup_f32 v7, v8, v6, v7
	v_mov_b32_e32 v8, 0x80
	s_delay_alu instid0(VALU_DEP_2) | instskip(SKIP_1) | instid1(VALU_DEP_2)
	v_minmax_f32 v9, v7, s7, 0xc3600000
	v_mov_b32_e32 v7, 0x80
	v_and_b32_e32 v10, 0x7fffffff, v9
	s_delay_alu instid0(VALU_DEP_1)
	v_cmpx_gt_u32_e32 0x43800000, v10
	s_cbranch_execz .LBB76_63
; %bb.58:                               ;   in Loop: Header=BB76_57 Depth=1
	v_cmp_lt_u32_e32 vcc_lo, 0x3bffffff, v10
	s_mov_b32 s9, 0
                                        ; implicit-def: $vgpr10
	s_and_saveexec_b32 s13, vcc_lo
	s_delay_alu instid0(SALU_CYCLE_1)
	s_xor_b32 s13, exec_lo, s13
	s_cbranch_execnz .LBB76_154
; %bb.59:                               ;   in Loop: Header=BB76_57 Depth=1
	s_or_saveexec_b32 s13, s13
                                        ; implicit-def: $sgpr15
	s_delay_alu instid0(SALU_CYCLE_1)
	s_xor_b32 exec_lo, exec_lo, s13
	s_cbranch_execnz .LBB76_155
.LBB76_60:                              ;   in Loop: Header=BB76_57 Depth=1
	s_or_b32 exec_lo, exec_lo, s13
	v_mov_b32_e32 v8, s15
	s_and_saveexec_b32 s13, s9
.LBB76_61:                              ;   in Loop: Header=BB76_57 Depth=1
	v_lshrrev_b32_e32 v8, 24, v9
	s_delay_alu instid0(VALU_DEP_1)
	v_and_or_b32 v8, 0x80, v8, v10
.LBB76_62:                              ;   in Loop: Header=BB76_57 Depth=1
	s_or_b32 exec_lo, exec_lo, s13
.LBB76_63:                              ;   in Loop: Header=BB76_57 Depth=1
	s_delay_alu instid0(SALU_CYCLE_1) | instskip(SKIP_3) | instid1(VALU_DEP_2)
	s_or_b32 exec_lo, exec_lo, s8
	v_and_b32_e32 v9, 0xffff0000, v4
	v_and_b32_e32 v11, 0xffff0000, v2
	s_mov_b32 s8, exec_lo
	v_mul_f32_e32 v9, v28, v9
	s_delay_alu instid0(VALU_DEP_1) | instskip(NEXT) | instid1(VALU_DEP_1)
	v_bfe_u32 v10, v9, 16, 1
	v_add3_u32 v10, v9, v10, 0x7fff
	s_delay_alu instid0(VALU_DEP_1) | instskip(SKIP_1) | instid1(VALU_DEP_2)
	v_and_b32_e32 v10, 0xffff0000, v10
	v_cmp_o_f32_e32 vcc_lo, v9, v9
	v_cndmask_b32_e32 v9, 0x7fc00000, v10, vcc_lo
	s_delay_alu instid0(VALU_DEP_1) | instskip(NEXT) | instid1(VALU_DEP_1)
	v_mul_f32_e32 v9, v9, v11
	v_bfe_u32 v10, v9, 16, 1
	s_delay_alu instid0(VALU_DEP_1) | instskip(NEXT) | instid1(VALU_DEP_1)
	v_add3_u32 v10, v9, v10, 0x7fff
	v_and_b32_e32 v10, 0xffff0000, v10
	v_cmp_o_f32_e32 vcc_lo, v9, v9
	s_delay_alu instid0(VALU_DEP_2) | instskip(NEXT) | instid1(VALU_DEP_1)
	v_cndmask_b32_e32 v9, 0x7fc00000, v10, vcc_lo
	v_div_scale_f32 v10, null, v6, v6, v9
	s_delay_alu instid0(VALU_DEP_1) | instskip(SKIP_2) | instid1(VALU_DEP_1)
	v_rcp_f32_e32 v11, v10
	s_waitcnt_depctr 0xfff
	v_fma_f32 v12, -v10, v11, 1.0
	v_fmac_f32_e32 v11, v12, v11
	v_div_scale_f32 v12, vcc_lo, v9, v6, v9
	s_delay_alu instid0(VALU_DEP_1) | instskip(NEXT) | instid1(VALU_DEP_1)
	v_mul_f32_e32 v13, v12, v11
	v_fma_f32 v14, -v10, v13, v12
	s_delay_alu instid0(VALU_DEP_1) | instskip(NEXT) | instid1(VALU_DEP_1)
	v_fmac_f32_e32 v13, v14, v11
	v_fma_f32 v10, -v10, v13, v12
	s_delay_alu instid0(VALU_DEP_1) | instskip(NEXT) | instid1(VALU_DEP_1)
	v_div_fmas_f32 v10, v10, v11, v13
	v_div_fixup_f32 v9, v10, v6, v9
	s_delay_alu instid0(VALU_DEP_1) | instskip(NEXT) | instid1(VALU_DEP_1)
	v_minmax_f32 v9, v9, s7, 0xc3600000
	v_and_b32_e32 v10, 0x7fffffff, v9
	s_delay_alu instid0(VALU_DEP_1)
	v_cmpx_gt_u32_e32 0x43800000, v10
	s_cbranch_execz .LBB76_69
; %bb.64:                               ;   in Loop: Header=BB76_57 Depth=1
	v_cmp_lt_u32_e32 vcc_lo, 0x3bffffff, v10
	s_mov_b32 s9, 0
                                        ; implicit-def: $vgpr10
	s_and_saveexec_b32 s13, vcc_lo
	s_delay_alu instid0(SALU_CYCLE_1)
	s_xor_b32 s13, exec_lo, s13
	s_cbranch_execnz .LBB76_156
; %bb.65:                               ;   in Loop: Header=BB76_57 Depth=1
	s_or_saveexec_b32 s13, s13
                                        ; implicit-def: $sgpr15
	s_delay_alu instid0(SALU_CYCLE_1)
	s_xor_b32 exec_lo, exec_lo, s13
	s_cbranch_execnz .LBB76_157
.LBB76_66:                              ;   in Loop: Header=BB76_57 Depth=1
	s_or_b32 exec_lo, exec_lo, s13
	v_mov_b32_e32 v7, s15
	s_and_saveexec_b32 s13, s9
.LBB76_67:                              ;   in Loop: Header=BB76_57 Depth=1
	v_lshrrev_b32_e32 v7, 24, v9
	s_delay_alu instid0(VALU_DEP_1)
	v_and_or_b32 v7, 0x80, v7, v10
.LBB76_68:                              ;   in Loop: Header=BB76_57 Depth=1
	s_or_b32 exec_lo, exec_lo, s13
.LBB76_69:                              ;   in Loop: Header=BB76_57 Depth=1
	s_delay_alu instid0(SALU_CYCLE_1) | instskip(SKIP_3) | instid1(VALU_DEP_2)
	s_or_b32 exec_lo, exec_lo, s8
	v_alignbit_b32 v4, v5, v4, 16
	v_alignbit_b32 v2, v3, v2, 16
	s_mov_b32 s8, exec_lo
	v_and_b32_e32 v4, 0xffff0000, v4
	s_delay_alu instid0(VALU_DEP_2) | instskip(NEXT) | instid1(VALU_DEP_2)
	v_and_b32_e32 v2, 0xffff0000, v2
	v_mul_f32_e32 v4, v28, v4
	s_delay_alu instid0(VALU_DEP_1) | instskip(NEXT) | instid1(VALU_DEP_1)
	v_bfe_u32 v9, v4, 16, 1
	v_add3_u32 v9, v4, v9, 0x7fff
	s_delay_alu instid0(VALU_DEP_1) | instskip(SKIP_1) | instid1(VALU_DEP_2)
	v_and_b32_e32 v9, 0xffff0000, v9
	v_cmp_o_f32_e32 vcc_lo, v4, v4
	v_cndmask_b32_e32 v4, 0x7fc00000, v9, vcc_lo
	s_delay_alu instid0(VALU_DEP_1) | instskip(NEXT) | instid1(VALU_DEP_1)
	v_mul_f32_e32 v2, v4, v2
	v_bfe_u32 v4, v2, 16, 1
	v_cmp_o_f32_e32 vcc_lo, v2, v2
	s_delay_alu instid0(VALU_DEP_2) | instskip(NEXT) | instid1(VALU_DEP_1)
	v_add3_u32 v4, v2, v4, 0x7fff
	v_and_b32_e32 v4, 0xffff0000, v4
	s_delay_alu instid0(VALU_DEP_1) | instskip(NEXT) | instid1(VALU_DEP_1)
	v_cndmask_b32_e32 v2, 0x7fc00000, v4, vcc_lo
	v_div_scale_f32 v4, null, v6, v6, v2
	v_div_scale_f32 v11, vcc_lo, v2, v6, v2
	s_delay_alu instid0(VALU_DEP_2) | instskip(SKIP_2) | instid1(VALU_DEP_1)
	v_rcp_f32_e32 v9, v4
	s_waitcnt_depctr 0xfff
	v_fma_f32 v10, -v4, v9, 1.0
	v_fmac_f32_e32 v9, v10, v9
	s_delay_alu instid0(VALU_DEP_1) | instskip(NEXT) | instid1(VALU_DEP_1)
	v_mul_f32_e32 v10, v11, v9
	v_fma_f32 v12, -v4, v10, v11
	s_delay_alu instid0(VALU_DEP_1) | instskip(NEXT) | instid1(VALU_DEP_1)
	v_fmac_f32_e32 v10, v12, v9
	v_fma_f32 v4, -v4, v10, v11
	s_delay_alu instid0(VALU_DEP_1) | instskip(NEXT) | instid1(VALU_DEP_1)
	v_div_fmas_f32 v4, v4, v9, v10
	v_div_fixup_f32 v2, v4, v6, v2
	v_mov_b32_e32 v4, 0x80
	s_delay_alu instid0(VALU_DEP_2) | instskip(SKIP_1) | instid1(VALU_DEP_2)
	v_minmax_f32 v9, v2, s7, 0xc3600000
	v_mov_b32_e32 v2, 0x80
	v_and_b32_e32 v10, 0x7fffffff, v9
	s_delay_alu instid0(VALU_DEP_1)
	v_cmpx_gt_u32_e32 0x43800000, v10
	s_cbranch_execz .LBB76_75
; %bb.70:                               ;   in Loop: Header=BB76_57 Depth=1
	v_cmp_lt_u32_e32 vcc_lo, 0x3bffffff, v10
	s_mov_b32 s9, 0
                                        ; implicit-def: $vgpr10
	s_and_saveexec_b32 s13, vcc_lo
	s_delay_alu instid0(SALU_CYCLE_1)
	s_xor_b32 s13, exec_lo, s13
	s_cbranch_execnz .LBB76_158
; %bb.71:                               ;   in Loop: Header=BB76_57 Depth=1
	s_or_saveexec_b32 s13, s13
                                        ; implicit-def: $sgpr15
	s_delay_alu instid0(SALU_CYCLE_1)
	s_xor_b32 exec_lo, exec_lo, s13
	s_cbranch_execnz .LBB76_159
.LBB76_72:                              ;   in Loop: Header=BB76_57 Depth=1
	s_or_b32 exec_lo, exec_lo, s13
	v_mov_b32_e32 v4, s15
	s_and_saveexec_b32 s13, s9
.LBB76_73:                              ;   in Loop: Header=BB76_57 Depth=1
	v_lshrrev_b32_e32 v4, 24, v9
	s_delay_alu instid0(VALU_DEP_1)
	v_and_or_b32 v4, 0x80, v4, v10
.LBB76_74:                              ;   in Loop: Header=BB76_57 Depth=1
	s_or_b32 exec_lo, exec_lo, s13
.LBB76_75:                              ;   in Loop: Header=BB76_57 Depth=1
	s_delay_alu instid0(SALU_CYCLE_1) | instskip(SKIP_3) | instid1(VALU_DEP_2)
	s_or_b32 exec_lo, exec_lo, s8
	v_and_b32_e32 v5, 0xffff0000, v5
	v_and_b32_e32 v3, 0xffff0000, v3
	s_mov_b32 s8, exec_lo
	v_mul_f32_e32 v5, v28, v5
	s_delay_alu instid0(VALU_DEP_1) | instskip(SKIP_1) | instid1(VALU_DEP_2)
	v_bfe_u32 v9, v5, 16, 1
	v_cmp_o_f32_e32 vcc_lo, v5, v5
	v_add3_u32 v9, v5, v9, 0x7fff
	s_delay_alu instid0(VALU_DEP_1) | instskip(NEXT) | instid1(VALU_DEP_1)
	v_and_b32_e32 v9, 0xffff0000, v9
	v_cndmask_b32_e32 v5, 0x7fc00000, v9, vcc_lo
	s_delay_alu instid0(VALU_DEP_1) | instskip(NEXT) | instid1(VALU_DEP_1)
	v_mul_f32_e32 v3, v5, v3
	v_bfe_u32 v5, v3, 16, 1
	v_cmp_o_f32_e32 vcc_lo, v3, v3
	s_delay_alu instid0(VALU_DEP_2) | instskip(NEXT) | instid1(VALU_DEP_1)
	v_add3_u32 v5, v3, v5, 0x7fff
	v_and_b32_e32 v5, 0xffff0000, v5
	s_delay_alu instid0(VALU_DEP_1) | instskip(NEXT) | instid1(VALU_DEP_1)
	v_cndmask_b32_e32 v3, 0x7fc00000, v5, vcc_lo
	v_div_scale_f32 v5, null, v6, v6, v3
	s_delay_alu instid0(VALU_DEP_1) | instskip(SKIP_2) | instid1(VALU_DEP_1)
	v_rcp_f32_e32 v9, v5
	s_waitcnt_depctr 0xfff
	v_fma_f32 v10, -v5, v9, 1.0
	v_fmac_f32_e32 v9, v10, v9
	v_div_scale_f32 v10, vcc_lo, v3, v6, v3
	s_delay_alu instid0(VALU_DEP_1) | instskip(NEXT) | instid1(VALU_DEP_1)
	v_mul_f32_e32 v11, v10, v9
	v_fma_f32 v12, -v5, v11, v10
	s_delay_alu instid0(VALU_DEP_1) | instskip(NEXT) | instid1(VALU_DEP_1)
	v_fmac_f32_e32 v11, v12, v9
	v_fma_f32 v5, -v5, v11, v10
	s_delay_alu instid0(VALU_DEP_1) | instskip(NEXT) | instid1(VALU_DEP_1)
	v_div_fmas_f32 v5, v5, v9, v11
	v_div_fixup_f32 v3, v5, v6, v3
	s_delay_alu instid0(VALU_DEP_1) | instskip(NEXT) | instid1(VALU_DEP_1)
	v_minmax_f32 v3, v3, s7, 0xc3600000
	v_and_b32_e32 v5, 0x7fffffff, v3
	s_delay_alu instid0(VALU_DEP_1)
	v_cmpx_gt_u32_e32 0x43800000, v5
	s_cbranch_execz .LBB76_81
; %bb.76:                               ;   in Loop: Header=BB76_57 Depth=1
	v_cmp_lt_u32_e32 vcc_lo, 0x3bffffff, v5
	s_mov_b32 s9, 0
                                        ; implicit-def: $vgpr5
	s_and_saveexec_b32 s13, vcc_lo
	s_delay_alu instid0(SALU_CYCLE_1)
	s_xor_b32 s13, exec_lo, s13
	s_cbranch_execnz .LBB76_160
; %bb.77:                               ;   in Loop: Header=BB76_57 Depth=1
	s_or_saveexec_b32 s13, s13
                                        ; implicit-def: $sgpr15
	s_delay_alu instid0(SALU_CYCLE_1)
	s_xor_b32 exec_lo, exec_lo, s13
	s_cbranch_execnz .LBB76_161
.LBB76_78:                              ;   in Loop: Header=BB76_57 Depth=1
	s_or_b32 exec_lo, exec_lo, s13
	v_mov_b32_e32 v2, s15
	s_and_saveexec_b32 s13, s9
.LBB76_79:                              ;   in Loop: Header=BB76_57 Depth=1
	v_lshrrev_b32_e32 v2, 24, v3
	s_delay_alu instid0(VALU_DEP_1)
	v_and_or_b32 v2, 0x80, v2, v5
.LBB76_80:                              ;   in Loop: Header=BB76_57 Depth=1
	s_or_b32 exec_lo, exec_lo, s13
.LBB76_81:                              ;   in Loop: Header=BB76_57 Depth=1
	s_delay_alu instid0(SALU_CYCLE_1)
	s_or_b32 exec_lo, exec_lo, s8
	v_lshlrev_b32_e32 v5, 16, v4
	v_lshlrev_b32_e32 v6, 8, v7
	v_lshlrev_b64 v[3:4], 2, v[0:1]
	v_and_b32_e32 v7, 0xff, v8
	s_mov_b32 s9, -1
	v_perm_b32 v5, v2, v5, 0x4020c0c
	v_and_b32_e32 v6, 0xff00, v6
	v_add_nc_u32_e32 v2, s27, v0
	v_add_co_u32 v3, vcc_lo, s2, v3
	v_add_co_ci_u32_e32 v4, vcc_lo, s3, v4, vcc_lo
	s_delay_alu instid0(VALU_DEP_4)
	v_or3_b32 v5, v5, v6, v7
	s_mov_b32 s8, exec_lo
	global_store_b32 v[3:4], v5, off
	v_cmpx_gt_u32_e64 s12, v2
	s_cbranch_execz .LBB76_56
; %bb.82:                               ;   in Loop: Header=BB76_57 Depth=1
	v_lshrrev_b32_e32 v8, 3, v2
	v_mov_b32_e32 v3, v1
	s_mov_b32 s9, exec_lo
	s_delay_alu instid0(VALU_DEP_2) | instskip(NEXT) | instid1(VALU_DEP_2)
	v_and_b32_e32 v8, 0x7fffffc, v8
	v_lshlrev_b64 v[4:5], 3, v[2:3]
	global_load_b32 v8, v8, s[0:1]
	v_add_co_u32 v6, vcc_lo, s14, v4
	v_add_co_ci_u32_e32 v7, vcc_lo, s26, v5, vcc_lo
	v_add_co_u32 v4, vcc_lo, s10, v4
	v_add_co_ci_u32_e32 v5, vcc_lo, s11, v5, vcc_lo
	global_load_b64 v[6:7], v[6:7], off
	global_load_b64 v[4:5], v[4:5], off
	s_waitcnt vmcnt(1)
	v_lshlrev_b32_e32 v9, 16, v6
	s_waitcnt vmcnt(0)
	v_lshlrev_b32_e32 v11, 16, v4
	s_delay_alu instid0(VALU_DEP_2) | instskip(NEXT) | instid1(VALU_DEP_1)
	v_mul_f32_e32 v9, v28, v9
	v_bfe_u32 v10, v9, 16, 1
	s_delay_alu instid0(VALU_DEP_1) | instskip(NEXT) | instid1(VALU_DEP_1)
	v_add3_u32 v10, v9, v10, 0x7fff
	v_and_b32_e32 v10, 0xffff0000, v10
	v_cmp_o_f32_e32 vcc_lo, v9, v9
	s_delay_alu instid0(VALU_DEP_2) | instskip(NEXT) | instid1(VALU_DEP_1)
	v_cndmask_b32_e32 v9, 0x7fc00000, v10, vcc_lo
	v_mul_f32_e32 v9, v9, v11
	s_delay_alu instid0(VALU_DEP_1) | instskip(NEXT) | instid1(VALU_DEP_1)
	v_bfe_u32 v10, v9, 16, 1
	v_add3_u32 v10, v9, v10, 0x7fff
	s_delay_alu instid0(VALU_DEP_1) | instskip(SKIP_1) | instid1(VALU_DEP_2)
	v_and_b32_e32 v10, 0xffff0000, v10
	v_cmp_o_f32_e32 vcc_lo, v9, v9
	v_cndmask_b32_e32 v9, 0x7fc00000, v10, vcc_lo
	s_delay_alu instid0(VALU_DEP_1) | instskip(SKIP_1) | instid1(VALU_DEP_2)
	v_div_scale_f32 v10, null, v8, v8, v9
	v_div_scale_f32 v13, vcc_lo, v9, v8, v9
	v_rcp_f32_e32 v11, v10
	s_waitcnt_depctr 0xfff
	v_fma_f32 v12, -v10, v11, 1.0
	s_delay_alu instid0(VALU_DEP_1) | instskip(NEXT) | instid1(VALU_DEP_1)
	v_fmac_f32_e32 v11, v12, v11
	v_mul_f32_e32 v12, v13, v11
	s_delay_alu instid0(VALU_DEP_1) | instskip(NEXT) | instid1(VALU_DEP_1)
	v_fma_f32 v14, -v10, v12, v13
	v_fmac_f32_e32 v12, v14, v11
	s_delay_alu instid0(VALU_DEP_1) | instskip(NEXT) | instid1(VALU_DEP_1)
	v_fma_f32 v10, -v10, v12, v13
	v_div_fmas_f32 v10, v10, v11, v12
	s_delay_alu instid0(VALU_DEP_1) | instskip(SKIP_1) | instid1(VALU_DEP_2)
	v_div_fixup_f32 v9, v10, v8, v9
	v_mov_b32_e32 v10, 0x80
	v_minmax_f32 v11, v9, s7, 0xc3600000
	v_mov_b32_e32 v9, 0x80
	s_delay_alu instid0(VALU_DEP_2) | instskip(NEXT) | instid1(VALU_DEP_1)
	v_and_b32_e32 v12, 0x7fffffff, v11
	v_cmpx_gt_u32_e32 0x43800000, v12
	s_cbranch_execz .LBB76_88
; %bb.83:                               ;   in Loop: Header=BB76_57 Depth=1
	v_cmp_lt_u32_e32 vcc_lo, 0x3bffffff, v12
	s_mov_b32 s13, 0
                                        ; implicit-def: $vgpr12
	s_and_saveexec_b32 s15, vcc_lo
	s_delay_alu instid0(SALU_CYCLE_1)
	s_xor_b32 s15, exec_lo, s15
	s_cbranch_execnz .LBB76_162
; %bb.84:                               ;   in Loop: Header=BB76_57 Depth=1
	s_or_saveexec_b32 s15, s15
                                        ; implicit-def: $sgpr16
	s_delay_alu instid0(SALU_CYCLE_1)
	s_xor_b32 exec_lo, exec_lo, s15
	s_cbranch_execnz .LBB76_163
.LBB76_85:                              ;   in Loop: Header=BB76_57 Depth=1
	s_or_b32 exec_lo, exec_lo, s15
	v_mov_b32_e32 v9, s16
	s_and_saveexec_b32 s15, s13
.LBB76_86:                              ;   in Loop: Header=BB76_57 Depth=1
	v_lshrrev_b32_e32 v9, 24, v11
	s_delay_alu instid0(VALU_DEP_1)
	v_and_or_b32 v9, 0x80, v9, v12
.LBB76_87:                              ;   in Loop: Header=BB76_57 Depth=1
	s_or_b32 exec_lo, exec_lo, s15
.LBB76_88:                              ;   in Loop: Header=BB76_57 Depth=1
	s_delay_alu instid0(SALU_CYCLE_1) | instskip(SKIP_3) | instid1(VALU_DEP_2)
	s_or_b32 exec_lo, exec_lo, s9
	v_and_b32_e32 v11, 0xffff0000, v6
	v_and_b32_e32 v13, 0xffff0000, v4
	s_mov_b32 s9, exec_lo
	v_mul_f32_e32 v11, v28, v11
	s_delay_alu instid0(VALU_DEP_1) | instskip(NEXT) | instid1(VALU_DEP_1)
	v_bfe_u32 v12, v11, 16, 1
	v_add3_u32 v12, v11, v12, 0x7fff
	s_delay_alu instid0(VALU_DEP_1) | instskip(SKIP_1) | instid1(VALU_DEP_2)
	v_and_b32_e32 v12, 0xffff0000, v12
	v_cmp_o_f32_e32 vcc_lo, v11, v11
	v_cndmask_b32_e32 v11, 0x7fc00000, v12, vcc_lo
	s_delay_alu instid0(VALU_DEP_1) | instskip(NEXT) | instid1(VALU_DEP_1)
	v_mul_f32_e32 v11, v11, v13
	v_bfe_u32 v12, v11, 16, 1
	s_delay_alu instid0(VALU_DEP_1) | instskip(NEXT) | instid1(VALU_DEP_1)
	v_add3_u32 v12, v11, v12, 0x7fff
	v_and_b32_e32 v12, 0xffff0000, v12
	v_cmp_o_f32_e32 vcc_lo, v11, v11
	s_delay_alu instid0(VALU_DEP_2) | instskip(NEXT) | instid1(VALU_DEP_1)
	v_cndmask_b32_e32 v11, 0x7fc00000, v12, vcc_lo
	v_div_scale_f32 v12, null, v8, v8, v11
	s_delay_alu instid0(VALU_DEP_1) | instskip(SKIP_2) | instid1(VALU_DEP_1)
	v_rcp_f32_e32 v13, v12
	s_waitcnt_depctr 0xfff
	v_fma_f32 v14, -v12, v13, 1.0
	v_fmac_f32_e32 v13, v14, v13
	v_div_scale_f32 v14, vcc_lo, v11, v8, v11
	s_delay_alu instid0(VALU_DEP_1) | instskip(NEXT) | instid1(VALU_DEP_1)
	v_mul_f32_e32 v15, v14, v13
	v_fma_f32 v16, -v12, v15, v14
	s_delay_alu instid0(VALU_DEP_1) | instskip(NEXT) | instid1(VALU_DEP_1)
	v_fmac_f32_e32 v15, v16, v13
	v_fma_f32 v12, -v12, v15, v14
	s_delay_alu instid0(VALU_DEP_1) | instskip(NEXT) | instid1(VALU_DEP_1)
	v_div_fmas_f32 v12, v12, v13, v15
	v_div_fixup_f32 v11, v12, v8, v11
	s_delay_alu instid0(VALU_DEP_1) | instskip(NEXT) | instid1(VALU_DEP_1)
	v_minmax_f32 v11, v11, s7, 0xc3600000
	v_and_b32_e32 v12, 0x7fffffff, v11
	s_delay_alu instid0(VALU_DEP_1)
	v_cmpx_gt_u32_e32 0x43800000, v12
	s_cbranch_execz .LBB76_94
; %bb.89:                               ;   in Loop: Header=BB76_57 Depth=1
	v_cmp_lt_u32_e32 vcc_lo, 0x3bffffff, v12
	s_mov_b32 s13, 0
                                        ; implicit-def: $vgpr12
	s_and_saveexec_b32 s15, vcc_lo
	s_delay_alu instid0(SALU_CYCLE_1)
	s_xor_b32 s15, exec_lo, s15
	s_cbranch_execnz .LBB76_164
; %bb.90:                               ;   in Loop: Header=BB76_57 Depth=1
	s_or_saveexec_b32 s15, s15
                                        ; implicit-def: $sgpr16
	s_delay_alu instid0(SALU_CYCLE_1)
	s_xor_b32 exec_lo, exec_lo, s15
	s_cbranch_execnz .LBB76_165
.LBB76_91:                              ;   in Loop: Header=BB76_57 Depth=1
	s_or_b32 exec_lo, exec_lo, s15
	v_mov_b32_e32 v10, s16
	s_and_saveexec_b32 s15, s13
.LBB76_92:                              ;   in Loop: Header=BB76_57 Depth=1
	v_lshrrev_b32_e32 v10, 24, v11
	s_delay_alu instid0(VALU_DEP_1)
	v_and_or_b32 v10, 0x80, v10, v12
.LBB76_93:                              ;   in Loop: Header=BB76_57 Depth=1
	s_or_b32 exec_lo, exec_lo, s15
.LBB76_94:                              ;   in Loop: Header=BB76_57 Depth=1
	s_delay_alu instid0(SALU_CYCLE_1) | instskip(SKIP_3) | instid1(VALU_DEP_2)
	s_or_b32 exec_lo, exec_lo, s9
	v_alignbit_b32 v6, v7, v6, 16
	v_alignbit_b32 v4, v5, v4, 16
	s_mov_b32 s9, exec_lo
	v_and_b32_e32 v6, 0xffff0000, v6
	s_delay_alu instid0(VALU_DEP_2) | instskip(NEXT) | instid1(VALU_DEP_2)
	v_and_b32_e32 v4, 0xffff0000, v4
	v_mul_f32_e32 v6, v28, v6
	s_delay_alu instid0(VALU_DEP_1) | instskip(NEXT) | instid1(VALU_DEP_1)
	v_bfe_u32 v11, v6, 16, 1
	v_add3_u32 v11, v6, v11, 0x7fff
	s_delay_alu instid0(VALU_DEP_1) | instskip(SKIP_1) | instid1(VALU_DEP_2)
	v_and_b32_e32 v11, 0xffff0000, v11
	v_cmp_o_f32_e32 vcc_lo, v6, v6
	v_cndmask_b32_e32 v6, 0x7fc00000, v11, vcc_lo
	s_delay_alu instid0(VALU_DEP_1) | instskip(NEXT) | instid1(VALU_DEP_1)
	v_mul_f32_e32 v4, v6, v4
	v_bfe_u32 v6, v4, 16, 1
	v_cmp_o_f32_e32 vcc_lo, v4, v4
	s_delay_alu instid0(VALU_DEP_2) | instskip(NEXT) | instid1(VALU_DEP_1)
	v_add3_u32 v6, v4, v6, 0x7fff
	v_and_b32_e32 v6, 0xffff0000, v6
	s_delay_alu instid0(VALU_DEP_1) | instskip(NEXT) | instid1(VALU_DEP_1)
	v_cndmask_b32_e32 v4, 0x7fc00000, v6, vcc_lo
	v_div_scale_f32 v6, null, v8, v8, v4
	v_div_scale_f32 v13, vcc_lo, v4, v8, v4
	s_delay_alu instid0(VALU_DEP_2) | instskip(SKIP_2) | instid1(VALU_DEP_1)
	v_rcp_f32_e32 v11, v6
	s_waitcnt_depctr 0xfff
	v_fma_f32 v12, -v6, v11, 1.0
	v_fmac_f32_e32 v11, v12, v11
	s_delay_alu instid0(VALU_DEP_1) | instskip(NEXT) | instid1(VALU_DEP_1)
	v_mul_f32_e32 v12, v13, v11
	v_fma_f32 v14, -v6, v12, v13
	s_delay_alu instid0(VALU_DEP_1) | instskip(NEXT) | instid1(VALU_DEP_1)
	v_fmac_f32_e32 v12, v14, v11
	v_fma_f32 v6, -v6, v12, v13
	s_delay_alu instid0(VALU_DEP_1) | instskip(NEXT) | instid1(VALU_DEP_1)
	v_div_fmas_f32 v6, v6, v11, v12
	v_div_fixup_f32 v4, v6, v8, v4
	v_mov_b32_e32 v6, 0x80
	s_delay_alu instid0(VALU_DEP_2) | instskip(SKIP_1) | instid1(VALU_DEP_2)
	v_minmax_f32 v11, v4, s7, 0xc3600000
	v_mov_b32_e32 v4, 0x80
	v_and_b32_e32 v12, 0x7fffffff, v11
	s_delay_alu instid0(VALU_DEP_1)
	v_cmpx_gt_u32_e32 0x43800000, v12
	s_cbranch_execz .LBB76_100
; %bb.95:                               ;   in Loop: Header=BB76_57 Depth=1
	v_cmp_lt_u32_e32 vcc_lo, 0x3bffffff, v12
	s_mov_b32 s13, 0
                                        ; implicit-def: $vgpr12
	s_and_saveexec_b32 s15, vcc_lo
	s_delay_alu instid0(SALU_CYCLE_1)
	s_xor_b32 s15, exec_lo, s15
	s_cbranch_execnz .LBB76_166
; %bb.96:                               ;   in Loop: Header=BB76_57 Depth=1
	s_or_saveexec_b32 s15, s15
                                        ; implicit-def: $sgpr16
	s_delay_alu instid0(SALU_CYCLE_1)
	s_xor_b32 exec_lo, exec_lo, s15
	s_cbranch_execnz .LBB76_167
.LBB76_97:                              ;   in Loop: Header=BB76_57 Depth=1
	s_or_b32 exec_lo, exec_lo, s15
	v_mov_b32_e32 v6, s16
	s_and_saveexec_b32 s15, s13
.LBB76_98:                              ;   in Loop: Header=BB76_57 Depth=1
	v_lshrrev_b32_e32 v6, 24, v11
	s_delay_alu instid0(VALU_DEP_1)
	v_and_or_b32 v6, 0x80, v6, v12
.LBB76_99:                              ;   in Loop: Header=BB76_57 Depth=1
	s_or_b32 exec_lo, exec_lo, s15
.LBB76_100:                             ;   in Loop: Header=BB76_57 Depth=1
	s_delay_alu instid0(SALU_CYCLE_1) | instskip(SKIP_3) | instid1(VALU_DEP_2)
	s_or_b32 exec_lo, exec_lo, s9
	v_and_b32_e32 v7, 0xffff0000, v7
	v_and_b32_e32 v5, 0xffff0000, v5
	s_mov_b32 s9, exec_lo
	v_mul_f32_e32 v7, v28, v7
	s_delay_alu instid0(VALU_DEP_1) | instskip(SKIP_1) | instid1(VALU_DEP_2)
	v_bfe_u32 v11, v7, 16, 1
	v_cmp_o_f32_e32 vcc_lo, v7, v7
	v_add3_u32 v11, v7, v11, 0x7fff
	s_delay_alu instid0(VALU_DEP_1) | instskip(NEXT) | instid1(VALU_DEP_1)
	v_and_b32_e32 v11, 0xffff0000, v11
	v_cndmask_b32_e32 v7, 0x7fc00000, v11, vcc_lo
	s_delay_alu instid0(VALU_DEP_1) | instskip(NEXT) | instid1(VALU_DEP_1)
	v_mul_f32_e32 v5, v7, v5
	v_bfe_u32 v7, v5, 16, 1
	v_cmp_o_f32_e32 vcc_lo, v5, v5
	s_delay_alu instid0(VALU_DEP_2) | instskip(NEXT) | instid1(VALU_DEP_1)
	v_add3_u32 v7, v5, v7, 0x7fff
	v_and_b32_e32 v7, 0xffff0000, v7
	s_delay_alu instid0(VALU_DEP_1) | instskip(NEXT) | instid1(VALU_DEP_1)
	v_cndmask_b32_e32 v5, 0x7fc00000, v7, vcc_lo
	v_div_scale_f32 v7, null, v8, v8, v5
	s_delay_alu instid0(VALU_DEP_1) | instskip(SKIP_2) | instid1(VALU_DEP_1)
	v_rcp_f32_e32 v11, v7
	s_waitcnt_depctr 0xfff
	v_fma_f32 v12, -v7, v11, 1.0
	v_fmac_f32_e32 v11, v12, v11
	v_div_scale_f32 v12, vcc_lo, v5, v8, v5
	s_delay_alu instid0(VALU_DEP_1) | instskip(NEXT) | instid1(VALU_DEP_1)
	v_mul_f32_e32 v13, v12, v11
	v_fma_f32 v14, -v7, v13, v12
	s_delay_alu instid0(VALU_DEP_1) | instskip(NEXT) | instid1(VALU_DEP_1)
	v_fmac_f32_e32 v13, v14, v11
	v_fma_f32 v7, -v7, v13, v12
	s_delay_alu instid0(VALU_DEP_1) | instskip(NEXT) | instid1(VALU_DEP_1)
	v_div_fmas_f32 v7, v7, v11, v13
	v_div_fixup_f32 v5, v7, v8, v5
	s_delay_alu instid0(VALU_DEP_1) | instskip(NEXT) | instid1(VALU_DEP_1)
	v_minmax_f32 v5, v5, s7, 0xc3600000
	v_and_b32_e32 v7, 0x7fffffff, v5
	s_delay_alu instid0(VALU_DEP_1)
	v_cmpx_gt_u32_e32 0x43800000, v7
	s_cbranch_execz .LBB76_106
; %bb.101:                              ;   in Loop: Header=BB76_57 Depth=1
	v_cmp_lt_u32_e32 vcc_lo, 0x3bffffff, v7
	s_mov_b32 s13, 0
                                        ; implicit-def: $vgpr7
	s_and_saveexec_b32 s15, vcc_lo
	s_delay_alu instid0(SALU_CYCLE_1)
	s_xor_b32 s15, exec_lo, s15
	s_cbranch_execnz .LBB76_168
; %bb.102:                              ;   in Loop: Header=BB76_57 Depth=1
	s_or_saveexec_b32 s15, s15
                                        ; implicit-def: $sgpr16
	s_delay_alu instid0(SALU_CYCLE_1)
	s_xor_b32 exec_lo, exec_lo, s15
	s_cbranch_execnz .LBB76_169
.LBB76_103:                             ;   in Loop: Header=BB76_57 Depth=1
	s_or_b32 exec_lo, exec_lo, s15
	v_mov_b32_e32 v4, s16
	s_and_saveexec_b32 s15, s13
.LBB76_104:                             ;   in Loop: Header=BB76_57 Depth=1
	v_lshrrev_b32_e32 v4, 24, v5
	s_delay_alu instid0(VALU_DEP_1)
	v_and_or_b32 v4, 0x80, v4, v7
.LBB76_105:                             ;   in Loop: Header=BB76_57 Depth=1
	s_or_b32 exec_lo, exec_lo, s15
.LBB76_106:                             ;   in Loop: Header=BB76_57 Depth=1
	s_delay_alu instid0(SALU_CYCLE_1)
	s_or_b32 exec_lo, exec_lo, s9
	v_lshlrev_b32_e32 v7, 16, v6
	v_lshlrev_b32_e32 v8, 8, v10
	v_lshlrev_b64 v[5:6], 2, v[2:3]
	v_and_b32_e32 v9, 0xff, v9
	v_add_nc_u32_e32 v3, s5, v0
	v_perm_b32 v7, v4, v7, 0x4020c0c
	v_and_b32_e32 v8, 0xff00, v8
	s_mov_b32 s13, -1
	v_add_co_u32 v4, vcc_lo, s2, v5
	v_add_co_ci_u32_e32 v5, vcc_lo, s3, v6, vcc_lo
	s_delay_alu instid0(VALU_DEP_3)
	v_or3_b32 v6, v7, v8, v9
	s_mov_b32 s9, exec_lo
	global_store_b32 v[4:5], v6, off
	v_cmpx_gt_u32_e64 s12, v3
	s_cbranch_execz .LBB76_55
; %bb.107:                              ;   in Loop: Header=BB76_57 Depth=1
	v_lshrrev_b32_e32 v9, 3, v3
	v_mov_b32_e32 v4, v1
	s_mov_b32 s13, exec_lo
	s_delay_alu instid0(VALU_DEP_2) | instskip(NEXT) | instid1(VALU_DEP_2)
	v_and_b32_e32 v9, 0x7fffffc, v9
	v_lshlrev_b64 v[5:6], 3, v[3:4]
	global_load_b32 v9, v9, s[0:1]
	v_add_co_u32 v7, vcc_lo, s14, v5
	v_add_co_ci_u32_e32 v8, vcc_lo, s26, v6, vcc_lo
	v_add_co_u32 v5, vcc_lo, s10, v5
	v_add_co_ci_u32_e32 v6, vcc_lo, s11, v6, vcc_lo
	global_load_b64 v[7:8], v[7:8], off
	global_load_b64 v[5:6], v[5:6], off
	s_waitcnt vmcnt(1)
	v_lshlrev_b32_e32 v10, 16, v7
	s_waitcnt vmcnt(0)
	v_lshlrev_b32_e32 v12, 16, v5
	s_delay_alu instid0(VALU_DEP_2) | instskip(NEXT) | instid1(VALU_DEP_1)
	v_mul_f32_e32 v10, v28, v10
	v_bfe_u32 v11, v10, 16, 1
	s_delay_alu instid0(VALU_DEP_1) | instskip(NEXT) | instid1(VALU_DEP_1)
	v_add3_u32 v11, v10, v11, 0x7fff
	v_and_b32_e32 v11, 0xffff0000, v11
	v_cmp_o_f32_e32 vcc_lo, v10, v10
	s_delay_alu instid0(VALU_DEP_2) | instskip(NEXT) | instid1(VALU_DEP_1)
	v_cndmask_b32_e32 v10, 0x7fc00000, v11, vcc_lo
	v_mul_f32_e32 v10, v10, v12
	s_delay_alu instid0(VALU_DEP_1) | instskip(NEXT) | instid1(VALU_DEP_1)
	v_bfe_u32 v11, v10, 16, 1
	v_add3_u32 v11, v10, v11, 0x7fff
	s_delay_alu instid0(VALU_DEP_1) | instskip(SKIP_1) | instid1(VALU_DEP_2)
	v_and_b32_e32 v11, 0xffff0000, v11
	v_cmp_o_f32_e32 vcc_lo, v10, v10
	v_cndmask_b32_e32 v10, 0x7fc00000, v11, vcc_lo
	s_delay_alu instid0(VALU_DEP_1) | instskip(SKIP_1) | instid1(VALU_DEP_2)
	v_div_scale_f32 v11, null, v9, v9, v10
	v_div_scale_f32 v14, vcc_lo, v10, v9, v10
	v_rcp_f32_e32 v12, v11
	s_waitcnt_depctr 0xfff
	v_fma_f32 v13, -v11, v12, 1.0
	s_delay_alu instid0(VALU_DEP_1) | instskip(NEXT) | instid1(VALU_DEP_1)
	v_fmac_f32_e32 v12, v13, v12
	v_mul_f32_e32 v13, v14, v12
	s_delay_alu instid0(VALU_DEP_1) | instskip(NEXT) | instid1(VALU_DEP_1)
	v_fma_f32 v15, -v11, v13, v14
	v_fmac_f32_e32 v13, v15, v12
	s_delay_alu instid0(VALU_DEP_1) | instskip(NEXT) | instid1(VALU_DEP_1)
	v_fma_f32 v11, -v11, v13, v14
	v_div_fmas_f32 v11, v11, v12, v13
	s_delay_alu instid0(VALU_DEP_1) | instskip(SKIP_1) | instid1(VALU_DEP_2)
	v_div_fixup_f32 v10, v11, v9, v10
	v_mov_b32_e32 v11, 0x80
	v_minmax_f32 v12, v10, s7, 0xc3600000
	v_mov_b32_e32 v10, 0x80
	s_delay_alu instid0(VALU_DEP_2) | instskip(NEXT) | instid1(VALU_DEP_1)
	v_and_b32_e32 v13, 0x7fffffff, v12
	v_cmpx_gt_u32_e32 0x43800000, v13
	s_cbranch_execz .LBB76_113
; %bb.108:                              ;   in Loop: Header=BB76_57 Depth=1
	v_cmp_lt_u32_e32 vcc_lo, 0x3bffffff, v13
	s_mov_b32 s15, 0
                                        ; implicit-def: $vgpr13
	s_and_saveexec_b32 s16, vcc_lo
	s_delay_alu instid0(SALU_CYCLE_1)
	s_xor_b32 s16, exec_lo, s16
	s_cbranch_execnz .LBB76_170
; %bb.109:                              ;   in Loop: Header=BB76_57 Depth=1
	s_or_saveexec_b32 s16, s16
                                        ; implicit-def: $sgpr17
	s_delay_alu instid0(SALU_CYCLE_1)
	s_xor_b32 exec_lo, exec_lo, s16
	s_cbranch_execnz .LBB76_171
.LBB76_110:                             ;   in Loop: Header=BB76_57 Depth=1
	s_or_b32 exec_lo, exec_lo, s16
	v_mov_b32_e32 v10, s17
	s_and_saveexec_b32 s16, s15
.LBB76_111:                             ;   in Loop: Header=BB76_57 Depth=1
	v_lshrrev_b32_e32 v10, 24, v12
	s_delay_alu instid0(VALU_DEP_1)
	v_and_or_b32 v10, 0x80, v10, v13
.LBB76_112:                             ;   in Loop: Header=BB76_57 Depth=1
	s_or_b32 exec_lo, exec_lo, s16
.LBB76_113:                             ;   in Loop: Header=BB76_57 Depth=1
	s_delay_alu instid0(SALU_CYCLE_1) | instskip(SKIP_3) | instid1(VALU_DEP_2)
	s_or_b32 exec_lo, exec_lo, s13
	v_and_b32_e32 v12, 0xffff0000, v7
	v_and_b32_e32 v14, 0xffff0000, v5
	s_mov_b32 s13, exec_lo
	v_mul_f32_e32 v12, v28, v12
	s_delay_alu instid0(VALU_DEP_1) | instskip(NEXT) | instid1(VALU_DEP_1)
	v_bfe_u32 v13, v12, 16, 1
	v_add3_u32 v13, v12, v13, 0x7fff
	s_delay_alu instid0(VALU_DEP_1) | instskip(SKIP_1) | instid1(VALU_DEP_2)
	v_and_b32_e32 v13, 0xffff0000, v13
	v_cmp_o_f32_e32 vcc_lo, v12, v12
	v_cndmask_b32_e32 v12, 0x7fc00000, v13, vcc_lo
	s_delay_alu instid0(VALU_DEP_1) | instskip(NEXT) | instid1(VALU_DEP_1)
	v_mul_f32_e32 v12, v12, v14
	v_bfe_u32 v13, v12, 16, 1
	s_delay_alu instid0(VALU_DEP_1) | instskip(NEXT) | instid1(VALU_DEP_1)
	v_add3_u32 v13, v12, v13, 0x7fff
	v_and_b32_e32 v13, 0xffff0000, v13
	v_cmp_o_f32_e32 vcc_lo, v12, v12
	s_delay_alu instid0(VALU_DEP_2) | instskip(NEXT) | instid1(VALU_DEP_1)
	v_cndmask_b32_e32 v12, 0x7fc00000, v13, vcc_lo
	v_div_scale_f32 v13, null, v9, v9, v12
	s_delay_alu instid0(VALU_DEP_1) | instskip(SKIP_2) | instid1(VALU_DEP_1)
	v_rcp_f32_e32 v14, v13
	s_waitcnt_depctr 0xfff
	v_fma_f32 v15, -v13, v14, 1.0
	v_fmac_f32_e32 v14, v15, v14
	v_div_scale_f32 v15, vcc_lo, v12, v9, v12
	s_delay_alu instid0(VALU_DEP_1) | instskip(NEXT) | instid1(VALU_DEP_1)
	v_mul_f32_e32 v16, v15, v14
	v_fma_f32 v17, -v13, v16, v15
	s_delay_alu instid0(VALU_DEP_1) | instskip(NEXT) | instid1(VALU_DEP_1)
	v_fmac_f32_e32 v16, v17, v14
	v_fma_f32 v13, -v13, v16, v15
	s_delay_alu instid0(VALU_DEP_1) | instskip(NEXT) | instid1(VALU_DEP_1)
	v_div_fmas_f32 v13, v13, v14, v16
	v_div_fixup_f32 v12, v13, v9, v12
	s_delay_alu instid0(VALU_DEP_1) | instskip(NEXT) | instid1(VALU_DEP_1)
	v_minmax_f32 v12, v12, s7, 0xc3600000
	v_and_b32_e32 v13, 0x7fffffff, v12
	s_delay_alu instid0(VALU_DEP_1)
	v_cmpx_gt_u32_e32 0x43800000, v13
	s_cbranch_execz .LBB76_119
; %bb.114:                              ;   in Loop: Header=BB76_57 Depth=1
	v_cmp_lt_u32_e32 vcc_lo, 0x3bffffff, v13
	s_mov_b32 s15, 0
                                        ; implicit-def: $vgpr13
	s_and_saveexec_b32 s16, vcc_lo
	s_delay_alu instid0(SALU_CYCLE_1)
	s_xor_b32 s16, exec_lo, s16
	s_cbranch_execnz .LBB76_172
; %bb.115:                              ;   in Loop: Header=BB76_57 Depth=1
	s_or_saveexec_b32 s16, s16
                                        ; implicit-def: $sgpr17
	s_delay_alu instid0(SALU_CYCLE_1)
	s_xor_b32 exec_lo, exec_lo, s16
	s_cbranch_execnz .LBB76_173
.LBB76_116:                             ;   in Loop: Header=BB76_57 Depth=1
	s_or_b32 exec_lo, exec_lo, s16
	v_mov_b32_e32 v11, s17
	s_and_saveexec_b32 s16, s15
.LBB76_117:                             ;   in Loop: Header=BB76_57 Depth=1
	v_lshrrev_b32_e32 v11, 24, v12
	s_delay_alu instid0(VALU_DEP_1)
	v_and_or_b32 v11, 0x80, v11, v13
.LBB76_118:                             ;   in Loop: Header=BB76_57 Depth=1
	s_or_b32 exec_lo, exec_lo, s16
.LBB76_119:                             ;   in Loop: Header=BB76_57 Depth=1
	s_delay_alu instid0(SALU_CYCLE_1) | instskip(SKIP_3) | instid1(VALU_DEP_2)
	s_or_b32 exec_lo, exec_lo, s13
	v_alignbit_b32 v7, v8, v7, 16
	v_alignbit_b32 v5, v6, v5, 16
	s_mov_b32 s13, exec_lo
	v_and_b32_e32 v7, 0xffff0000, v7
	s_delay_alu instid0(VALU_DEP_2) | instskip(NEXT) | instid1(VALU_DEP_2)
	v_and_b32_e32 v5, 0xffff0000, v5
	v_mul_f32_e32 v7, v28, v7
	s_delay_alu instid0(VALU_DEP_1) | instskip(NEXT) | instid1(VALU_DEP_1)
	v_bfe_u32 v12, v7, 16, 1
	v_add3_u32 v12, v7, v12, 0x7fff
	s_delay_alu instid0(VALU_DEP_1) | instskip(SKIP_1) | instid1(VALU_DEP_2)
	v_and_b32_e32 v12, 0xffff0000, v12
	v_cmp_o_f32_e32 vcc_lo, v7, v7
	v_cndmask_b32_e32 v7, 0x7fc00000, v12, vcc_lo
	s_delay_alu instid0(VALU_DEP_1) | instskip(NEXT) | instid1(VALU_DEP_1)
	v_mul_f32_e32 v5, v7, v5
	v_bfe_u32 v7, v5, 16, 1
	v_cmp_o_f32_e32 vcc_lo, v5, v5
	s_delay_alu instid0(VALU_DEP_2) | instskip(NEXT) | instid1(VALU_DEP_1)
	v_add3_u32 v7, v5, v7, 0x7fff
	v_and_b32_e32 v7, 0xffff0000, v7
	s_delay_alu instid0(VALU_DEP_1) | instskip(NEXT) | instid1(VALU_DEP_1)
	v_cndmask_b32_e32 v5, 0x7fc00000, v7, vcc_lo
	v_div_scale_f32 v7, null, v9, v9, v5
	v_div_scale_f32 v14, vcc_lo, v5, v9, v5
	s_delay_alu instid0(VALU_DEP_2) | instskip(SKIP_2) | instid1(VALU_DEP_1)
	v_rcp_f32_e32 v12, v7
	s_waitcnt_depctr 0xfff
	v_fma_f32 v13, -v7, v12, 1.0
	v_fmac_f32_e32 v12, v13, v12
	s_delay_alu instid0(VALU_DEP_1) | instskip(NEXT) | instid1(VALU_DEP_1)
	v_mul_f32_e32 v13, v14, v12
	v_fma_f32 v15, -v7, v13, v14
	s_delay_alu instid0(VALU_DEP_1) | instskip(NEXT) | instid1(VALU_DEP_1)
	v_fmac_f32_e32 v13, v15, v12
	v_fma_f32 v7, -v7, v13, v14
	s_delay_alu instid0(VALU_DEP_1) | instskip(NEXT) | instid1(VALU_DEP_1)
	v_div_fmas_f32 v7, v7, v12, v13
	v_div_fixup_f32 v5, v7, v9, v5
	v_mov_b32_e32 v7, 0x80
	s_delay_alu instid0(VALU_DEP_2) | instskip(SKIP_1) | instid1(VALU_DEP_2)
	v_minmax_f32 v12, v5, s7, 0xc3600000
	v_mov_b32_e32 v5, 0x80
	v_and_b32_e32 v13, 0x7fffffff, v12
	s_delay_alu instid0(VALU_DEP_1)
	v_cmpx_gt_u32_e32 0x43800000, v13
	s_cbranch_execz .LBB76_125
; %bb.120:                              ;   in Loop: Header=BB76_57 Depth=1
	v_cmp_lt_u32_e32 vcc_lo, 0x3bffffff, v13
	s_mov_b32 s15, 0
                                        ; implicit-def: $vgpr13
	s_and_saveexec_b32 s16, vcc_lo
	s_delay_alu instid0(SALU_CYCLE_1)
	s_xor_b32 s16, exec_lo, s16
	s_cbranch_execnz .LBB76_174
; %bb.121:                              ;   in Loop: Header=BB76_57 Depth=1
	s_or_saveexec_b32 s16, s16
                                        ; implicit-def: $sgpr17
	s_delay_alu instid0(SALU_CYCLE_1)
	s_xor_b32 exec_lo, exec_lo, s16
	s_cbranch_execnz .LBB76_175
.LBB76_122:                             ;   in Loop: Header=BB76_57 Depth=1
	s_or_b32 exec_lo, exec_lo, s16
	v_mov_b32_e32 v7, s17
	s_and_saveexec_b32 s16, s15
.LBB76_123:                             ;   in Loop: Header=BB76_57 Depth=1
	v_lshrrev_b32_e32 v7, 24, v12
	s_delay_alu instid0(VALU_DEP_1)
	v_and_or_b32 v7, 0x80, v7, v13
.LBB76_124:                             ;   in Loop: Header=BB76_57 Depth=1
	s_or_b32 exec_lo, exec_lo, s16
.LBB76_125:                             ;   in Loop: Header=BB76_57 Depth=1
	s_delay_alu instid0(SALU_CYCLE_1) | instskip(SKIP_3) | instid1(VALU_DEP_2)
	s_or_b32 exec_lo, exec_lo, s13
	v_and_b32_e32 v8, 0xffff0000, v8
	v_and_b32_e32 v6, 0xffff0000, v6
	s_mov_b32 s13, exec_lo
	v_mul_f32_e32 v8, v28, v8
	s_delay_alu instid0(VALU_DEP_1) | instskip(SKIP_1) | instid1(VALU_DEP_2)
	v_bfe_u32 v12, v8, 16, 1
	v_cmp_o_f32_e32 vcc_lo, v8, v8
	v_add3_u32 v12, v8, v12, 0x7fff
	s_delay_alu instid0(VALU_DEP_1) | instskip(NEXT) | instid1(VALU_DEP_1)
	v_and_b32_e32 v12, 0xffff0000, v12
	v_cndmask_b32_e32 v8, 0x7fc00000, v12, vcc_lo
	s_delay_alu instid0(VALU_DEP_1) | instskip(NEXT) | instid1(VALU_DEP_1)
	v_mul_f32_e32 v6, v8, v6
	v_bfe_u32 v8, v6, 16, 1
	v_cmp_o_f32_e32 vcc_lo, v6, v6
	s_delay_alu instid0(VALU_DEP_2) | instskip(NEXT) | instid1(VALU_DEP_1)
	v_add3_u32 v8, v6, v8, 0x7fff
	v_and_b32_e32 v8, 0xffff0000, v8
	s_delay_alu instid0(VALU_DEP_1) | instskip(NEXT) | instid1(VALU_DEP_1)
	v_cndmask_b32_e32 v6, 0x7fc00000, v8, vcc_lo
	v_div_scale_f32 v8, null, v9, v9, v6
	s_delay_alu instid0(VALU_DEP_1) | instskip(SKIP_2) | instid1(VALU_DEP_1)
	v_rcp_f32_e32 v12, v8
	s_waitcnt_depctr 0xfff
	v_fma_f32 v13, -v8, v12, 1.0
	v_fmac_f32_e32 v12, v13, v12
	v_div_scale_f32 v13, vcc_lo, v6, v9, v6
	s_delay_alu instid0(VALU_DEP_1) | instskip(NEXT) | instid1(VALU_DEP_1)
	v_mul_f32_e32 v14, v13, v12
	v_fma_f32 v15, -v8, v14, v13
	s_delay_alu instid0(VALU_DEP_1) | instskip(NEXT) | instid1(VALU_DEP_1)
	v_fmac_f32_e32 v14, v15, v12
	v_fma_f32 v8, -v8, v14, v13
	s_delay_alu instid0(VALU_DEP_1) | instskip(NEXT) | instid1(VALU_DEP_1)
	v_div_fmas_f32 v8, v8, v12, v14
	v_div_fixup_f32 v6, v8, v9, v6
	s_delay_alu instid0(VALU_DEP_1) | instskip(NEXT) | instid1(VALU_DEP_1)
	v_minmax_f32 v6, v6, s7, 0xc3600000
	v_and_b32_e32 v8, 0x7fffffff, v6
	s_delay_alu instid0(VALU_DEP_1)
	v_cmpx_gt_u32_e32 0x43800000, v8
	s_cbranch_execz .LBB76_131
; %bb.126:                              ;   in Loop: Header=BB76_57 Depth=1
	v_cmp_lt_u32_e32 vcc_lo, 0x3bffffff, v8
	s_mov_b32 s15, 0
                                        ; implicit-def: $vgpr8
	s_and_saveexec_b32 s16, vcc_lo
	s_delay_alu instid0(SALU_CYCLE_1)
	s_xor_b32 s16, exec_lo, s16
	s_cbranch_execnz .LBB76_176
; %bb.127:                              ;   in Loop: Header=BB76_57 Depth=1
	s_or_saveexec_b32 s16, s16
                                        ; implicit-def: $sgpr17
	s_delay_alu instid0(SALU_CYCLE_1)
	s_xor_b32 exec_lo, exec_lo, s16
	s_cbranch_execnz .LBB76_177
.LBB76_128:                             ;   in Loop: Header=BB76_57 Depth=1
	s_or_b32 exec_lo, exec_lo, s16
	v_mov_b32_e32 v5, s17
	s_and_saveexec_b32 s16, s15
.LBB76_129:                             ;   in Loop: Header=BB76_57 Depth=1
	v_lshrrev_b32_e32 v5, 24, v6
	s_delay_alu instid0(VALU_DEP_1)
	v_and_or_b32 v5, 0x80, v5, v8
.LBB76_130:                             ;   in Loop: Header=BB76_57 Depth=1
	s_or_b32 exec_lo, exec_lo, s16
.LBB76_131:                             ;   in Loop: Header=BB76_57 Depth=1
	s_delay_alu instid0(SALU_CYCLE_1)
	s_or_b32 exec_lo, exec_lo, s13
	v_lshlrev_b32_e32 v6, 16, v7
	v_lshlrev_b32_e32 v7, 8, v11
	v_lshlrev_b64 v[3:4], 2, v[3:4]
	v_and_b32_e32 v8, 0xff, v10
	v_add_nc_u32_e32 v0, s4, v0
	v_perm_b32 v5, v5, v6, 0x4020c0c
	v_and_b32_e32 v6, 0xff00, v7
	s_mov_b32 s15, -1
	v_add_co_u32 v3, vcc_lo, s2, v3
	v_add_co_ci_u32_e32 v4, vcc_lo, s3, v4, vcc_lo
	s_delay_alu instid0(VALU_DEP_3)
	v_or3_b32 v5, v5, v6, v8
	s_mov_b32 s13, exec_lo
	global_store_b32 v[3:4], v5, off
	v_cmpx_gt_u32_e64 s12, v0
	s_cbranch_execz .LBB76_54
; %bb.132:                              ;   in Loop: Header=BB76_57 Depth=1
	v_lshlrev_b64 v[3:4], 3, v[0:1]
	v_lshrrev_b32_e32 v7, 3, v0
	s_mov_b32 s15, exec_lo
	s_delay_alu instid0(VALU_DEP_1) | instskip(NEXT) | instid1(VALU_DEP_3)
	v_and_b32_e32 v7, 0x7fffffc, v7
	v_add_co_u32 v5, vcc_lo, s14, v3
	s_delay_alu instid0(VALU_DEP_4)
	v_add_co_ci_u32_e32 v6, vcc_lo, s26, v4, vcc_lo
	v_add_co_u32 v3, vcc_lo, s10, v3
	v_add_co_ci_u32_e32 v4, vcc_lo, s11, v4, vcc_lo
	global_load_b64 v[5:6], v[5:6], off
	global_load_b32 v8, v7, s[0:1]
	global_load_b64 v[3:4], v[3:4], off
	s_waitcnt vmcnt(2)
	v_lshlrev_b32_e32 v7, 16, v5
	s_delay_alu instid0(VALU_DEP_1) | instskip(NEXT) | instid1(VALU_DEP_1)
	v_mul_f32_e32 v7, v28, v7
	v_bfe_u32 v9, v7, 16, 1
	v_cmp_o_f32_e32 vcc_lo, v7, v7
	s_delay_alu instid0(VALU_DEP_2) | instskip(NEXT) | instid1(VALU_DEP_1)
	v_add3_u32 v9, v7, v9, 0x7fff
	v_and_b32_e32 v9, 0xffff0000, v9
	s_waitcnt vmcnt(0)
	s_delay_alu instid0(VALU_DEP_1) | instskip(NEXT) | instid1(VALU_DEP_1)
	v_dual_cndmask_b32 v7, 0x7fc00000, v9 :: v_dual_lshlrev_b32 v10, 16, v3
	v_mul_f32_e32 v7, v7, v10
	s_delay_alu instid0(VALU_DEP_1) | instskip(SKIP_1) | instid1(VALU_DEP_2)
	v_bfe_u32 v9, v7, 16, 1
	v_cmp_o_f32_e32 vcc_lo, v7, v7
	v_add3_u32 v9, v7, v9, 0x7fff
	s_delay_alu instid0(VALU_DEP_1) | instskip(NEXT) | instid1(VALU_DEP_1)
	v_and_b32_e32 v9, 0xffff0000, v9
	v_cndmask_b32_e32 v7, 0x7fc00000, v9, vcc_lo
	s_delay_alu instid0(VALU_DEP_1) | instskip(SKIP_1) | instid1(VALU_DEP_2)
	v_div_scale_f32 v9, null, v8, v8, v7
	v_div_scale_f32 v12, vcc_lo, v7, v8, v7
	v_rcp_f32_e32 v10, v9
	s_waitcnt_depctr 0xfff
	v_fma_f32 v11, -v9, v10, 1.0
	s_delay_alu instid0(VALU_DEP_1) | instskip(NEXT) | instid1(VALU_DEP_1)
	v_fmac_f32_e32 v10, v11, v10
	v_mul_f32_e32 v11, v12, v10
	s_delay_alu instid0(VALU_DEP_1) | instskip(NEXT) | instid1(VALU_DEP_1)
	v_fma_f32 v13, -v9, v11, v12
	v_fmac_f32_e32 v11, v13, v10
	s_delay_alu instid0(VALU_DEP_1) | instskip(NEXT) | instid1(VALU_DEP_1)
	v_fma_f32 v9, -v9, v11, v12
	v_div_fmas_f32 v9, v9, v10, v11
	s_delay_alu instid0(VALU_DEP_1) | instskip(SKIP_1) | instid1(VALU_DEP_2)
	v_div_fixup_f32 v7, v9, v8, v7
	v_mov_b32_e32 v9, 0x80
	v_minmax_f32 v10, v7, s7, 0xc3600000
	v_mov_b32_e32 v7, 0x80
	s_delay_alu instid0(VALU_DEP_2) | instskip(NEXT) | instid1(VALU_DEP_1)
	v_and_b32_e32 v11, 0x7fffffff, v10
	v_cmpx_gt_u32_e32 0x43800000, v11
	s_cbranch_execz .LBB76_138
; %bb.133:                              ;   in Loop: Header=BB76_57 Depth=1
	v_cmp_lt_u32_e32 vcc_lo, 0x3bffffff, v11
	s_mov_b32 s16, 0
                                        ; implicit-def: $vgpr11
	s_and_saveexec_b32 s17, vcc_lo
	s_delay_alu instid0(SALU_CYCLE_1)
	s_xor_b32 s17, exec_lo, s17
	s_cbranch_execnz .LBB76_178
; %bb.134:                              ;   in Loop: Header=BB76_57 Depth=1
	s_or_saveexec_b32 s17, s17
                                        ; implicit-def: $sgpr18
	s_delay_alu instid0(SALU_CYCLE_1)
	s_xor_b32 exec_lo, exec_lo, s17
	s_cbranch_execnz .LBB76_179
.LBB76_135:                             ;   in Loop: Header=BB76_57 Depth=1
	s_or_b32 exec_lo, exec_lo, s17
	v_mov_b32_e32 v7, s18
	s_and_saveexec_b32 s17, s16
.LBB76_136:                             ;   in Loop: Header=BB76_57 Depth=1
	v_lshrrev_b32_e32 v7, 24, v10
	s_delay_alu instid0(VALU_DEP_1)
	v_and_or_b32 v7, 0x80, v7, v11
.LBB76_137:                             ;   in Loop: Header=BB76_57 Depth=1
	s_or_b32 exec_lo, exec_lo, s17
.LBB76_138:                             ;   in Loop: Header=BB76_57 Depth=1
	s_delay_alu instid0(SALU_CYCLE_1) | instskip(SKIP_3) | instid1(VALU_DEP_2)
	s_or_b32 exec_lo, exec_lo, s15
	v_and_b32_e32 v10, 0xffff0000, v5
	v_and_b32_e32 v12, 0xffff0000, v3
	s_mov_b32 s15, exec_lo
	v_mul_f32_e32 v10, v28, v10
	s_delay_alu instid0(VALU_DEP_1) | instskip(NEXT) | instid1(VALU_DEP_1)
	v_bfe_u32 v11, v10, 16, 1
	v_add3_u32 v11, v10, v11, 0x7fff
	s_delay_alu instid0(VALU_DEP_1) | instskip(SKIP_1) | instid1(VALU_DEP_2)
	v_and_b32_e32 v11, 0xffff0000, v11
	v_cmp_o_f32_e32 vcc_lo, v10, v10
	v_cndmask_b32_e32 v10, 0x7fc00000, v11, vcc_lo
	s_delay_alu instid0(VALU_DEP_1) | instskip(NEXT) | instid1(VALU_DEP_1)
	v_mul_f32_e32 v10, v10, v12
	v_bfe_u32 v11, v10, 16, 1
	s_delay_alu instid0(VALU_DEP_1) | instskip(NEXT) | instid1(VALU_DEP_1)
	v_add3_u32 v11, v10, v11, 0x7fff
	v_and_b32_e32 v11, 0xffff0000, v11
	v_cmp_o_f32_e32 vcc_lo, v10, v10
	s_delay_alu instid0(VALU_DEP_2) | instskip(NEXT) | instid1(VALU_DEP_1)
	v_cndmask_b32_e32 v10, 0x7fc00000, v11, vcc_lo
	v_div_scale_f32 v11, null, v8, v8, v10
	s_delay_alu instid0(VALU_DEP_1) | instskip(SKIP_2) | instid1(VALU_DEP_1)
	v_rcp_f32_e32 v12, v11
	s_waitcnt_depctr 0xfff
	v_fma_f32 v13, -v11, v12, 1.0
	v_fmac_f32_e32 v12, v13, v12
	v_div_scale_f32 v13, vcc_lo, v10, v8, v10
	s_delay_alu instid0(VALU_DEP_1) | instskip(NEXT) | instid1(VALU_DEP_1)
	v_mul_f32_e32 v14, v13, v12
	v_fma_f32 v15, -v11, v14, v13
	s_delay_alu instid0(VALU_DEP_1) | instskip(NEXT) | instid1(VALU_DEP_1)
	v_fmac_f32_e32 v14, v15, v12
	v_fma_f32 v11, -v11, v14, v13
	s_delay_alu instid0(VALU_DEP_1) | instskip(NEXT) | instid1(VALU_DEP_1)
	v_div_fmas_f32 v11, v11, v12, v14
	v_div_fixup_f32 v10, v11, v8, v10
	s_delay_alu instid0(VALU_DEP_1) | instskip(NEXT) | instid1(VALU_DEP_1)
	v_minmax_f32 v10, v10, s7, 0xc3600000
	v_and_b32_e32 v11, 0x7fffffff, v10
	s_delay_alu instid0(VALU_DEP_1)
	v_cmpx_gt_u32_e32 0x43800000, v11
	s_cbranch_execz .LBB76_144
; %bb.139:                              ;   in Loop: Header=BB76_57 Depth=1
	v_cmp_lt_u32_e32 vcc_lo, 0x3bffffff, v11
	s_mov_b32 s16, 0
                                        ; implicit-def: $vgpr11
	s_and_saveexec_b32 s17, vcc_lo
	s_delay_alu instid0(SALU_CYCLE_1)
	s_xor_b32 s17, exec_lo, s17
	s_cbranch_execnz .LBB76_180
; %bb.140:                              ;   in Loop: Header=BB76_57 Depth=1
	s_or_saveexec_b32 s17, s17
                                        ; implicit-def: $sgpr18
	s_delay_alu instid0(SALU_CYCLE_1)
	s_xor_b32 exec_lo, exec_lo, s17
	s_cbranch_execnz .LBB76_181
.LBB76_141:                             ;   in Loop: Header=BB76_57 Depth=1
	s_or_b32 exec_lo, exec_lo, s17
	v_mov_b32_e32 v9, s18
	s_and_saveexec_b32 s17, s16
.LBB76_142:                             ;   in Loop: Header=BB76_57 Depth=1
	v_lshrrev_b32_e32 v9, 24, v10
	s_delay_alu instid0(VALU_DEP_1)
	v_and_or_b32 v9, 0x80, v9, v11
.LBB76_143:                             ;   in Loop: Header=BB76_57 Depth=1
	s_or_b32 exec_lo, exec_lo, s17
.LBB76_144:                             ;   in Loop: Header=BB76_57 Depth=1
	s_delay_alu instid0(SALU_CYCLE_1) | instskip(SKIP_3) | instid1(VALU_DEP_2)
	s_or_b32 exec_lo, exec_lo, s15
	v_alignbit_b32 v5, v6, v5, 16
	v_alignbit_b32 v3, v4, v3, 16
	s_mov_b32 s15, exec_lo
	v_and_b32_e32 v5, 0xffff0000, v5
	s_delay_alu instid0(VALU_DEP_2) | instskip(NEXT) | instid1(VALU_DEP_2)
	v_and_b32_e32 v3, 0xffff0000, v3
	v_mul_f32_e32 v5, v28, v5
	s_delay_alu instid0(VALU_DEP_1) | instskip(NEXT) | instid1(VALU_DEP_1)
	v_bfe_u32 v10, v5, 16, 1
	v_add3_u32 v10, v5, v10, 0x7fff
	s_delay_alu instid0(VALU_DEP_1) | instskip(SKIP_1) | instid1(VALU_DEP_2)
	v_and_b32_e32 v10, 0xffff0000, v10
	v_cmp_o_f32_e32 vcc_lo, v5, v5
	v_cndmask_b32_e32 v5, 0x7fc00000, v10, vcc_lo
	s_delay_alu instid0(VALU_DEP_1) | instskip(NEXT) | instid1(VALU_DEP_1)
	v_mul_f32_e32 v3, v5, v3
	v_bfe_u32 v5, v3, 16, 1
	v_cmp_o_f32_e32 vcc_lo, v3, v3
	s_delay_alu instid0(VALU_DEP_2) | instskip(NEXT) | instid1(VALU_DEP_1)
	v_add3_u32 v5, v3, v5, 0x7fff
	v_and_b32_e32 v5, 0xffff0000, v5
	s_delay_alu instid0(VALU_DEP_1) | instskip(NEXT) | instid1(VALU_DEP_1)
	v_cndmask_b32_e32 v3, 0x7fc00000, v5, vcc_lo
	v_div_scale_f32 v5, null, v8, v8, v3
	v_div_scale_f32 v12, vcc_lo, v3, v8, v3
	s_delay_alu instid0(VALU_DEP_2) | instskip(SKIP_2) | instid1(VALU_DEP_1)
	v_rcp_f32_e32 v10, v5
	s_waitcnt_depctr 0xfff
	v_fma_f32 v11, -v5, v10, 1.0
	v_fmac_f32_e32 v10, v11, v10
	s_delay_alu instid0(VALU_DEP_1) | instskip(NEXT) | instid1(VALU_DEP_1)
	v_mul_f32_e32 v11, v12, v10
	v_fma_f32 v13, -v5, v11, v12
	s_delay_alu instid0(VALU_DEP_1) | instskip(NEXT) | instid1(VALU_DEP_1)
	v_fmac_f32_e32 v11, v13, v10
	v_fma_f32 v5, -v5, v11, v12
	s_delay_alu instid0(VALU_DEP_1) | instskip(NEXT) | instid1(VALU_DEP_1)
	v_div_fmas_f32 v5, v5, v10, v11
	v_div_fixup_f32 v3, v5, v8, v3
	v_mov_b32_e32 v5, 0x80
	s_delay_alu instid0(VALU_DEP_2) | instskip(SKIP_1) | instid1(VALU_DEP_2)
	v_minmax_f32 v10, v3, s7, 0xc3600000
	v_mov_b32_e32 v3, 0x80
	v_and_b32_e32 v11, 0x7fffffff, v10
	s_delay_alu instid0(VALU_DEP_1)
	v_cmpx_gt_u32_e32 0x43800000, v11
	s_cbranch_execz .LBB76_150
; %bb.145:                              ;   in Loop: Header=BB76_57 Depth=1
	v_cmp_lt_u32_e32 vcc_lo, 0x3bffffff, v11
	s_mov_b32 s16, 0
                                        ; implicit-def: $vgpr11
	s_and_saveexec_b32 s17, vcc_lo
	s_delay_alu instid0(SALU_CYCLE_1)
	s_xor_b32 s17, exec_lo, s17
	s_cbranch_execnz .LBB76_182
; %bb.146:                              ;   in Loop: Header=BB76_57 Depth=1
	s_or_saveexec_b32 s17, s17
                                        ; implicit-def: $sgpr18
	s_delay_alu instid0(SALU_CYCLE_1)
	s_xor_b32 exec_lo, exec_lo, s17
	s_cbranch_execnz .LBB76_183
.LBB76_147:                             ;   in Loop: Header=BB76_57 Depth=1
	s_or_b32 exec_lo, exec_lo, s17
	v_mov_b32_e32 v5, s18
	s_and_saveexec_b32 s17, s16
.LBB76_148:                             ;   in Loop: Header=BB76_57 Depth=1
	v_lshrrev_b32_e32 v5, 24, v10
	s_delay_alu instid0(VALU_DEP_1)
	v_and_or_b32 v5, 0x80, v5, v11
.LBB76_149:                             ;   in Loop: Header=BB76_57 Depth=1
	s_or_b32 exec_lo, exec_lo, s17
.LBB76_150:                             ;   in Loop: Header=BB76_57 Depth=1
	s_delay_alu instid0(SALU_CYCLE_1) | instskip(SKIP_3) | instid1(VALU_DEP_2)
	s_or_b32 exec_lo, exec_lo, s15
	v_and_b32_e32 v6, 0xffff0000, v6
	v_and_b32_e32 v4, 0xffff0000, v4
	s_mov_b32 s15, exec_lo
	v_mul_f32_e32 v6, v28, v6
	s_delay_alu instid0(VALU_DEP_1) | instskip(SKIP_1) | instid1(VALU_DEP_2)
	v_bfe_u32 v10, v6, 16, 1
	v_cmp_o_f32_e32 vcc_lo, v6, v6
	v_add3_u32 v10, v6, v10, 0x7fff
	s_delay_alu instid0(VALU_DEP_1) | instskip(NEXT) | instid1(VALU_DEP_1)
	v_and_b32_e32 v10, 0xffff0000, v10
	v_cndmask_b32_e32 v6, 0x7fc00000, v10, vcc_lo
	s_delay_alu instid0(VALU_DEP_1) | instskip(NEXT) | instid1(VALU_DEP_1)
	v_mul_f32_e32 v4, v6, v4
	v_bfe_u32 v6, v4, 16, 1
	v_cmp_o_f32_e32 vcc_lo, v4, v4
	s_delay_alu instid0(VALU_DEP_2) | instskip(NEXT) | instid1(VALU_DEP_1)
	v_add3_u32 v6, v4, v6, 0x7fff
	v_and_b32_e32 v6, 0xffff0000, v6
	s_delay_alu instid0(VALU_DEP_1) | instskip(NEXT) | instid1(VALU_DEP_1)
	v_cndmask_b32_e32 v4, 0x7fc00000, v6, vcc_lo
	v_div_scale_f32 v6, null, v8, v8, v4
	s_delay_alu instid0(VALU_DEP_1) | instskip(SKIP_2) | instid1(VALU_DEP_1)
	v_rcp_f32_e32 v10, v6
	s_waitcnt_depctr 0xfff
	v_fma_f32 v11, -v6, v10, 1.0
	v_fmac_f32_e32 v10, v11, v10
	v_div_scale_f32 v11, vcc_lo, v4, v8, v4
	s_delay_alu instid0(VALU_DEP_1) | instskip(NEXT) | instid1(VALU_DEP_1)
	v_mul_f32_e32 v12, v11, v10
	v_fma_f32 v13, -v6, v12, v11
	s_delay_alu instid0(VALU_DEP_1) | instskip(NEXT) | instid1(VALU_DEP_1)
	v_fmac_f32_e32 v12, v13, v10
	v_fma_f32 v6, -v6, v12, v11
	s_delay_alu instid0(VALU_DEP_1) | instskip(NEXT) | instid1(VALU_DEP_1)
	v_div_fmas_f32 v6, v6, v10, v12
	v_div_fixup_f32 v4, v6, v8, v4
	s_delay_alu instid0(VALU_DEP_1) | instskip(NEXT) | instid1(VALU_DEP_1)
	v_minmax_f32 v4, v4, s7, 0xc3600000
	v_and_b32_e32 v6, 0x7fffffff, v4
	s_delay_alu instid0(VALU_DEP_1)
	v_cmpx_gt_u32_e32 0x43800000, v6
	s_cbranch_execz .LBB76_53
; %bb.151:                              ;   in Loop: Header=BB76_57 Depth=1
	v_cmp_lt_u32_e32 vcc_lo, 0x3bffffff, v6
	s_mov_b32 s16, 0
                                        ; implicit-def: $vgpr6
	s_and_saveexec_b32 s17, vcc_lo
	s_delay_alu instid0(SALU_CYCLE_1)
	s_xor_b32 s17, exec_lo, s17
	s_cbranch_execnz .LBB76_184
; %bb.152:                              ;   in Loop: Header=BB76_57 Depth=1
	s_or_saveexec_b32 s17, s17
                                        ; implicit-def: $sgpr18
	s_delay_alu instid0(SALU_CYCLE_1)
	s_xor_b32 exec_lo, exec_lo, s17
	s_cbranch_execnz .LBB76_185
.LBB76_153:                             ;   in Loop: Header=BB76_57 Depth=1
	s_or_b32 exec_lo, exec_lo, s17
	v_mov_b32_e32 v3, s18
	s_and_saveexec_b32 s17, s16
	s_cbranch_execz .LBB76_52
	s_branch .LBB76_186
.LBB76_154:                             ;   in Loop: Header=BB76_57 Depth=1
	v_bfe_u32 v8, v9, 20, 1
	s_mov_b32 s9, exec_lo
	s_delay_alu instid0(VALU_DEP_1) | instskip(NEXT) | instid1(VALU_DEP_1)
	v_add3_u32 v8, v9, v8, 0x487ffff
	v_lshrrev_b32_e32 v10, 20, v8
	s_or_saveexec_b32 s13, s13
                                        ; implicit-def: $sgpr15
	s_delay_alu instid0(SALU_CYCLE_1)
	s_xor_b32 exec_lo, exec_lo, s13
	s_cbranch_execz .LBB76_60
.LBB76_155:                             ;   in Loop: Header=BB76_57 Depth=1
	v_add_f32_e64 v8, 0x46000000, |v9|
	s_and_not1_b32 s9, s9, exec_lo
	s_mov_b32 s15, 0
	s_delay_alu instid0(VALU_DEP_1) | instskip(NEXT) | instid1(VALU_DEP_1)
	v_and_b32_e32 v10, 0xff, v8
	v_cmp_ne_u32_e32 vcc_lo, 0, v10
	s_and_b32 s16, vcc_lo, exec_lo
	s_delay_alu instid0(SALU_CYCLE_1)
	s_or_b32 s9, s9, s16
	s_or_b32 exec_lo, exec_lo, s13
	v_mov_b32_e32 v8, s15
	s_and_saveexec_b32 s13, s9
	s_cbranch_execnz .LBB76_61
	s_branch .LBB76_62
.LBB76_156:                             ;   in Loop: Header=BB76_57 Depth=1
	v_bfe_u32 v7, v9, 20, 1
	s_mov_b32 s9, exec_lo
	s_delay_alu instid0(VALU_DEP_1) | instskip(NEXT) | instid1(VALU_DEP_1)
	v_add3_u32 v7, v9, v7, 0x487ffff
	v_lshrrev_b32_e32 v10, 20, v7
	s_or_saveexec_b32 s13, s13
                                        ; implicit-def: $sgpr15
	s_delay_alu instid0(SALU_CYCLE_1)
	s_xor_b32 exec_lo, exec_lo, s13
	s_cbranch_execz .LBB76_66
.LBB76_157:                             ;   in Loop: Header=BB76_57 Depth=1
	v_add_f32_e64 v7, 0x46000000, |v9|
	s_and_not1_b32 s9, s9, exec_lo
	s_mov_b32 s15, 0
	s_delay_alu instid0(VALU_DEP_1) | instskip(NEXT) | instid1(VALU_DEP_1)
	v_and_b32_e32 v10, 0xff, v7
	v_cmp_ne_u32_e32 vcc_lo, 0, v10
	s_and_b32 s16, vcc_lo, exec_lo
	s_delay_alu instid0(SALU_CYCLE_1)
	s_or_b32 s9, s9, s16
	s_or_b32 exec_lo, exec_lo, s13
	v_mov_b32_e32 v7, s15
	s_and_saveexec_b32 s13, s9
	s_cbranch_execnz .LBB76_67
	s_branch .LBB76_68
.LBB76_158:                             ;   in Loop: Header=BB76_57 Depth=1
	v_bfe_u32 v4, v9, 20, 1
	s_mov_b32 s9, exec_lo
	s_delay_alu instid0(VALU_DEP_1) | instskip(NEXT) | instid1(VALU_DEP_1)
	v_add3_u32 v4, v9, v4, 0x487ffff
	v_lshrrev_b32_e32 v10, 20, v4
	s_or_saveexec_b32 s13, s13
                                        ; implicit-def: $sgpr15
	s_delay_alu instid0(SALU_CYCLE_1)
	s_xor_b32 exec_lo, exec_lo, s13
	s_cbranch_execz .LBB76_72
.LBB76_159:                             ;   in Loop: Header=BB76_57 Depth=1
	v_add_f32_e64 v4, 0x46000000, |v9|
	s_and_not1_b32 s9, s9, exec_lo
	s_mov_b32 s15, 0
	s_delay_alu instid0(VALU_DEP_1) | instskip(NEXT) | instid1(VALU_DEP_1)
	v_and_b32_e32 v10, 0xff, v4
	v_cmp_ne_u32_e32 vcc_lo, 0, v10
	s_and_b32 s16, vcc_lo, exec_lo
	s_delay_alu instid0(SALU_CYCLE_1)
	s_or_b32 s9, s9, s16
	s_or_b32 exec_lo, exec_lo, s13
	v_mov_b32_e32 v4, s15
	s_and_saveexec_b32 s13, s9
	s_cbranch_execnz .LBB76_73
	s_branch .LBB76_74
.LBB76_160:                             ;   in Loop: Header=BB76_57 Depth=1
	v_bfe_u32 v2, v3, 20, 1
	s_mov_b32 s9, exec_lo
	s_delay_alu instid0(VALU_DEP_1) | instskip(NEXT) | instid1(VALU_DEP_1)
	v_add3_u32 v2, v3, v2, 0x487ffff
	v_lshrrev_b32_e32 v5, 20, v2
	s_or_saveexec_b32 s13, s13
                                        ; implicit-def: $sgpr15
	s_delay_alu instid0(SALU_CYCLE_1)
	s_xor_b32 exec_lo, exec_lo, s13
	s_cbranch_execz .LBB76_78
.LBB76_161:                             ;   in Loop: Header=BB76_57 Depth=1
	v_add_f32_e64 v2, 0x46000000, |v3|
	s_and_not1_b32 s9, s9, exec_lo
	s_mov_b32 s15, 0
	s_delay_alu instid0(VALU_DEP_1) | instskip(NEXT) | instid1(VALU_DEP_1)
	v_and_b32_e32 v5, 0xff, v2
	v_cmp_ne_u32_e32 vcc_lo, 0, v5
	s_and_b32 s16, vcc_lo, exec_lo
	s_delay_alu instid0(SALU_CYCLE_1)
	s_or_b32 s9, s9, s16
	s_or_b32 exec_lo, exec_lo, s13
	v_mov_b32_e32 v2, s15
	s_and_saveexec_b32 s13, s9
	s_cbranch_execnz .LBB76_79
	s_branch .LBB76_80
.LBB76_162:                             ;   in Loop: Header=BB76_57 Depth=1
	v_bfe_u32 v9, v11, 20, 1
	s_mov_b32 s13, exec_lo
	s_delay_alu instid0(VALU_DEP_1) | instskip(NEXT) | instid1(VALU_DEP_1)
	v_add3_u32 v9, v11, v9, 0x487ffff
	v_lshrrev_b32_e32 v12, 20, v9
	s_or_saveexec_b32 s15, s15
                                        ; implicit-def: $sgpr16
	s_delay_alu instid0(SALU_CYCLE_1)
	s_xor_b32 exec_lo, exec_lo, s15
	s_cbranch_execz .LBB76_85
.LBB76_163:                             ;   in Loop: Header=BB76_57 Depth=1
	v_add_f32_e64 v9, 0x46000000, |v11|
	s_and_not1_b32 s13, s13, exec_lo
	s_mov_b32 s16, 0
	s_delay_alu instid0(VALU_DEP_1) | instskip(NEXT) | instid1(VALU_DEP_1)
	v_and_b32_e32 v12, 0xff, v9
	v_cmp_ne_u32_e32 vcc_lo, 0, v12
	s_and_b32 s17, vcc_lo, exec_lo
	s_delay_alu instid0(SALU_CYCLE_1)
	s_or_b32 s13, s13, s17
	s_or_b32 exec_lo, exec_lo, s15
	v_mov_b32_e32 v9, s16
	s_and_saveexec_b32 s15, s13
	s_cbranch_execnz .LBB76_86
	s_branch .LBB76_87
.LBB76_164:                             ;   in Loop: Header=BB76_57 Depth=1
	v_bfe_u32 v10, v11, 20, 1
	s_mov_b32 s13, exec_lo
	s_delay_alu instid0(VALU_DEP_1) | instskip(NEXT) | instid1(VALU_DEP_1)
	v_add3_u32 v10, v11, v10, 0x487ffff
	v_lshrrev_b32_e32 v12, 20, v10
	s_or_saveexec_b32 s15, s15
                                        ; implicit-def: $sgpr16
	s_delay_alu instid0(SALU_CYCLE_1)
	s_xor_b32 exec_lo, exec_lo, s15
	s_cbranch_execz .LBB76_91
.LBB76_165:                             ;   in Loop: Header=BB76_57 Depth=1
	v_add_f32_e64 v10, 0x46000000, |v11|
	s_and_not1_b32 s13, s13, exec_lo
	s_mov_b32 s16, 0
	s_delay_alu instid0(VALU_DEP_1) | instskip(NEXT) | instid1(VALU_DEP_1)
	v_and_b32_e32 v12, 0xff, v10
	v_cmp_ne_u32_e32 vcc_lo, 0, v12
	s_and_b32 s17, vcc_lo, exec_lo
	s_delay_alu instid0(SALU_CYCLE_1)
	s_or_b32 s13, s13, s17
	s_or_b32 exec_lo, exec_lo, s15
	v_mov_b32_e32 v10, s16
	s_and_saveexec_b32 s15, s13
	s_cbranch_execnz .LBB76_92
	s_branch .LBB76_93
.LBB76_166:                             ;   in Loop: Header=BB76_57 Depth=1
	v_bfe_u32 v6, v11, 20, 1
	s_mov_b32 s13, exec_lo
	s_delay_alu instid0(VALU_DEP_1) | instskip(NEXT) | instid1(VALU_DEP_1)
	v_add3_u32 v6, v11, v6, 0x487ffff
	v_lshrrev_b32_e32 v12, 20, v6
	s_or_saveexec_b32 s15, s15
                                        ; implicit-def: $sgpr16
	s_delay_alu instid0(SALU_CYCLE_1)
	s_xor_b32 exec_lo, exec_lo, s15
	s_cbranch_execz .LBB76_97
.LBB76_167:                             ;   in Loop: Header=BB76_57 Depth=1
	v_add_f32_e64 v6, 0x46000000, |v11|
	s_and_not1_b32 s13, s13, exec_lo
	s_mov_b32 s16, 0
	s_delay_alu instid0(VALU_DEP_1) | instskip(NEXT) | instid1(VALU_DEP_1)
	v_and_b32_e32 v12, 0xff, v6
	v_cmp_ne_u32_e32 vcc_lo, 0, v12
	s_and_b32 s17, vcc_lo, exec_lo
	s_delay_alu instid0(SALU_CYCLE_1)
	s_or_b32 s13, s13, s17
	s_or_b32 exec_lo, exec_lo, s15
	v_mov_b32_e32 v6, s16
	s_and_saveexec_b32 s15, s13
	s_cbranch_execnz .LBB76_98
	s_branch .LBB76_99
.LBB76_168:                             ;   in Loop: Header=BB76_57 Depth=1
	v_bfe_u32 v4, v5, 20, 1
	s_mov_b32 s13, exec_lo
	s_delay_alu instid0(VALU_DEP_1) | instskip(NEXT) | instid1(VALU_DEP_1)
	v_add3_u32 v4, v5, v4, 0x487ffff
	v_lshrrev_b32_e32 v7, 20, v4
	s_or_saveexec_b32 s15, s15
                                        ; implicit-def: $sgpr16
	s_delay_alu instid0(SALU_CYCLE_1)
	s_xor_b32 exec_lo, exec_lo, s15
	s_cbranch_execz .LBB76_103
.LBB76_169:                             ;   in Loop: Header=BB76_57 Depth=1
	v_add_f32_e64 v4, 0x46000000, |v5|
	s_and_not1_b32 s13, s13, exec_lo
	s_mov_b32 s16, 0
	s_delay_alu instid0(VALU_DEP_1) | instskip(NEXT) | instid1(VALU_DEP_1)
	v_and_b32_e32 v7, 0xff, v4
	v_cmp_ne_u32_e32 vcc_lo, 0, v7
	s_and_b32 s17, vcc_lo, exec_lo
	s_delay_alu instid0(SALU_CYCLE_1)
	s_or_b32 s13, s13, s17
	s_or_b32 exec_lo, exec_lo, s15
	v_mov_b32_e32 v4, s16
	s_and_saveexec_b32 s15, s13
	s_cbranch_execnz .LBB76_104
	s_branch .LBB76_105
.LBB76_170:                             ;   in Loop: Header=BB76_57 Depth=1
	v_bfe_u32 v10, v12, 20, 1
	s_mov_b32 s15, exec_lo
	s_delay_alu instid0(VALU_DEP_1) | instskip(NEXT) | instid1(VALU_DEP_1)
	v_add3_u32 v10, v12, v10, 0x487ffff
	v_lshrrev_b32_e32 v13, 20, v10
	s_or_saveexec_b32 s16, s16
                                        ; implicit-def: $sgpr17
	s_delay_alu instid0(SALU_CYCLE_1)
	s_xor_b32 exec_lo, exec_lo, s16
	s_cbranch_execz .LBB76_110
.LBB76_171:                             ;   in Loop: Header=BB76_57 Depth=1
	v_add_f32_e64 v10, 0x46000000, |v12|
	s_and_not1_b32 s15, s15, exec_lo
	s_mov_b32 s17, 0
	s_delay_alu instid0(VALU_DEP_1) | instskip(NEXT) | instid1(VALU_DEP_1)
	v_and_b32_e32 v13, 0xff, v10
	v_cmp_ne_u32_e32 vcc_lo, 0, v13
	s_and_b32 s18, vcc_lo, exec_lo
	s_delay_alu instid0(SALU_CYCLE_1)
	s_or_b32 s15, s15, s18
	s_or_b32 exec_lo, exec_lo, s16
	v_mov_b32_e32 v10, s17
	s_and_saveexec_b32 s16, s15
	s_cbranch_execnz .LBB76_111
	s_branch .LBB76_112
.LBB76_172:                             ;   in Loop: Header=BB76_57 Depth=1
	v_bfe_u32 v11, v12, 20, 1
	s_mov_b32 s15, exec_lo
	s_delay_alu instid0(VALU_DEP_1) | instskip(NEXT) | instid1(VALU_DEP_1)
	v_add3_u32 v11, v12, v11, 0x487ffff
	v_lshrrev_b32_e32 v13, 20, v11
	s_or_saveexec_b32 s16, s16
                                        ; implicit-def: $sgpr17
	s_delay_alu instid0(SALU_CYCLE_1)
	s_xor_b32 exec_lo, exec_lo, s16
	s_cbranch_execz .LBB76_116
.LBB76_173:                             ;   in Loop: Header=BB76_57 Depth=1
	v_add_f32_e64 v11, 0x46000000, |v12|
	s_and_not1_b32 s15, s15, exec_lo
	s_mov_b32 s17, 0
	s_delay_alu instid0(VALU_DEP_1) | instskip(NEXT) | instid1(VALU_DEP_1)
	v_and_b32_e32 v13, 0xff, v11
	v_cmp_ne_u32_e32 vcc_lo, 0, v13
	s_and_b32 s18, vcc_lo, exec_lo
	s_delay_alu instid0(SALU_CYCLE_1)
	s_or_b32 s15, s15, s18
	s_or_b32 exec_lo, exec_lo, s16
	v_mov_b32_e32 v11, s17
	s_and_saveexec_b32 s16, s15
	s_cbranch_execnz .LBB76_117
	s_branch .LBB76_118
.LBB76_174:                             ;   in Loop: Header=BB76_57 Depth=1
	v_bfe_u32 v7, v12, 20, 1
	s_mov_b32 s15, exec_lo
	s_delay_alu instid0(VALU_DEP_1) | instskip(NEXT) | instid1(VALU_DEP_1)
	v_add3_u32 v7, v12, v7, 0x487ffff
	v_lshrrev_b32_e32 v13, 20, v7
	s_or_saveexec_b32 s16, s16
                                        ; implicit-def: $sgpr17
	s_delay_alu instid0(SALU_CYCLE_1)
	s_xor_b32 exec_lo, exec_lo, s16
	s_cbranch_execz .LBB76_122
.LBB76_175:                             ;   in Loop: Header=BB76_57 Depth=1
	v_add_f32_e64 v7, 0x46000000, |v12|
	s_and_not1_b32 s15, s15, exec_lo
	s_mov_b32 s17, 0
	s_delay_alu instid0(VALU_DEP_1) | instskip(NEXT) | instid1(VALU_DEP_1)
	v_and_b32_e32 v13, 0xff, v7
	v_cmp_ne_u32_e32 vcc_lo, 0, v13
	s_and_b32 s18, vcc_lo, exec_lo
	s_delay_alu instid0(SALU_CYCLE_1)
	s_or_b32 s15, s15, s18
	s_or_b32 exec_lo, exec_lo, s16
	v_mov_b32_e32 v7, s17
	s_and_saveexec_b32 s16, s15
	s_cbranch_execnz .LBB76_123
	s_branch .LBB76_124
.LBB76_176:                             ;   in Loop: Header=BB76_57 Depth=1
	v_bfe_u32 v5, v6, 20, 1
	s_mov_b32 s15, exec_lo
	s_delay_alu instid0(VALU_DEP_1) | instskip(NEXT) | instid1(VALU_DEP_1)
	v_add3_u32 v5, v6, v5, 0x487ffff
	v_lshrrev_b32_e32 v8, 20, v5
	s_or_saveexec_b32 s16, s16
                                        ; implicit-def: $sgpr17
	s_delay_alu instid0(SALU_CYCLE_1)
	s_xor_b32 exec_lo, exec_lo, s16
	s_cbranch_execz .LBB76_128
.LBB76_177:                             ;   in Loop: Header=BB76_57 Depth=1
	v_add_f32_e64 v5, 0x46000000, |v6|
	s_and_not1_b32 s15, s15, exec_lo
	s_mov_b32 s17, 0
	s_delay_alu instid0(VALU_DEP_1) | instskip(NEXT) | instid1(VALU_DEP_1)
	v_and_b32_e32 v8, 0xff, v5
	v_cmp_ne_u32_e32 vcc_lo, 0, v8
	s_and_b32 s18, vcc_lo, exec_lo
	s_delay_alu instid0(SALU_CYCLE_1)
	s_or_b32 s15, s15, s18
	s_or_b32 exec_lo, exec_lo, s16
	v_mov_b32_e32 v5, s17
	s_and_saveexec_b32 s16, s15
	s_cbranch_execnz .LBB76_129
	s_branch .LBB76_130
.LBB76_178:                             ;   in Loop: Header=BB76_57 Depth=1
	v_bfe_u32 v7, v10, 20, 1
	s_mov_b32 s16, exec_lo
	s_delay_alu instid0(VALU_DEP_1) | instskip(NEXT) | instid1(VALU_DEP_1)
	v_add3_u32 v7, v10, v7, 0x487ffff
	v_lshrrev_b32_e32 v11, 20, v7
	s_or_saveexec_b32 s17, s17
                                        ; implicit-def: $sgpr18
	s_delay_alu instid0(SALU_CYCLE_1)
	s_xor_b32 exec_lo, exec_lo, s17
	s_cbranch_execz .LBB76_135
.LBB76_179:                             ;   in Loop: Header=BB76_57 Depth=1
	v_add_f32_e64 v7, 0x46000000, |v10|
	s_and_not1_b32 s16, s16, exec_lo
	s_mov_b32 s18, 0
	s_delay_alu instid0(VALU_DEP_1) | instskip(NEXT) | instid1(VALU_DEP_1)
	v_and_b32_e32 v11, 0xff, v7
	v_cmp_ne_u32_e32 vcc_lo, 0, v11
	s_and_b32 s19, vcc_lo, exec_lo
	s_delay_alu instid0(SALU_CYCLE_1)
	s_or_b32 s16, s16, s19
	s_or_b32 exec_lo, exec_lo, s17
	v_mov_b32_e32 v7, s18
	s_and_saveexec_b32 s17, s16
	s_cbranch_execnz .LBB76_136
	s_branch .LBB76_137
.LBB76_180:                             ;   in Loop: Header=BB76_57 Depth=1
	v_bfe_u32 v9, v10, 20, 1
	s_mov_b32 s16, exec_lo
	s_delay_alu instid0(VALU_DEP_1) | instskip(NEXT) | instid1(VALU_DEP_1)
	v_add3_u32 v9, v10, v9, 0x487ffff
	v_lshrrev_b32_e32 v11, 20, v9
	s_or_saveexec_b32 s17, s17
                                        ; implicit-def: $sgpr18
	s_delay_alu instid0(SALU_CYCLE_1)
	s_xor_b32 exec_lo, exec_lo, s17
	s_cbranch_execz .LBB76_141
.LBB76_181:                             ;   in Loop: Header=BB76_57 Depth=1
	v_add_f32_e64 v9, 0x46000000, |v10|
	s_and_not1_b32 s16, s16, exec_lo
	s_mov_b32 s18, 0
	s_delay_alu instid0(VALU_DEP_1) | instskip(NEXT) | instid1(VALU_DEP_1)
	v_and_b32_e32 v11, 0xff, v9
	v_cmp_ne_u32_e32 vcc_lo, 0, v11
	s_and_b32 s19, vcc_lo, exec_lo
	s_delay_alu instid0(SALU_CYCLE_1)
	s_or_b32 s16, s16, s19
	s_or_b32 exec_lo, exec_lo, s17
	v_mov_b32_e32 v9, s18
	s_and_saveexec_b32 s17, s16
	s_cbranch_execnz .LBB76_142
	s_branch .LBB76_143
.LBB76_182:                             ;   in Loop: Header=BB76_57 Depth=1
	v_bfe_u32 v5, v10, 20, 1
	s_mov_b32 s16, exec_lo
	s_delay_alu instid0(VALU_DEP_1) | instskip(NEXT) | instid1(VALU_DEP_1)
	v_add3_u32 v5, v10, v5, 0x487ffff
	v_lshrrev_b32_e32 v11, 20, v5
	s_or_saveexec_b32 s17, s17
                                        ; implicit-def: $sgpr18
	s_delay_alu instid0(SALU_CYCLE_1)
	s_xor_b32 exec_lo, exec_lo, s17
	s_cbranch_execz .LBB76_147
.LBB76_183:                             ;   in Loop: Header=BB76_57 Depth=1
	v_add_f32_e64 v5, 0x46000000, |v10|
	s_and_not1_b32 s16, s16, exec_lo
	s_mov_b32 s18, 0
	s_delay_alu instid0(VALU_DEP_1) | instskip(NEXT) | instid1(VALU_DEP_1)
	v_and_b32_e32 v11, 0xff, v5
	v_cmp_ne_u32_e32 vcc_lo, 0, v11
	s_and_b32 s19, vcc_lo, exec_lo
	s_delay_alu instid0(SALU_CYCLE_1)
	s_or_b32 s16, s16, s19
	s_or_b32 exec_lo, exec_lo, s17
	v_mov_b32_e32 v5, s18
	s_and_saveexec_b32 s17, s16
	s_cbranch_execnz .LBB76_148
	s_branch .LBB76_149
.LBB76_184:                             ;   in Loop: Header=BB76_57 Depth=1
	v_bfe_u32 v3, v4, 20, 1
	s_mov_b32 s16, exec_lo
	s_delay_alu instid0(VALU_DEP_1) | instskip(NEXT) | instid1(VALU_DEP_1)
	v_add3_u32 v3, v4, v3, 0x487ffff
	v_lshrrev_b32_e32 v6, 20, v3
	s_or_saveexec_b32 s17, s17
                                        ; implicit-def: $sgpr18
	s_delay_alu instid0(SALU_CYCLE_1)
	s_xor_b32 exec_lo, exec_lo, s17
	s_cbranch_execz .LBB76_153
.LBB76_185:                             ;   in Loop: Header=BB76_57 Depth=1
	v_add_f32_e64 v3, 0x46000000, |v4|
	s_and_not1_b32 s16, s16, exec_lo
	s_mov_b32 s18, 0
	s_delay_alu instid0(VALU_DEP_1) | instskip(NEXT) | instid1(VALU_DEP_1)
	v_and_b32_e32 v6, 0xff, v3
	v_cmp_ne_u32_e32 vcc_lo, 0, v6
	s_and_b32 s19, vcc_lo, exec_lo
	s_delay_alu instid0(SALU_CYCLE_1)
	s_or_b32 s16, s16, s19
	s_or_b32 exec_lo, exec_lo, s17
	v_mov_b32_e32 v3, s18
	s_and_saveexec_b32 s17, s16
	s_cbranch_execz .LBB76_52
.LBB76_186:                             ;   in Loop: Header=BB76_57 Depth=1
	v_lshrrev_b32_e32 v3, 24, v4
	s_delay_alu instid0(VALU_DEP_1)
	v_and_or_b32 v3, 0x80, v3, v6
	s_branch .LBB76_52
.LBB76_187:
	s_nop 0
	s_sendmsg sendmsg(MSG_DEALLOC_VGPRS)
	s_endpgm
	.section	.rodata,"a",@progbits
	.p2align	6, 0x0
	.amdhsa_kernel _ZN4vllm31rms_norm_per_block_quant_kernelIN3c108BFloat16ENS1_15Float8_e4m3fnuzELb0ELb0ELi128EEEvPT0_PfPKT_S9_PKffiiPS7_l
		.amdhsa_group_segment_fixed_size 4228
		.amdhsa_private_segment_fixed_size 0
		.amdhsa_kernarg_size 328
		.amdhsa_user_sgpr_count 15
		.amdhsa_user_sgpr_dispatch_ptr 0
		.amdhsa_user_sgpr_queue_ptr 0
		.amdhsa_user_sgpr_kernarg_segment_ptr 1
		.amdhsa_user_sgpr_dispatch_id 0
		.amdhsa_user_sgpr_private_segment_size 0
		.amdhsa_wavefront_size32 1
		.amdhsa_uses_dynamic_stack 0
		.amdhsa_enable_private_segment 0
		.amdhsa_system_sgpr_workgroup_id_x 1
		.amdhsa_system_sgpr_workgroup_id_y 0
		.amdhsa_system_sgpr_workgroup_id_z 0
		.amdhsa_system_sgpr_workgroup_info 0
		.amdhsa_system_vgpr_workitem_id 0
		.amdhsa_next_free_vgpr 46
		.amdhsa_next_free_sgpr 34
		.amdhsa_reserve_vcc 1
		.amdhsa_float_round_mode_32 0
		.amdhsa_float_round_mode_16_64 0
		.amdhsa_float_denorm_mode_32 3
		.amdhsa_float_denorm_mode_16_64 3
		.amdhsa_dx10_clamp 1
		.amdhsa_ieee_mode 1
		.amdhsa_fp16_overflow 0
		.amdhsa_workgroup_processor_mode 1
		.amdhsa_memory_ordered 1
		.amdhsa_forward_progress 0
		.amdhsa_shared_vgpr_count 0
		.amdhsa_exception_fp_ieee_invalid_op 0
		.amdhsa_exception_fp_denorm_src 0
		.amdhsa_exception_fp_ieee_div_zero 0
		.amdhsa_exception_fp_ieee_overflow 0
		.amdhsa_exception_fp_ieee_underflow 0
		.amdhsa_exception_fp_ieee_inexact 0
		.amdhsa_exception_int_div_zero 0
	.end_amdhsa_kernel
	.section	.text._ZN4vllm31rms_norm_per_block_quant_kernelIN3c108BFloat16ENS1_15Float8_e4m3fnuzELb0ELb0ELi128EEEvPT0_PfPKT_S9_PKffiiPS7_l,"axG",@progbits,_ZN4vllm31rms_norm_per_block_quant_kernelIN3c108BFloat16ENS1_15Float8_e4m3fnuzELb0ELb0ELi128EEEvPT0_PfPKT_S9_PKffiiPS7_l,comdat
.Lfunc_end76:
	.size	_ZN4vllm31rms_norm_per_block_quant_kernelIN3c108BFloat16ENS1_15Float8_e4m3fnuzELb0ELb0ELi128EEEvPT0_PfPKT_S9_PKffiiPS7_l, .Lfunc_end76-_ZN4vllm31rms_norm_per_block_quant_kernelIN3c108BFloat16ENS1_15Float8_e4m3fnuzELb0ELb0ELi128EEEvPT0_PfPKT_S9_PKffiiPS7_l
                                        ; -- End function
	.section	.AMDGPU.csdata,"",@progbits
; Kernel info:
; codeLenInByte = 14628
; NumSgprs: 36
; NumVgprs: 46
; ScratchSize: 0
; MemoryBound: 0
; FloatMode: 240
; IeeeMode: 1
; LDSByteSize: 4228 bytes/workgroup (compile time only)
; SGPRBlocks: 4
; VGPRBlocks: 5
; NumSGPRsForWavesPerEU: 36
; NumVGPRsForWavesPerEU: 46
; Occupancy: 16
; WaveLimiterHint : 0
; COMPUTE_PGM_RSRC2:SCRATCH_EN: 0
; COMPUTE_PGM_RSRC2:USER_SGPR: 15
; COMPUTE_PGM_RSRC2:TRAP_HANDLER: 0
; COMPUTE_PGM_RSRC2:TGID_X_EN: 1
; COMPUTE_PGM_RSRC2:TGID_Y_EN: 0
; COMPUTE_PGM_RSRC2:TGID_Z_EN: 0
; COMPUTE_PGM_RSRC2:TIDIG_COMP_CNT: 0
	.section	.text._ZN4vllm31rms_norm_per_block_quant_kernelIN3c108BFloat16EaLb0ELb0ELi128EEEvPT0_PfPKT_S8_PKffiiPS6_l,"axG",@progbits,_ZN4vllm31rms_norm_per_block_quant_kernelIN3c108BFloat16EaLb0ELb0ELi128EEEvPT0_PfPKT_S8_PKffiiPS6_l,comdat
	.protected	_ZN4vllm31rms_norm_per_block_quant_kernelIN3c108BFloat16EaLb0ELb0ELi128EEEvPT0_PfPKT_S8_PKffiiPS6_l ; -- Begin function _ZN4vllm31rms_norm_per_block_quant_kernelIN3c108BFloat16EaLb0ELb0ELi128EEEvPT0_PfPKT_S8_PKffiiPS6_l
	.globl	_ZN4vllm31rms_norm_per_block_quant_kernelIN3c108BFloat16EaLb0ELb0ELi128EEEvPT0_PfPKT_S8_PKffiiPS6_l
	.p2align	8
	.type	_ZN4vllm31rms_norm_per_block_quant_kernelIN3c108BFloat16EaLb0ELb0ELi128EEEvPT0_PfPKT_S8_PKffiiPS6_l,@function
_ZN4vllm31rms_norm_per_block_quant_kernelIN3c108BFloat16EaLb0ELb0ELi128EEEvPT0_PfPKT_S8_PKffiiPS6_l: ; @_ZN4vllm31rms_norm_per_block_quant_kernelIN3c108BFloat16EaLb0ELb0ELi128EEEvPT0_PfPKT_S8_PKffiiPS6_l
; %bb.0:
	s_clause 0x1
	s_load_b128 s[16:19], s[0:1], 0x28
	s_load_b256 s[4:11], s[0:1], 0x0
	v_mov_b32_e32 v6, 0
	s_mov_b32 s13, 0
	s_waitcnt lgkmcnt(0)
	s_ashr_i32 s2, s18, 31
	s_mul_hi_u32 s3, s18, s15
	s_mul_i32 s12, s2, s15
	s_mul_i32 s2, s18, s15
	s_add_i32 s3, s3, s12
	s_mov_b32 s18, s17
	s_lshl_b64 s[22:23], s[2:3], 1
	s_delay_alu instid0(SALU_CYCLE_1)
	s_add_u32 s14, s8, s22
	s_addc_u32 s26, s9, s23
	s_ashr_i32 s12, s17, 2
	s_add_u32 s20, s0, 0x48
	v_cmp_gt_u32_e64 s2, s12, v0
	s_addc_u32 s21, s1, 0
	s_delay_alu instid0(VALU_DEP_1)
	s_and_saveexec_b32 s3, s2
	s_cbranch_execz .LBB77_10
; %bb.1:
	s_load_b32 s19, s[20:21], 0x0
	v_dual_mov_b32 v2, 0 :: v_dual_mov_b32 v1, v0
	s_waitcnt lgkmcnt(0)
	s_cmp_lt_u32 s15, s19
	s_cselect_b32 s19, 12, 18
	s_delay_alu instid0(SALU_CYCLE_1)
	s_add_u32 s24, s20, s19
	s_addc_u32 s25, s21, 0
                                        ; implicit-def: $sgpr19
	global_load_u16 v7, v2, s[24:25]
	s_waitcnt vmcnt(0)
	v_lshlrev_b32_e32 v9, 1, v7
	v_mul_lo_u32 v8, v7, 3
	v_add_nc_u32_e32 v10, v7, v7
	v_mov_b32_e32 v6, v2
	s_branch .LBB77_5
.LBB77_2:                               ;   in Loop: Header=BB77_5 Depth=1
	s_or_b32 exec_lo, exec_lo, s27
	s_delay_alu instid0(SALU_CYCLE_1)
	s_or_not1_b32 s27, s28, exec_lo
.LBB77_3:                               ;   in Loop: Header=BB77_5 Depth=1
	s_or_b32 exec_lo, exec_lo, s25
	s_delay_alu instid0(SALU_CYCLE_1) | instskip(SKIP_1) | instid1(SALU_CYCLE_1)
	s_and_not1_b32 s19, s19, exec_lo
	s_and_b32 s25, s27, exec_lo
	s_or_b32 s19, s19, s25
.LBB77_4:                               ;   in Loop: Header=BB77_5 Depth=1
	s_or_b32 exec_lo, exec_lo, s24
	s_delay_alu instid0(SALU_CYCLE_1) | instskip(NEXT) | instid1(SALU_CYCLE_1)
	s_and_b32 s24, exec_lo, s19
	s_or_b32 s13, s24, s13
	s_delay_alu instid0(SALU_CYCLE_1)
	s_and_not1_b32 exec_lo, exec_lo, s13
	s_cbranch_execz .LBB77_9
.LBB77_5:                               ; =>This Inner Loop Header: Depth=1
	v_lshlrev_b64 v[3:4], 3, v[1:2]
	s_or_b32 s19, s19, exec_lo
	s_mov_b32 s24, exec_lo
	s_delay_alu instid0(VALU_DEP_1) | instskip(NEXT) | instid1(VALU_DEP_2)
	v_add_co_u32 v3, vcc_lo, s14, v3
	v_add_co_ci_u32_e32 v4, vcc_lo, s26, v4, vcc_lo
	global_load_b64 v[3:4], v[3:4], off
	s_waitcnt vmcnt(0)
	v_lshlrev_b32_e32 v5, 16, v3
	v_and_b32_e32 v11, 0xffff0000, v3
	v_alignbit_b32 v3, v4, v3, 16
	v_and_b32_e32 v4, 0xffff0000, v4
	s_delay_alu instid0(VALU_DEP_2) | instskip(NEXT) | instid1(VALU_DEP_1)
	v_dual_fmac_f32 v6, v5, v5 :: v_dual_and_b32 v3, 0xffff0000, v3
	v_fmac_f32_e32 v6, v11, v11
	s_delay_alu instid0(VALU_DEP_1) | instskip(NEXT) | instid1(VALU_DEP_1)
	v_fmac_f32_e32 v6, v3, v3
	v_dual_fmac_f32 v6, v4, v4 :: v_dual_add_nc_u32 v3, v1, v7
	s_delay_alu instid0(VALU_DEP_1)
	v_cmpx_gt_u32_e64 s12, v3
	s_cbranch_execz .LBB77_4
; %bb.6:                                ;   in Loop: Header=BB77_5 Depth=1
	v_mov_b32_e32 v4, v2
	s_mov_b32 s27, -1
	s_mov_b32 s25, exec_lo
	s_delay_alu instid0(VALU_DEP_1) | instskip(NEXT) | instid1(VALU_DEP_1)
	v_lshlrev_b64 v[4:5], 3, v[3:4]
	v_add_co_u32 v4, vcc_lo, s14, v4
	s_delay_alu instid0(VALU_DEP_2)
	v_add_co_ci_u32_e32 v5, vcc_lo, s26, v5, vcc_lo
	global_load_b64 v[4:5], v[4:5], off
	s_waitcnt vmcnt(0)
	v_lshlrev_b32_e32 v11, 16, v4
	v_and_b32_e32 v12, 0xffff0000, v4
	v_alignbit_b32 v4, v5, v4, 16
	s_delay_alu instid0(VALU_DEP_3) | instskip(NEXT) | instid1(VALU_DEP_2)
	v_dual_fmac_f32 v6, v11, v11 :: v_dual_and_b32 v5, 0xffff0000, v5
	v_and_b32_e32 v4, 0xffff0000, v4
	s_delay_alu instid0(VALU_DEP_2) | instskip(NEXT) | instid1(VALU_DEP_1)
	v_fmac_f32_e32 v6, v12, v12
	v_fmac_f32_e32 v6, v4, v4
	v_add_nc_u32_e32 v4, v9, v1
	s_delay_alu instid0(VALU_DEP_2) | instskip(NEXT) | instid1(VALU_DEP_2)
	v_fmac_f32_e32 v6, v5, v5
	v_cmpx_gt_u32_e64 s12, v4
	s_cbranch_execz .LBB77_3
; %bb.7:                                ;   in Loop: Header=BB77_5 Depth=1
	v_mov_b32_e32 v5, v2
	v_add_nc_u32_e32 v1, v8, v1
	s_mov_b32 s28, -1
	s_mov_b32 s27, exec_lo
	s_delay_alu instid0(VALU_DEP_2) | instskip(NEXT) | instid1(VALU_DEP_1)
	v_lshlrev_b64 v[4:5], 3, v[4:5]
	v_add_co_u32 v4, vcc_lo, s14, v4
	s_delay_alu instid0(VALU_DEP_2)
	v_add_co_ci_u32_e32 v5, vcc_lo, s26, v5, vcc_lo
	global_load_b64 v[4:5], v[4:5], off
	s_waitcnt vmcnt(0)
	v_and_b32_e32 v12, 0xffff0000, v4
	v_lshlrev_b32_e32 v11, 16, v4
	v_alignbit_b32 v4, v5, v4, 16
	s_delay_alu instid0(VALU_DEP_2) | instskip(NEXT) | instid1(VALU_DEP_2)
	v_dual_fmac_f32 v6, v11, v11 :: v_dual_and_b32 v5, 0xffff0000, v5
	v_and_b32_e32 v4, 0xffff0000, v4
	s_delay_alu instid0(VALU_DEP_2) | instskip(NEXT) | instid1(VALU_DEP_1)
	v_fmac_f32_e32 v6, v12, v12
	v_fmac_f32_e32 v6, v4, v4
	s_delay_alu instid0(VALU_DEP_1)
	v_fmac_f32_e32 v6, v5, v5
	v_cmpx_gt_u32_e64 s12, v1
	s_xor_b32 s27, exec_lo, s27
	s_cbranch_execz .LBB77_2
; %bb.8:                                ;   in Loop: Header=BB77_5 Depth=1
	v_lshlrev_b64 v[4:5], 3, v[1:2]
	s_delay_alu instid0(VALU_DEP_1) | instskip(NEXT) | instid1(VALU_DEP_2)
	v_add_co_u32 v4, vcc_lo, s14, v4
	v_add_co_ci_u32_e32 v5, vcc_lo, s26, v5, vcc_lo
	global_load_b64 v[4:5], v[4:5], off
	s_waitcnt vmcnt(0)
	v_and_b32_e32 v11, 0xffff0000, v4
	v_lshlrev_b32_e32 v1, 16, v4
	v_alignbit_b32 v4, v5, v4, 16
	s_delay_alu instid0(VALU_DEP_2) | instskip(NEXT) | instid1(VALU_DEP_2)
	v_fmac_f32_e32 v6, v1, v1
	v_and_b32_e32 v4, 0xffff0000, v4
	v_add3_u32 v1, v10, v7, v3
	s_delay_alu instid0(VALU_DEP_3) | instskip(NEXT) | instid1(VALU_DEP_2)
	v_dual_fmac_f32 v6, v11, v11 :: v_dual_and_b32 v3, 0xffff0000, v5
	v_cmp_le_u32_e32 vcc_lo, s12, v1
	s_delay_alu instid0(VALU_DEP_2) | instskip(SKIP_1) | instid1(VALU_DEP_1)
	v_fmac_f32_e32 v6, v4, v4
	s_or_not1_b32 s28, vcc_lo, exec_lo
	v_fmac_f32_e32 v6, v3, v3
	s_branch .LBB77_2
.LBB77_9:
	s_or_b32 exec_lo, exec_lo, s13
.LBB77_10:
	s_delay_alu instid0(SALU_CYCLE_1) | instskip(SKIP_3) | instid1(VALU_DEP_2)
	s_or_b32 exec_lo, exec_lo, s3
	v_mbcnt_lo_u32_b32 v1, -1, 0
	s_load_b32 s3, s[20:21], 0xc
	v_and_b32_e32 v7, 0x3e0, v0
	v_cmp_ne_u32_e32 vcc_lo, 31, v1
	v_add_nc_u32_e32 v3, 1, v1
	v_add_co_ci_u32_e32 v2, vcc_lo, 0, v1, vcc_lo
	v_cmp_gt_u32_e32 vcc_lo, 30, v1
	s_delay_alu instid0(VALU_DEP_2)
	v_lshlrev_b32_e32 v2, 2, v2
	v_cndmask_b32_e64 v5, 0, 1, vcc_lo
	ds_bpermute_b32 v4, v2, v6
	s_waitcnt lgkmcnt(0)
	s_and_b32 s27, s3, 0xffff
	v_lshlrev_b32_e32 v5, 1, v5
	v_sub_nc_u32_e64 v12, s27, v7 clamp
	s_mov_b32 s3, exec_lo
	s_delay_alu instid0(VALU_DEP_1) | instskip(SKIP_2) | instid1(VALU_DEP_2)
	v_cmp_lt_u32_e32 vcc_lo, v3, v12
	v_add_f32_e32 v7, v6, v4
	v_add_lshl_u32 v4, v5, v1, 2
	v_cndmask_b32_e32 v7, v6, v7, vcc_lo
	v_cmp_gt_u32_e32 vcc_lo, 28, v1
	v_cndmask_b32_e64 v5, 0, 1, vcc_lo
	s_delay_alu instid0(VALU_DEP_1) | instskip(SKIP_2) | instid1(VALU_DEP_1)
	v_lshlrev_b32_e32 v8, 2, v5
	ds_bpermute_b32 v6, v4, v7
	v_add_nc_u32_e32 v5, 2, v1
	v_cmp_lt_u32_e32 vcc_lo, v5, v12
	s_waitcnt lgkmcnt(0)
	v_add_f32_e32 v9, v7, v6
	v_add_lshl_u32 v6, v8, v1, 2
	s_delay_alu instid0(VALU_DEP_2) | instskip(SKIP_3) | instid1(VALU_DEP_1)
	v_cndmask_b32_e32 v9, v7, v9, vcc_lo
	v_cmp_gt_u32_e32 vcc_lo, 24, v1
	ds_bpermute_b32 v8, v6, v9
	v_cndmask_b32_e64 v7, 0, 1, vcc_lo
	v_lshlrev_b32_e32 v10, 3, v7
	v_add_nc_u32_e32 v7, 4, v1
	s_delay_alu instid0(VALU_DEP_1) | instskip(SKIP_3) | instid1(VALU_DEP_2)
	v_cmp_lt_u32_e32 vcc_lo, v7, v12
	s_waitcnt lgkmcnt(0)
	v_add_f32_e32 v11, v9, v8
	v_add_lshl_u32 v8, v10, v1, 2
	v_cndmask_b32_e32 v11, v9, v11, vcc_lo
	v_cmp_gt_u32_e32 vcc_lo, 16, v1
	ds_bpermute_b32 v10, v8, v11
	v_cndmask_b32_e64 v9, 0, 1, vcc_lo
	s_delay_alu instid0(VALU_DEP_1) | instskip(SKIP_1) | instid1(VALU_DEP_1)
	v_lshlrev_b32_e32 v13, 4, v9
	v_add_nc_u32_e32 v9, 8, v1
	v_cmp_lt_u32_e32 vcc_lo, v9, v12
	s_waitcnt lgkmcnt(0)
	v_add_f32_e32 v14, v11, v10
	v_add_lshl_u32 v10, v13, v1, 2
	s_delay_alu instid0(VALU_DEP_2)
	v_cndmask_b32_e32 v13, v11, v14, vcc_lo
	v_add_nc_u32_e32 v11, 16, v1
	ds_bpermute_b32 v14, v10, v13
	v_cmp_lt_u32_e32 vcc_lo, v11, v12
	s_waitcnt lgkmcnt(0)
	v_add_f32_e32 v14, v13, v14
	s_delay_alu instid0(VALU_DEP_1)
	v_cndmask_b32_e32 v12, v13, v14, vcc_lo
	v_cmpx_eq_u32_e32 0, v1
	s_cbranch_execz .LBB77_12
; %bb.11:
	v_lshrrev_b32_e32 v13, 3, v0
	s_delay_alu instid0(VALU_DEP_1)
	v_and_b32_e32 v13, 0x7c, v13
	ds_store_b32 v13, v12 offset:4096
.LBB77_12:
	s_or_b32 exec_lo, exec_lo, s3
	s_delay_alu instid0(SALU_CYCLE_1)
	s_mov_b32 s3, exec_lo
	s_waitcnt lgkmcnt(0)
	s_barrier
	buffer_gl0_inv
	v_cmpx_gt_u32_e32 32, v0
	s_cbranch_execz .LBB77_14
; %bb.13:
	v_lshlrev_b32_e32 v1, 2, v1
	s_add_i32 s13, s27, 31
	s_delay_alu instid0(SALU_CYCLE_1) | instskip(NEXT) | instid1(SALU_CYCLE_1)
	s_lshr_b32 s13, s13, 5
	v_cmp_gt_u32_e32 vcc_lo, s13, v3
	ds_load_b32 v1, v1 offset:4096
	s_waitcnt lgkmcnt(0)
	ds_bpermute_b32 v2, v2, v1
	s_waitcnt lgkmcnt(0)
	v_add_f32_e32 v2, v1, v2
	s_delay_alu instid0(VALU_DEP_1) | instskip(SKIP_4) | instid1(VALU_DEP_1)
	v_cndmask_b32_e32 v1, v1, v2, vcc_lo
	v_cmp_gt_u32_e32 vcc_lo, s13, v5
	ds_bpermute_b32 v2, v4, v1
	s_waitcnt lgkmcnt(0)
	v_add_f32_e32 v2, v1, v2
	v_cndmask_b32_e32 v1, v1, v2, vcc_lo
	v_cmp_gt_u32_e32 vcc_lo, s13, v7
	ds_bpermute_b32 v2, v6, v1
	s_waitcnt lgkmcnt(0)
	v_add_f32_e32 v2, v1, v2
	s_delay_alu instid0(VALU_DEP_1) | instskip(SKIP_4) | instid1(VALU_DEP_1)
	v_cndmask_b32_e32 v1, v1, v2, vcc_lo
	v_cmp_gt_u32_e32 vcc_lo, s13, v9
	ds_bpermute_b32 v2, v8, v1
	s_waitcnt lgkmcnt(0)
	v_add_f32_e32 v2, v1, v2
	v_cndmask_b32_e32 v1, v1, v2, vcc_lo
	v_cmp_gt_u32_e32 vcc_lo, s13, v11
	ds_bpermute_b32 v2, v10, v1
	s_waitcnt lgkmcnt(0)
	v_add_f32_e32 v2, v1, v2
	s_delay_alu instid0(VALU_DEP_1)
	v_cndmask_b32_e32 v12, v1, v2, vcc_lo
.LBB77_14:
	s_or_b32 exec_lo, exec_lo, s3
	s_delay_alu instid0(SALU_CYCLE_1)
	s_mov_b32 s3, exec_lo
	v_cmpx_eq_u32_e32 0, v0
	s_cbranch_execz .LBB77_16
; %bb.15:
	v_cvt_f32_i32_e32 v1, s17
	s_delay_alu instid0(VALU_DEP_1) | instskip(SKIP_1) | instid1(VALU_DEP_2)
	v_div_scale_f32 v2, null, v1, v1, v12
	v_div_scale_f32 v5, vcc_lo, v12, v1, v12
	v_rcp_f32_e32 v3, v2
	s_waitcnt_depctr 0xfff
	v_fma_f32 v4, -v2, v3, 1.0
	s_delay_alu instid0(VALU_DEP_1) | instskip(NEXT) | instid1(VALU_DEP_1)
	v_fmac_f32_e32 v3, v4, v3
	v_mul_f32_e32 v4, v5, v3
	s_delay_alu instid0(VALU_DEP_1) | instskip(NEXT) | instid1(VALU_DEP_1)
	v_fma_f32 v6, -v2, v4, v5
	v_fmac_f32_e32 v4, v6, v3
	s_delay_alu instid0(VALU_DEP_1) | instskip(NEXT) | instid1(VALU_DEP_1)
	v_fma_f32 v2, -v2, v4, v5
	v_div_fmas_f32 v2, v2, v3, v4
	s_delay_alu instid0(VALU_DEP_1) | instskip(NEXT) | instid1(VALU_DEP_1)
	v_div_fixup_f32 v1, v2, v1, v12
	v_add_f32_e32 v1, s16, v1
	s_delay_alu instid0(VALU_DEP_1) | instskip(SKIP_1) | instid1(VALU_DEP_2)
	v_mul_f32_e32 v2, 0x4b800000, v1
	v_cmp_gt_f32_e32 vcc_lo, 0x800000, v1
	v_cndmask_b32_e32 v1, v1, v2, vcc_lo
	s_delay_alu instid0(VALU_DEP_1) | instskip(SKIP_2) | instid1(VALU_DEP_1)
	v_rsq_f32_e32 v1, v1
	s_waitcnt_depctr 0xfff
	v_mul_f32_e32 v2, 0x45800000, v1
	v_dual_cndmask_b32 v1, v1, v2 :: v_dual_mov_b32 v2, 0
	ds_store_b32 v2, v1 offset:4224
.LBB77_16:
	s_or_b32 exec_lo, exec_lo, s3
	s_ashr_i32 s19, s17, 31
	s_waitcnt lgkmcnt(0)
	s_lshr_b32 s3, s19, 25
	s_barrier
	s_add_i32 s3, s17, s3
	buffer_gl0_inv
	s_ashr_i32 s16, s3, 7
	s_ashr_i32 s3, s3, 31
	s_abs_i32 s13, s16
	s_delay_alu instid0(SALU_CYCLE_1) | instskip(SKIP_1) | instid1(VALU_DEP_1)
	v_cvt_f32_u32_e32 v1, s13
	s_sub_i32 s20, 0, s13
	v_rcp_iflag_f32_e32 v1, v1
	s_waitcnt_depctr 0xfff
	v_mul_f32_e32 v1, 0x4f7ffffe, v1
	s_delay_alu instid0(VALU_DEP_1) | instskip(NEXT) | instid1(VALU_DEP_1)
	v_cvt_u32_f32_e32 v1, v1
	v_readfirstlane_b32 s17, v1
	s_delay_alu instid0(VALU_DEP_1) | instskip(NEXT) | instid1(SALU_CYCLE_1)
	s_mul_i32 s20, s20, s17
	s_mul_hi_u32 s20, s17, s20
	s_delay_alu instid0(SALU_CYCLE_1) | instskip(NEXT) | instid1(SALU_CYCLE_1)
	s_add_i32 s17, s17, s20
	s_mul_hi_u32 s17, s27, s17
	s_delay_alu instid0(SALU_CYCLE_1) | instskip(SKIP_2) | instid1(SALU_CYCLE_1)
	s_mul_i32 s20, s17, s13
	s_add_i32 s21, s17, 1
	s_sub_i32 s20, s27, s20
	s_sub_i32 s24, s20, s13
	s_cmp_ge_u32 s20, s13
	s_cselect_b32 s17, s21, s17
	s_cselect_b32 s20, s24, s20
	s_add_i32 s21, s17, 1
	s_cmp_ge_u32 s20, s13
	s_cselect_b32 s13, s21, s17
	s_delay_alu instid0(SALU_CYCLE_1) | instskip(NEXT) | instid1(SALU_CYCLE_1)
	s_xor_b32 s13, s13, s3
	s_sub_i32 s20, s13, s3
	s_delay_alu instid0(SALU_CYCLE_1) | instskip(SKIP_3) | instid1(VALU_DEP_1)
	s_abs_i32 s3, s20
	s_ashr_i32 s21, s20, 31
	v_cvt_f32_u32_e32 v1, s3
	s_sub_i32 s13, 0, s3
	v_rcp_iflag_f32_e32 v1, v1
	s_waitcnt_depctr 0xfff
	v_mul_f32_e32 v1, 0x4f7ffffe, v1
	s_delay_alu instid0(VALU_DEP_1) | instskip(NEXT) | instid1(VALU_DEP_1)
	v_cvt_u32_f32_e32 v1, v1
	v_mul_lo_u32 v2, s13, v1
	s_ashr_i32 s13, s12, 31
	s_delay_alu instid0(VALU_DEP_1) | instskip(NEXT) | instid1(VALU_DEP_1)
	v_mul_hi_u32 v2, v1, v2
	v_add_nc_u32_e32 v1, v1, v2
	s_delay_alu instid0(VALU_DEP_1) | instskip(NEXT) | instid1(VALU_DEP_1)
	v_mul_hi_u32 v1, v0, v1
	v_mul_lo_u32 v2, v1, s3
	v_add_nc_u32_e32 v3, 1, v1
	s_delay_alu instid0(VALU_DEP_2) | instskip(NEXT) | instid1(VALU_DEP_1)
	v_sub_nc_u32_e32 v2, v0, v2
	v_subrev_nc_u32_e32 v4, s3, v2
	v_cmp_le_u32_e32 vcc_lo, s3, v2
	s_delay_alu instid0(VALU_DEP_2) | instskip(NEXT) | instid1(VALU_DEP_1)
	v_dual_cndmask_b32 v1, v1, v3 :: v_dual_cndmask_b32 v2, v2, v4
	v_dual_mov_b32 v4, 0 :: v_dual_add_nc_u32 v3, 1, v1
	s_delay_alu instid0(VALU_DEP_2) | instskip(SKIP_2) | instid1(VALU_DEP_1)
	v_cmp_le_u32_e32 vcc_lo, s3, v2
	ds_load_b32 v28, v4 offset:4224
	v_cndmask_b32_e32 v1, v1, v3, vcc_lo
	v_xor_b32_e32 v1, s21, v1
	s_delay_alu instid0(VALU_DEP_1) | instskip(NEXT) | instid1(VALU_DEP_1)
	v_subrev_nc_u32_e32 v1, s21, v1
	v_ashrrev_i32_e32 v2, 31, v1
	v_mul_lo_u32 v3, v1, s20
	s_delay_alu instid0(VALU_DEP_2) | instskip(NEXT) | instid1(VALU_DEP_2)
	v_lshlrev_b64 v[7:8], 5, v[1:2]
	v_sub_nc_u32_e32 v3, v0, v3
	s_delay_alu instid0(VALU_DEP_2) | instskip(NEXT) | instid1(VALU_DEP_3)
	v_add_co_u32 v5, vcc_lo, v7, 32
	v_add_co_ci_u32_e32 v6, vcc_lo, 0, v8, vcc_lo
	s_delay_alu instid0(VALU_DEP_1) | instskip(SKIP_4) | instid1(VALU_DEP_3)
	v_cmp_gt_i64_e32 vcc_lo, s[12:13], v[5:6]
	v_cndmask_b32_e32 v6, s13, v6, vcc_lo
	v_cndmask_b32_e32 v5, s12, v5, vcc_lo
	v_add_co_u32 v7, vcc_lo, v7, v3
	v_add_co_ci_u32_e32 v8, vcc_lo, 0, v8, vcc_lo
	v_ashrrev_i32_e32 v10, 31, v5
	v_mov_b32_e32 v9, v5
	s_mov_b32 s13, exec_lo
	s_delay_alu instid0(VALU_DEP_1)
	v_cmpx_lt_i64_e64 v[7:8], v[9:10]
	s_cbranch_execz .LBB77_26
; %bb.17:
	v_lshlrev_b64 v[13:14], 8, v[1:2]
	v_lshlrev_b64 v[11:12], 3, v[3:4]
	s_mul_i32 s3, s20, 24
	s_mul_hi_i32 s17, s20, 24
	s_add_u32 s24, s8, s3
	s_delay_alu instid0(VALU_DEP_2) | instskip(SKIP_2) | instid1(VALU_DEP_2)
	v_add_co_u32 v4, vcc_lo, s22, v13
	v_add_co_ci_u32_e32 v15, vcc_lo, s23, v14, vcc_lo
	s_addc_u32 s22, s9, s17
	v_add_co_u32 v17, vcc_lo, s24, v4
	s_lshl_b64 s[24:25], s[20:21], 4
	s_delay_alu instid0(VALU_DEP_2)
	v_add_co_ci_u32_e32 v18, vcc_lo, s22, v15, vcc_lo
	s_lshl_b64 s[22:23], s[20:21], 5
	s_add_u32 s30, s8, s24
	s_addc_u32 s31, s9, s25
	s_lshl_b64 s[28:29], s[20:21], 3
	v_add_co_u32 v19, vcc_lo, s30, v4
	s_add_u32 s30, s8, s28
	v_add_co_ci_u32_e32 v20, vcc_lo, s31, v15, vcc_lo
	s_addc_u32 s31, s9, s29
	v_add_co_u32 v21, vcc_lo, s30, v4
	v_add_co_ci_u32_e32 v22, vcc_lo, s31, v15, vcc_lo
	v_add_co_u32 v23, vcc_lo, s8, v4
	s_add_u32 s3, s10, s3
	v_add_co_ci_u32_e32 v24, vcc_lo, s9, v15, vcc_lo
	s_addc_u32 s8, s11, s17
	v_add_co_u32 v25, vcc_lo, s3, v13
	s_add_u32 s3, s10, s24
	v_add_co_ci_u32_e32 v26, vcc_lo, s8, v14, vcc_lo
	s_addc_u32 s8, s11, s25
	;; [unrolled: 4-line block ×3, first 2 shown]
	v_add_co_u32 v30, vcc_lo, s3, v13
	v_add_co_ci_u32_e32 v31, vcc_lo, s8, v14, vcc_lo
	v_add_co_u32 v32, vcc_lo, s10, v13
	v_add_co_ci_u32_e32 v33, vcc_lo, s11, v14, vcc_lo
	v_mov_b32_e32 v14, v8
	v_dual_mov_b32 v4, 0 :: v_dual_mov_b32 v13, v7
	s_mul_hi_i32 s17, s20, 3
	s_mul_i32 s24, s20, 3
	s_lshl_b64 s[8:9], s[20:21], 1
	s_mov_b32 s25, 0
                                        ; implicit-def: $sgpr28
	s_branch .LBB77_21
.LBB77_18:                              ;   in Loop: Header=BB77_21 Depth=1
	s_or_b32 exec_lo, exec_lo, s31
	s_delay_alu instid0(SALU_CYCLE_1)
	s_or_not1_b32 s3, s3, exec_lo
.LBB77_19:                              ;   in Loop: Header=BB77_21 Depth=1
	s_or_b32 exec_lo, exec_lo, s30
	s_delay_alu instid0(SALU_CYCLE_1) | instskip(SKIP_1) | instid1(SALU_CYCLE_1)
	s_and_not1_b32 s28, s28, exec_lo
	s_and_b32 s3, s3, exec_lo
	s_or_b32 s28, s28, s3
.LBB77_20:                              ;   in Loop: Header=BB77_21 Depth=1
	s_or_b32 exec_lo, exec_lo, s29
	s_delay_alu instid0(SALU_CYCLE_1) | instskip(NEXT) | instid1(SALU_CYCLE_1)
	s_and_b32 s3, exec_lo, s28
	s_or_b32 s25, s3, s25
	s_delay_alu instid0(SALU_CYCLE_1)
	s_and_not1_b32 exec_lo, exec_lo, s25
	s_cbranch_execz .LBB77_25
.LBB77_21:                              ; =>This Inner Loop Header: Depth=1
	v_add_co_u32 v15, vcc_lo, v23, v11
	v_add_co_ci_u32_e32 v16, vcc_lo, v24, v12, vcc_lo
	v_add_co_u32 v34, vcc_lo, v32, v11
	v_add_co_ci_u32_e32 v35, vcc_lo, v33, v12, vcc_lo
	s_or_b32 s28, s28, exec_lo
	global_load_b64 v[15:16], v[15:16], off
	global_load_b64 v[34:35], v[34:35], off
	s_mov_b32 s29, exec_lo
	s_waitcnt vmcnt(1)
	v_lshlrev_b32_e32 v37, 16, v15
	v_and_b32_e32 v36, 0xffff0000, v15
	v_alignbit_b32 v15, v16, v15, 16
	s_waitcnt vmcnt(0)
	v_lshlrev_b32_e32 v39, 16, v34
	s_waitcnt lgkmcnt(0)
	v_mul_f32_e32 v37, v28, v37
	v_mul_f32_e32 v36, v28, v36
	s_delay_alu instid0(VALU_DEP_2) | instskip(NEXT) | instid1(VALU_DEP_2)
	v_bfe_u32 v40, v37, 16, 1
	v_bfe_u32 v41, v36, 16, 1
	v_cmp_o_f32_e32 vcc_lo, v37, v37
	s_delay_alu instid0(VALU_DEP_3) | instskip(NEXT) | instid1(VALU_DEP_3)
	v_add3_u32 v40, v37, v40, 0x7fff
	v_add3_u32 v41, v36, v41, 0x7fff
	s_delay_alu instid0(VALU_DEP_2) | instskip(NEXT) | instid1(VALU_DEP_2)
	v_and_b32_e32 v40, 0xffff0000, v40
	v_and_b32_e32 v41, 0xffff0000, v41
	s_delay_alu instid0(VALU_DEP_2) | instskip(SKIP_2) | instid1(VALU_DEP_2)
	v_cndmask_b32_e32 v37, 0x7fc00000, v40, vcc_lo
	v_and_b32_e32 v16, 0xffff0000, v16
	v_cmp_o_f32_e32 vcc_lo, v36, v36
	v_dual_mul_f32 v37, v37, v39 :: v_dual_mul_f32 v16, v28, v16
	v_cndmask_b32_e32 v36, 0x7fc00000, v41, vcc_lo
	v_and_b32_e32 v15, 0xffff0000, v15
	v_and_b32_e32 v38, 0xffff0000, v34
	v_alignbit_b32 v34, v35, v34, 16
	v_bfe_u32 v42, v16, 16, 1
	v_cmp_o_f32_e32 vcc_lo, v16, v16
	v_mul_f32_e32 v15, v28, v15
	v_mul_f32_e32 v36, v36, v38
	v_bfe_u32 v38, v37, 16, 1
	v_add3_u32 v42, v16, v42, 0x7fff
	s_delay_alu instid0(VALU_DEP_4) | instskip(NEXT) | instid1(VALU_DEP_2)
	v_bfe_u32 v43, v15, 16, 1
	v_and_b32_e32 v42, 0xffff0000, v42
	s_delay_alu instid0(VALU_DEP_2) | instskip(NEXT) | instid1(VALU_DEP_2)
	v_add3_u32 v43, v15, v43, 0x7fff
	v_cndmask_b32_e32 v16, 0x7fc00000, v42, vcc_lo
	v_cmp_o_f32_e32 vcc_lo, v15, v15
	s_delay_alu instid0(VALU_DEP_3) | instskip(SKIP_1) | instid1(VALU_DEP_2)
	v_and_b32_e32 v40, 0xffff0000, v43
	v_and_b32_e32 v34, 0xffff0000, v34
	v_cndmask_b32_e32 v15, 0x7fc00000, v40, vcc_lo
	v_and_b32_e32 v35, 0xffff0000, v35
	v_cmp_o_f32_e32 vcc_lo, v37, v37
	s_delay_alu instid0(VALU_DEP_2) | instskip(SKIP_2) | instid1(VALU_DEP_3)
	v_dual_mul_f32 v34, v15, v34 :: v_dual_mul_f32 v35, v16, v35
	v_bfe_u32 v16, v36, 16, 1
	v_add3_u32 v15, v37, v38, 0x7fff
	v_bfe_u32 v39, v34, 16, 1
	s_delay_alu instid0(VALU_DEP_4) | instskip(NEXT) | instid1(VALU_DEP_4)
	v_bfe_u32 v38, v35, 16, 1
	v_add3_u32 v16, v36, v16, 0x7fff
	s_delay_alu instid0(VALU_DEP_4) | instskip(NEXT) | instid1(VALU_DEP_4)
	v_and_b32_e32 v15, 0xffff0000, v15
	v_add3_u32 v39, v34, v39, 0x7fff
	s_delay_alu instid0(VALU_DEP_4) | instskip(NEXT) | instid1(VALU_DEP_4)
	v_add3_u32 v38, v35, v38, 0x7fff
	v_and_b32_e32 v16, 0xffff0000, v16
	s_delay_alu instid0(VALU_DEP_4)
	v_cndmask_b32_e64 v37, 0x7fc00000, |v15|, vcc_lo
	v_cmp_o_f32_e32 vcc_lo, v36, v36
	v_and_b32_e32 v39, 0xffff0000, v39
	v_and_b32_e32 v38, 0xffff0000, v38
	v_cndmask_b32_e64 v36, 0x7fc00000, |v16|, vcc_lo
	v_add_co_u32 v15, vcc_lo, v13, s20
	v_add_co_ci_u32_e32 v16, vcc_lo, s21, v14, vcc_lo
	v_cmp_o_f32_e32 vcc_lo, v34, v34
	s_delay_alu instid0(VALU_DEP_4) | instskip(SKIP_3) | instid1(VALU_DEP_1)
	v_max3_f32 v4, v4, v37, v36
	v_cndmask_b32_e64 v34, 0x7fc00000, |v39|, vcc_lo
	v_cmp_o_f32_e32 vcc_lo, v35, v35
	v_cndmask_b32_e64 v35, 0x7fc00000, |v38|, vcc_lo
	v_max3_f32 v4, v4, v34, v35
	v_cmpx_lt_i64_e64 v[15:16], v[9:10]
	s_cbranch_execz .LBB77_20
; %bb.22:                               ;   in Loop: Header=BB77_21 Depth=1
	v_add_co_u32 v34, vcc_lo, v21, v11
	v_add_co_ci_u32_e32 v35, vcc_lo, v22, v12, vcc_lo
	v_add_co_u32 v36, vcc_lo, v30, v11
	v_add_co_ci_u32_e32 v37, vcc_lo, v31, v12, vcc_lo
	s_mov_b32 s3, -1
	global_load_b64 v[34:35], v[34:35], off
	global_load_b64 v[36:37], v[36:37], off
	s_mov_b32 s30, exec_lo
	s_waitcnt vmcnt(1)
	v_lshlrev_b32_e32 v39, 16, v34
	v_and_b32_e32 v38, 0xffff0000, v34
	v_alignbit_b32 v34, v35, v34, 16
	s_delay_alu instid0(VALU_DEP_3) | instskip(NEXT) | instid1(VALU_DEP_3)
	v_mul_f32_e32 v39, v28, v39
	v_dual_mul_f32 v38, v28, v38 :: v_dual_and_b32 v35, 0xffff0000, v35
	s_waitcnt vmcnt(0)
	v_and_b32_e32 v40, 0xffff0000, v36
	s_delay_alu instid0(VALU_DEP_3) | instskip(NEXT) | instid1(VALU_DEP_3)
	v_bfe_u32 v42, v39, 16, 1
	v_mul_f32_e32 v35, v28, v35
	v_cmp_o_f32_e32 vcc_lo, v39, v39
	v_bfe_u32 v43, v38, 16, 1
	s_delay_alu instid0(VALU_DEP_4) | instskip(NEXT) | instid1(VALU_DEP_4)
	v_add3_u32 v42, v39, v42, 0x7fff
	v_bfe_u32 v44, v35, 16, 1
	s_delay_alu instid0(VALU_DEP_3) | instskip(NEXT) | instid1(VALU_DEP_3)
	v_add3_u32 v43, v38, v43, 0x7fff
	v_and_b32_e32 v42, 0xffff0000, v42
	s_delay_alu instid0(VALU_DEP_3) | instskip(NEXT) | instid1(VALU_DEP_3)
	v_add3_u32 v44, v35, v44, 0x7fff
	v_and_b32_e32 v43, 0xffff0000, v43
	s_delay_alu instid0(VALU_DEP_3)
	v_cndmask_b32_e32 v39, 0x7fc00000, v42, vcc_lo
	v_and_b32_e32 v34, 0xffff0000, v34
	v_lshlrev_b32_e32 v41, 16, v36
	v_cmp_o_f32_e32 vcc_lo, v38, v38
	v_and_b32_e32 v44, 0xffff0000, v44
	v_alignbit_b32 v36, v37, v36, 16
	s_delay_alu instid0(VALU_DEP_4) | instskip(SKIP_3) | instid1(VALU_DEP_4)
	v_dual_mul_f32 v34, v28, v34 :: v_dual_mul_f32 v39, v39, v41
	v_cndmask_b32_e32 v38, 0x7fc00000, v43, vcc_lo
	v_cmp_o_f32_e32 vcc_lo, v35, v35
	v_and_b32_e32 v37, 0xffff0000, v37
	v_bfe_u32 v45, v34, 16, 1
	s_delay_alu instid0(VALU_DEP_4) | instskip(SKIP_2) | instid1(VALU_DEP_4)
	v_mul_f32_e32 v38, v38, v40
	v_cndmask_b32_e32 v35, 0x7fc00000, v44, vcc_lo
	v_cmp_o_f32_e32 vcc_lo, v34, v34
	v_add3_u32 v45, v34, v45, 0x7fff
	v_and_b32_e32 v36, 0xffff0000, v36
	v_bfe_u32 v40, v39, 16, 1
	v_mul_f32_e32 v37, v35, v37
	v_bfe_u32 v35, v38, 16, 1
	v_and_b32_e32 v42, 0xffff0000, v45
	s_delay_alu instid0(VALU_DEP_2) | instskip(NEXT) | instid1(VALU_DEP_2)
	v_add3_u32 v35, v38, v35, 0x7fff
	v_cndmask_b32_e32 v34, 0x7fc00000, v42, vcc_lo
	v_cmp_o_f32_e32 vcc_lo, v39, v39
	s_delay_alu instid0(VALU_DEP_2) | instskip(SKIP_2) | instid1(VALU_DEP_3)
	v_dual_mul_f32 v36, v34, v36 :: v_dual_and_b32 v35, 0xffff0000, v35
	v_add3_u32 v34, v39, v40, 0x7fff
	v_bfe_u32 v40, v37, 16, 1
	v_bfe_u32 v41, v36, 16, 1
	s_delay_alu instid0(VALU_DEP_3) | instskip(NEXT) | instid1(VALU_DEP_3)
	v_and_b32_e32 v34, 0xffff0000, v34
	v_add3_u32 v40, v37, v40, 0x7fff
	s_delay_alu instid0(VALU_DEP_3) | instskip(NEXT) | instid1(VALU_DEP_3)
	v_add3_u32 v41, v36, v41, 0x7fff
	v_cndmask_b32_e64 v39, 0x7fc00000, |v34|, vcc_lo
	v_cmp_o_f32_e32 vcc_lo, v38, v38
	s_delay_alu instid0(VALU_DEP_4) | instskip(NEXT) | instid1(VALU_DEP_4)
	v_and_b32_e32 v40, 0xffff0000, v40
	v_and_b32_e32 v41, 0xffff0000, v41
	v_cndmask_b32_e64 v38, 0x7fc00000, |v35|, vcc_lo
	v_add_co_u32 v34, vcc_lo, s8, v13
	v_add_co_ci_u32_e32 v35, vcc_lo, s9, v14, vcc_lo
	v_cmp_o_f32_e32 vcc_lo, v36, v36
	s_delay_alu instid0(VALU_DEP_4) | instskip(SKIP_3) | instid1(VALU_DEP_1)
	v_max3_f32 v4, v4, v39, v38
	v_cndmask_b32_e64 v36, 0x7fc00000, |v41|, vcc_lo
	v_cmp_o_f32_e32 vcc_lo, v37, v37
	v_cndmask_b32_e64 v37, 0x7fc00000, |v40|, vcc_lo
	v_max3_f32 v4, v4, v36, v37
	v_cmpx_lt_i64_e64 v[34:35], v[9:10]
	s_cbranch_execz .LBB77_19
; %bb.23:                               ;   in Loop: Header=BB77_21 Depth=1
	v_add_co_u32 v34, vcc_lo, v19, v11
	v_add_co_ci_u32_e32 v35, vcc_lo, v20, v12, vcc_lo
	v_add_co_u32 v36, vcc_lo, v27, v11
	v_add_co_ci_u32_e32 v37, vcc_lo, v29, v12, vcc_lo
	global_load_b64 v[34:35], v[34:35], off
	global_load_b64 v[36:37], v[36:37], off
	s_waitcnt vmcnt(1)
	v_lshlrev_b32_e32 v39, 16, v34
	v_and_b32_e32 v38, 0xffff0000, v34
	v_alignbit_b32 v34, v35, v34, 16
	s_delay_alu instid0(VALU_DEP_3) | instskip(NEXT) | instid1(VALU_DEP_3)
	v_mul_f32_e32 v39, v28, v39
	v_dual_mul_f32 v38, v28, v38 :: v_dual_and_b32 v35, 0xffff0000, v35
	s_waitcnt vmcnt(0)
	v_and_b32_e32 v40, 0xffff0000, v36
	s_delay_alu instid0(VALU_DEP_3) | instskip(NEXT) | instid1(VALU_DEP_3)
	v_bfe_u32 v42, v39, 16, 1
	v_mul_f32_e32 v35, v28, v35
	v_cmp_o_f32_e32 vcc_lo, v39, v39
	v_bfe_u32 v43, v38, 16, 1
	s_delay_alu instid0(VALU_DEP_4) | instskip(NEXT) | instid1(VALU_DEP_4)
	v_add3_u32 v42, v39, v42, 0x7fff
	v_bfe_u32 v44, v35, 16, 1
	s_delay_alu instid0(VALU_DEP_3) | instskip(NEXT) | instid1(VALU_DEP_3)
	v_add3_u32 v43, v38, v43, 0x7fff
	v_and_b32_e32 v42, 0xffff0000, v42
	s_delay_alu instid0(VALU_DEP_3) | instskip(NEXT) | instid1(VALU_DEP_3)
	v_add3_u32 v44, v35, v44, 0x7fff
	v_and_b32_e32 v43, 0xffff0000, v43
	s_delay_alu instid0(VALU_DEP_3)
	v_cndmask_b32_e32 v39, 0x7fc00000, v42, vcc_lo
	v_and_b32_e32 v34, 0xffff0000, v34
	v_lshlrev_b32_e32 v41, 16, v36
	v_cmp_o_f32_e32 vcc_lo, v38, v38
	v_and_b32_e32 v44, 0xffff0000, v44
	v_alignbit_b32 v36, v37, v36, 16
	s_delay_alu instid0(VALU_DEP_4) | instskip(SKIP_3) | instid1(VALU_DEP_4)
	v_dual_mul_f32 v34, v28, v34 :: v_dual_mul_f32 v39, v39, v41
	v_cndmask_b32_e32 v38, 0x7fc00000, v43, vcc_lo
	v_cmp_o_f32_e32 vcc_lo, v35, v35
	v_and_b32_e32 v37, 0xffff0000, v37
	v_bfe_u32 v45, v34, 16, 1
	s_delay_alu instid0(VALU_DEP_4) | instskip(SKIP_2) | instid1(VALU_DEP_4)
	v_mul_f32_e32 v38, v38, v40
	v_cndmask_b32_e32 v35, 0x7fc00000, v44, vcc_lo
	v_cmp_o_f32_e32 vcc_lo, v34, v34
	v_add3_u32 v45, v34, v45, 0x7fff
	v_and_b32_e32 v36, 0xffff0000, v36
	v_bfe_u32 v40, v39, 16, 1
	v_mul_f32_e32 v35, v35, v37
	v_bfe_u32 v37, v38, 16, 1
	v_and_b32_e32 v42, 0xffff0000, v45
	s_delay_alu instid0(VALU_DEP_2) | instskip(NEXT) | instid1(VALU_DEP_2)
	v_add3_u32 v37, v38, v37, 0x7fff
	v_cndmask_b32_e32 v34, 0x7fc00000, v42, vcc_lo
	v_cmp_o_f32_e32 vcc_lo, v39, v39
	s_delay_alu instid0(VALU_DEP_2) | instskip(SKIP_2) | instid1(VALU_DEP_3)
	v_dual_mul_f32 v34, v34, v36 :: v_dual_and_b32 v37, 0xffff0000, v37
	v_add3_u32 v36, v39, v40, 0x7fff
	v_bfe_u32 v40, v35, 16, 1
	v_bfe_u32 v41, v34, 16, 1
	s_delay_alu instid0(VALU_DEP_3) | instskip(NEXT) | instid1(VALU_DEP_3)
	v_and_b32_e32 v36, 0xffff0000, v36
	v_add3_u32 v40, v35, v40, 0x7fff
	s_delay_alu instid0(VALU_DEP_3) | instskip(NEXT) | instid1(VALU_DEP_3)
	v_add3_u32 v41, v34, v41, 0x7fff
	v_cndmask_b32_e64 v36, 0x7fc00000, |v36|, vcc_lo
	v_cmp_o_f32_e32 vcc_lo, v38, v38
	s_delay_alu instid0(VALU_DEP_4) | instskip(NEXT) | instid1(VALU_DEP_4)
	v_and_b32_e32 v39, 0xffff0000, v40
	v_and_b32_e32 v38, 0xffff0000, v41
	v_cndmask_b32_e64 v37, 0x7fc00000, |v37|, vcc_lo
	v_add_co_u32 v13, vcc_lo, s24, v13
	v_add_co_ci_u32_e32 v14, vcc_lo, s17, v14, vcc_lo
	v_cmp_o_f32_e32 vcc_lo, v34, v34
	s_delay_alu instid0(VALU_DEP_4) | instskip(SKIP_4) | instid1(VALU_DEP_2)
	v_max3_f32 v4, v4, v36, v37
	v_cndmask_b32_e64 v34, 0x7fc00000, |v38|, vcc_lo
	v_cmp_o_f32_e32 vcc_lo, v35, v35
	v_cndmask_b32_e64 v35, 0x7fc00000, |v39|, vcc_lo
	v_cmp_lt_i64_e32 vcc_lo, v[13:14], v[9:10]
                                        ; implicit-def: $vgpr13_vgpr14
	v_max3_f32 v4, v4, v34, v35
	s_and_saveexec_b32 s31, vcc_lo
	s_delay_alu instid0(SALU_CYCLE_1)
	s_xor_b32 s31, exec_lo, s31
	s_cbranch_execz .LBB77_18
; %bb.24:                               ;   in Loop: Header=BB77_21 Depth=1
	v_add_co_u32 v13, vcc_lo, v17, v11
	v_add_co_ci_u32_e32 v14, vcc_lo, v18, v12, vcc_lo
	v_add_co_u32 v34, vcc_lo, v25, v11
	v_add_co_ci_u32_e32 v35, vcc_lo, v26, v12, vcc_lo
	v_add_co_u32 v17, vcc_lo, v17, s22
	global_load_b64 v[13:14], v[13:14], off
	global_load_b64 v[34:35], v[34:35], off
	v_add_co_ci_u32_e32 v18, vcc_lo, s23, v18, vcc_lo
	v_add_co_u32 v19, vcc_lo, v19, s22
	v_add_co_ci_u32_e32 v20, vcc_lo, s23, v20, vcc_lo
	v_add_co_u32 v21, vcc_lo, v21, s22
	;; [unrolled: 2-line block ×5, first 2 shown]
	v_add_co_ci_u32_e32 v29, vcc_lo, s23, v29, vcc_lo
	s_add_u32 s3, s20, s20
	s_addc_u32 s33, s21, s21
	s_add_u32 s3, s3, s20
	s_addc_u32 s33, s33, s21
	s_waitcnt vmcnt(1)
	v_lshlrev_b32_e32 v37, 16, v13
	s_waitcnt vmcnt(0)
	v_and_b32_e32 v38, 0xffff0000, v34
	v_lshlrev_b32_e32 v39, 16, v34
	v_alignbit_b32 v34, v35, v34, 16
	v_mul_f32_e32 v37, v28, v37
	s_delay_alu instid0(VALU_DEP_1) | instskip(SKIP_1) | instid1(VALU_DEP_2)
	v_bfe_u32 v40, v37, 16, 1
	v_cmp_o_f32_e32 vcc_lo, v37, v37
	v_add3_u32 v40, v37, v40, 0x7fff
	s_delay_alu instid0(VALU_DEP_1) | instskip(NEXT) | instid1(VALU_DEP_1)
	v_and_b32_e32 v40, 0xffff0000, v40
	v_cndmask_b32_e32 v37, 0x7fc00000, v40, vcc_lo
	v_and_b32_e32 v36, 0xffff0000, v13
	v_alignbit_b32 v13, v14, v13, 16
	s_delay_alu instid0(VALU_DEP_2) | instskip(NEXT) | instid1(VALU_DEP_2)
	v_dual_mul_f32 v37, v37, v39 :: v_dual_mul_f32 v36, v28, v36
	v_and_b32_e32 v13, 0xffff0000, v13
	v_and_b32_e32 v14, 0xffff0000, v14
	s_delay_alu instid0(VALU_DEP_3) | instskip(NEXT) | instid1(VALU_DEP_3)
	v_bfe_u32 v41, v36, 16, 1
	v_mul_f32_e32 v13, v28, v13
	s_delay_alu instid0(VALU_DEP_3) | instskip(SKIP_1) | instid1(VALU_DEP_4)
	v_mul_f32_e32 v14, v28, v14
	v_cmp_o_f32_e32 vcc_lo, v36, v36
	v_add3_u32 v41, v36, v41, 0x7fff
	s_delay_alu instid0(VALU_DEP_4) | instskip(NEXT) | instid1(VALU_DEP_4)
	v_bfe_u32 v43, v13, 16, 1
	v_bfe_u32 v42, v14, 16, 1
	s_delay_alu instid0(VALU_DEP_3) | instskip(NEXT) | instid1(VALU_DEP_3)
	v_and_b32_e32 v41, 0xffff0000, v41
	v_add3_u32 v43, v13, v43, 0x7fff
	s_delay_alu instid0(VALU_DEP_3) | instskip(NEXT) | instid1(VALU_DEP_3)
	v_add3_u32 v42, v14, v42, 0x7fff
	v_cndmask_b32_e32 v36, 0x7fc00000, v41, vcc_lo
	v_cmp_o_f32_e32 vcc_lo, v14, v14
	s_delay_alu instid0(VALU_DEP_3) | instskip(SKIP_3) | instid1(VALU_DEP_4)
	v_and_b32_e32 v42, 0xffff0000, v42
	v_and_b32_e32 v35, 0xffff0000, v35
	;; [unrolled: 1-line block ×3, first 2 shown]
	v_mul_f32_e32 v36, v36, v38
	v_cndmask_b32_e32 v14, 0x7fc00000, v42, vcc_lo
	v_and_b32_e32 v34, 0xffff0000, v34
	v_cmp_o_f32_e32 vcc_lo, v13, v13
	s_delay_alu instid0(VALU_DEP_4) | instskip(NEXT) | instid1(VALU_DEP_4)
	v_bfe_u32 v38, v36, 16, 1
	v_mul_f32_e32 v35, v14, v35
	v_bfe_u32 v14, v37, 16, 1
	v_cndmask_b32_e32 v13, 0x7fc00000, v40, vcc_lo
	s_delay_alu instid0(VALU_DEP_4) | instskip(SKIP_1) | instid1(VALU_DEP_4)
	v_add3_u32 v38, v36, v38, 0x7fff
	v_cmp_o_f32_e32 vcc_lo, v37, v37
	v_add3_u32 v14, v37, v14, 0x7fff
	s_delay_alu instid0(VALU_DEP_4) | instskip(SKIP_2) | instid1(VALU_DEP_4)
	v_mul_f32_e32 v34, v13, v34
	v_bfe_u32 v13, v35, 16, 1
	v_and_b32_e32 v38, 0xffff0000, v38
	v_and_b32_e32 v14, 0xffff0000, v14
	s_delay_alu instid0(VALU_DEP_4) | instskip(NEXT) | instid1(VALU_DEP_4)
	v_bfe_u32 v39, v34, 16, 1
	v_add3_u32 v13, v35, v13, 0x7fff
	s_delay_alu instid0(VALU_DEP_3) | instskip(SKIP_1) | instid1(VALU_DEP_3)
	v_cndmask_b32_e64 v37, 0x7fc00000, |v14|, vcc_lo
	v_cmp_o_f32_e32 vcc_lo, v36, v36
	v_and_b32_e32 v40, 0xffff0000, v13
	v_add3_u32 v39, v34, v39, 0x7fff
	v_cndmask_b32_e64 v36, 0x7fc00000, |v38|, vcc_lo
	v_add_co_u32 v13, vcc_lo, s3, v15
	v_add_co_ci_u32_e32 v14, vcc_lo, s33, v16, vcc_lo
	v_cmp_o_f32_e32 vcc_lo, v35, v35
	v_and_b32_e32 v15, 0xffff0000, v39
	v_max3_f32 v4, v4, v37, v36
	v_add_co_u32 v32, s3, v32, s22
	v_cndmask_b32_e64 v16, 0x7fc00000, |v40|, vcc_lo
	v_cmp_o_f32_e32 vcc_lo, v34, v34
	v_add_co_ci_u32_e64 v33, s3, s23, v33, s3
	v_cndmask_b32_e64 v15, 0x7fc00000, |v15|, vcc_lo
	v_add_co_u32 v30, vcc_lo, v30, s22
	v_add_co_ci_u32_e32 v31, vcc_lo, s23, v31, vcc_lo
	v_cmp_ge_i64_e32 vcc_lo, v[13:14], v[9:10]
	s_delay_alu instid0(VALU_DEP_4)
	v_max3_f32 v4, v4, v15, v16
	s_or_not1_b32 s3, vcc_lo, exec_lo
	s_branch .LBB77_18
.LBB77_25:
	s_or_b32 exec_lo, exec_lo, s25
.LBB77_26:
	s_delay_alu instid0(SALU_CYCLE_1)
	s_or_b32 exec_lo, exec_lo, s13
	s_lshr_b32 s13, s27, 5
	s_ashr_i32 s17, s16, 31
	v_cvt_f32_u32_e32 v9, s13
	s_sub_i32 s8, 0, s13
	s_add_i32 s9, s16, s13
	v_lshlrev_b32_e32 v29, 2, v0
	s_add_i32 s9, s9, -1
	v_rcp_iflag_f32_e32 v9, v9
	s_abs_i32 s22, s9
	s_ashr_i32 s9, s9, 31
	ds_store_b32 v29, v4
	s_waitcnt lgkmcnt(0)
	s_barrier
	buffer_gl0_inv
	v_mul_f32_e32 v9, 0x4f7ffffe, v9
	s_delay_alu instid0(VALU_DEP_1) | instskip(NEXT) | instid1(VALU_DEP_1)
	v_cvt_u32_f32_e32 v9, v9
	v_readfirstlane_b32 s3, v9
	s_delay_alu instid0(VALU_DEP_1) | instskip(NEXT) | instid1(SALU_CYCLE_1)
	s_mul_i32 s8, s8, s3
	s_mul_hi_u32 s8, s3, s8
	s_delay_alu instid0(SALU_CYCLE_1) | instskip(NEXT) | instid1(SALU_CYCLE_1)
	s_add_i32 s3, s3, s8
	s_mul_hi_u32 s3, s22, s3
	s_delay_alu instid0(SALU_CYCLE_1) | instskip(NEXT) | instid1(SALU_CYCLE_1)
	s_mul_i32 s8, s3, s13
	s_sub_i32 s8, s22, s8
	s_add_i32 s22, s3, 1
	s_sub_i32 s23, s8, s13
	s_cmp_ge_u32 s8, s13
	s_cselect_b32 s3, s22, s3
	s_cselect_b32 s8, s23, s8
	s_add_i32 s22, s3, 1
	s_cmp_ge_u32 s8, s13
	s_cselect_b32 s3, s22, s3
	s_delay_alu instid0(SALU_CYCLE_1) | instskip(NEXT) | instid1(SALU_CYCLE_1)
	s_xor_b32 s3, s3, s9
	s_sub_i32 s8, s3, s9
	s_delay_alu instid0(SALU_CYCLE_1) | instskip(NEXT) | instid1(SALU_CYCLE_1)
	s_ashr_i32 s9, s8, 31
	v_cmp_lt_i64_e64 s3, s[8:9], 1
	s_delay_alu instid0(VALU_DEP_1)
	s_and_b32 vcc_lo, exec_lo, s3
	s_cbranch_vccnz .LBB77_46
; %bb.27:
	v_lshrrev_b32_e32 v9, 5, v0
	v_and_b32_e32 v4, 31, v0
	s_mov_b64 s[22:23], 0
	s_mov_b64 s[24:25], src_shared_base
	s_delay_alu instid0(VALU_DEP_2) | instskip(NEXT) | instid1(VALU_DEP_2)
	v_mul_lo_u32 v19, s20, v9
	v_add_co_u32 v11, s3, v4, 16
	s_delay_alu instid0(VALU_DEP_1) | instskip(SKIP_1) | instid1(VALU_DEP_1)
	v_add_co_ci_u32_e64 v12, null, 0, 0, s3
	v_add_co_u32 v13, s3, v4, 8
	v_add_co_ci_u32_e64 v14, null, 0, 0, s3
	v_add_co_u32 v15, s3, v4, 4
	v_dual_mov_b32 v10, 0 :: v_dual_lshlrev_b32 v21, 2, v19
	v_lshlrev_b32_e32 v22, 2, v4
	v_add_co_ci_u32_e64 v16, null, 0, 0, s3
	v_add_co_u32 v17, s3, v4, 2
	s_delay_alu instid0(VALU_DEP_1) | instskip(SKIP_1) | instid1(VALU_DEP_1)
	v_add_co_ci_u32_e64 v18, null, 0, 0, s3
	v_add_co_u32 v19, s3, v4, 1
	v_add_co_ci_u32_e64 v20, null, 0, 0, s3
	v_add3_u32 v30, v21, v22, 0x80
	s_mul_i32 s3, s20, s13
	s_delay_alu instid0(SALU_CYCLE_1)
	s_lshl_b32 s28, s3, 2
	s_branch .LBB77_30
.LBB77_28:                              ;   in Loop: Header=BB77_30 Depth=1
	s_or_b32 exec_lo, exec_lo, s3
	v_mov_b32_e32 v22, s25
	flat_load_b32 v21, v[21:22] glc dlc
	s_waitcnt vmcnt(0)
.LBB77_29:                              ;   in Loop: Header=BB77_30 Depth=1
	s_or_b32 exec_lo, exec_lo, s24
	s_add_u32 s22, s22, 1
	v_add_nc_u32_e32 v30, s28, v30
	s_addc_u32 s23, s23, 0
	s_delay_alu instid0(SALU_CYCLE_1)
	s_cmp_eq_u64 s[22:23], s[8:9]
	s_cbranch_scc1 .LBB77_46
.LBB77_30:                              ; =>This Loop Header: Depth=1
                                        ;     Child Loop BB77_33 Depth 2
	s_waitcnt lgkmcnt(0)
	v_mad_u64_u32 v[21:22], null, s22, s13, v[9:10]
	s_mov_b32 s24, exec_lo
	s_delay_alu instid0(VALU_DEP_1) | instskip(NEXT) | instid1(VALU_DEP_1)
	v_mad_u64_u32 v[23:24], null, s23, s13, v[22:23]
	v_mov_b32_e32 v22, v23
	s_delay_alu instid0(VALU_DEP_1)
	v_cmpx_gt_i64_e64 s[16:17], v[21:22]
	s_cbranch_execz .LBB77_29
; %bb.31:                               ;   in Loop: Header=BB77_30 Depth=1
	v_mul_lo_u32 v24, v22, s20
	v_mul_lo_u32 v25, v21, s21
	v_mad_u64_u32 v[22:23], null, v21, s20, 0
	s_delay_alu instid0(VALU_DEP_1) | instskip(NEXT) | instid1(VALU_DEP_2)
	v_add3_u32 v23, v23, v25, v24
	v_add_co_u32 v24, vcc_lo, v22, s20
	v_add_co_u32 v31, s3, v22, v4
	s_delay_alu instid0(VALU_DEP_3) | instskip(SKIP_2) | instid1(VALU_DEP_2)
	v_add_co_ci_u32_e32 v25, vcc_lo, s21, v23, vcc_lo
	v_add_co_ci_u32_e64 v21, s3, 0, v23, s3
	s_mov_b32 s3, exec_lo
	v_cmp_gt_i64_e32 vcc_lo, s[18:19], v[24:25]
	v_cndmask_b32_e32 v25, s19, v25, vcc_lo
	v_cndmask_b32_e32 v24, s18, v24, vcc_lo
	v_add_co_u32 v26, vcc_lo, v31, 32
	v_add_co_ci_u32_e32 v27, vcc_lo, 0, v21, vcc_lo
	v_lshlrev_b32_e32 v21, 2, v31
	s_delay_alu instid0(VALU_DEP_2)
	v_cmpx_lt_i64_e64 v[26:27], v[24:25]
	s_cbranch_execz .LBB77_34
; %bb.32:                               ;   in Loop: Header=BB77_30 Depth=1
	ds_load_b32 v33, v21
	v_mov_b32_e32 v32, v30
	s_mov_b32 s29, 0
.LBB77_33:                              ;   Parent Loop BB77_30 Depth=1
                                        ; =>  This Inner Loop Header: Depth=2
	ds_load_b32 v34, v32
	v_add_co_u32 v26, vcc_lo, v26, 32
	v_add_co_ci_u32_e32 v27, vcc_lo, 0, v27, vcc_lo
	s_waitcnt lgkmcnt(1)
	v_dual_max_f32 v33, v33, v33 :: v_dual_add_nc_u32 v32, 0x80, v32
	s_delay_alu instid0(VALU_DEP_2) | instskip(SKIP_3) | instid1(VALU_DEP_1)
	v_cmp_ge_i64_e32 vcc_lo, v[26:27], v[24:25]
	s_or_b32 s29, vcc_lo, s29
	s_waitcnt lgkmcnt(0)
	v_max_f32_e32 v34, v34, v34
	v_max_f32_e32 v33, v33, v34
	ds_store_b32 v21, v33
	s_and_not1_b32 exec_lo, exec_lo, s29
	s_cbranch_execnz .LBB77_33
.LBB77_34:                              ;   in Loop: Header=BB77_30 Depth=1
	s_or_b32 exec_lo, exec_lo, s3
	v_sub_co_u32 v22, vcc_lo, v24, v22
	v_sub_co_ci_u32_e32 v23, vcc_lo, v25, v23, vcc_lo
	s_mov_b32 s3, exec_lo
	s_delay_alu instid0(VALU_DEP_1) | instskip(SKIP_1) | instid1(VALU_DEP_1)
	v_cmp_gt_i64_e32 vcc_lo, 32, v[22:23]
	v_dual_cndmask_b32 v24, 0, v23 :: v_dual_cndmask_b32 v23, 32, v22
	v_cmpx_lt_i64_e64 v[11:12], v[23:24]
	s_cbranch_execz .LBB77_36
; %bb.35:                               ;   in Loop: Header=BB77_30 Depth=1
	v_dual_mov_b32 v22, s25 :: v_dual_add_nc_u32 v25, 64, v21
	v_mov_b32_e32 v26, s25
	flat_load_b32 v27, v[21:22] glc dlc
	s_waitcnt vmcnt(0)
	flat_load_b32 v25, v[25:26] glc dlc
	s_waitcnt vmcnt(0) lgkmcnt(0)
	v_dual_max_f32 v26, v27, v27 :: v_dual_max_f32 v25, v25, v25
	s_delay_alu instid0(VALU_DEP_1)
	v_max_f32_e32 v25, v26, v25
	flat_store_b32 v[21:22], v25 dlc
	s_waitcnt_vscnt null, 0x0
.LBB77_36:                              ;   in Loop: Header=BB77_30 Depth=1
	s_or_b32 exec_lo, exec_lo, s3
	s_delay_alu instid0(SALU_CYCLE_1)
	s_mov_b32 s3, exec_lo
	v_cmpx_lt_i64_e64 v[13:14], v[23:24]
	s_cbranch_execz .LBB77_38
; %bb.37:                               ;   in Loop: Header=BB77_30 Depth=1
	v_dual_mov_b32 v22, s25 :: v_dual_add_nc_u32 v25, 32, v21
	v_mov_b32_e32 v26, s25
	flat_load_b32 v27, v[21:22] glc dlc
	s_waitcnt vmcnt(0)
	flat_load_b32 v25, v[25:26] glc dlc
	s_waitcnt vmcnt(0) lgkmcnt(0)
	v_dual_max_f32 v26, v27, v27 :: v_dual_max_f32 v25, v25, v25
	s_delay_alu instid0(VALU_DEP_1)
	v_max_f32_e32 v25, v26, v25
	flat_store_b32 v[21:22], v25 dlc
	s_waitcnt_vscnt null, 0x0
.LBB77_38:                              ;   in Loop: Header=BB77_30 Depth=1
	s_or_b32 exec_lo, exec_lo, s3
	s_delay_alu instid0(SALU_CYCLE_1)
	s_mov_b32 s3, exec_lo
	v_cmpx_ge_i64_e64 v[15:16], v[23:24]
	s_xor_b32 s3, exec_lo, s3
; %bb.39:                               ;   in Loop: Header=BB77_30 Depth=1
                                        ; implicit-def: $vgpr21
; %bb.40:                               ;   in Loop: Header=BB77_30 Depth=1
	s_delay_alu instid0(SALU_CYCLE_1)
	s_and_not1_saveexec_b32 s3, s3
	s_cbranch_execz .LBB77_42
; %bb.41:                               ;   in Loop: Header=BB77_30 Depth=1
	v_dual_mov_b32 v22, s25 :: v_dual_add_nc_u32 v25, 16, v21
	v_mov_b32_e32 v26, s25
	flat_load_b32 v27, v[21:22] glc dlc
	s_waitcnt vmcnt(0)
	flat_load_b32 v25, v[25:26] glc dlc
	s_waitcnt vmcnt(0) lgkmcnt(0)
	v_dual_max_f32 v26, v27, v27 :: v_dual_max_f32 v25, v25, v25
	s_delay_alu instid0(VALU_DEP_1)
	v_max_f32_e32 v25, v26, v25
	flat_store_b32 v[21:22], v25 dlc
	s_waitcnt_vscnt null, 0x0
.LBB77_42:                              ;   in Loop: Header=BB77_30 Depth=1
	s_or_b32 exec_lo, exec_lo, s3
	v_lshlrev_b32_e32 v21, 2, v31
	s_mov_b32 s3, exec_lo
	v_cmpx_lt_i64_e64 v[17:18], v[23:24]
	s_cbranch_execz .LBB77_44
; %bb.43:                               ;   in Loop: Header=BB77_30 Depth=1
	s_delay_alu instid0(VALU_DEP_2)
	v_dual_mov_b32 v22, s25 :: v_dual_add_nc_u32 v25, 8, v21
	v_mov_b32_e32 v26, s25
	flat_load_b32 v27, v[21:22] glc dlc
	s_waitcnt vmcnt(0)
	flat_load_b32 v25, v[25:26] glc dlc
	s_waitcnt vmcnt(0) lgkmcnt(0)
	v_dual_max_f32 v26, v27, v27 :: v_dual_max_f32 v25, v25, v25
	s_delay_alu instid0(VALU_DEP_1)
	v_max_f32_e32 v25, v26, v25
	flat_store_b32 v[21:22], v25 dlc
	s_waitcnt_vscnt null, 0x0
.LBB77_44:                              ;   in Loop: Header=BB77_30 Depth=1
	s_or_b32 exec_lo, exec_lo, s3
	s_delay_alu instid0(SALU_CYCLE_1)
	s_mov_b32 s3, exec_lo
	v_cmpx_lt_i64_e64 v[19:20], v[23:24]
	s_cbranch_execz .LBB77_28
; %bb.45:                               ;   in Loop: Header=BB77_30 Depth=1
	v_dual_mov_b32 v22, s25 :: v_dual_add_nc_u32 v23, 4, v21
	v_mov_b32_e32 v24, s25
	flat_load_b32 v25, v[21:22] glc dlc
	s_waitcnt vmcnt(0)
	flat_load_b32 v23, v[23:24] glc dlc
	s_waitcnt vmcnt(0) lgkmcnt(0)
	v_dual_max_f32 v24, v25, v25 :: v_dual_max_f32 v23, v23, v23
	s_delay_alu instid0(VALU_DEP_1)
	v_max_f32_e32 v23, v24, v23
	flat_store_b32 v[21:22], v23 dlc
	s_waitcnt_vscnt null, 0x0
	s_branch .LBB77_28
.LBB77_46:
	v_cmp_lt_i64_e32 vcc_lo, v[7:8], v[5:6]
	v_cmp_eq_u32_e64 s3, 0, v3
	s_mul_i32 s13, s17, s15
	s_mul_hi_u32 s17, s16, s15
	s_mul_i32 s8, s16, s15
	s_waitcnt lgkmcnt(0)
	s_and_b32 s9, s3, vcc_lo
	s_barrier
	buffer_gl0_inv
	s_and_saveexec_b32 s3, s9
	s_cbranch_execz .LBB77_50
; %bb.47:
	s_load_b64 s[0:1], s[0:1], 0x20
	ds_load_b32 v3, v29
	s_waitcnt lgkmcnt(0)
	s_cmp_eq_u64 s[0:1], 0
	s_cbranch_scc1 .LBB77_49
; %bb.48:
	s_load_b32 s0, s[0:1], 0x0
	v_max_f32_e32 v3, v3, v3
	s_waitcnt lgkmcnt(0)
	v_max_f32_e64 v4, s0, s0
	s_delay_alu instid0(VALU_DEP_1)
	v_min_f32_e32 v3, v3, v4
.LBB77_49:
	s_delay_alu instid0(VALU_DEP_1) | instskip(SKIP_2) | instid1(VALU_DEP_2)
	v_div_scale_f32 v4, null, 0x42fe0000, 0x42fe0000, v3
	v_div_scale_f32 v7, vcc_lo, v3, 0x42fe0000, v3
	s_add_i32 s9, s17, s13
	v_rcp_f32_e32 v5, v4
	v_lshlrev_b64 v[1:2], 2, v[1:2]
	s_lshl_b64 s[0:1], s[8:9], 2
	s_delay_alu instid0(SALU_CYCLE_1) | instskip(SKIP_3) | instid1(VALU_DEP_1)
	s_add_u32 s0, s6, s0
	s_addc_u32 s1, s7, s1
	s_waitcnt_depctr 0xfff
	v_fma_f32 v6, -v4, v5, 1.0
	v_fmac_f32_e32 v5, v6, v5
	s_delay_alu instid0(VALU_DEP_1) | instskip(NEXT) | instid1(VALU_DEP_1)
	v_mul_f32_e32 v6, v7, v5
	v_fma_f32 v8, -v4, v6, v7
	s_delay_alu instid0(VALU_DEP_1) | instskip(NEXT) | instid1(VALU_DEP_1)
	v_fmac_f32_e32 v6, v8, v5
	v_fma_f32 v4, -v4, v6, v7
	s_delay_alu instid0(VALU_DEP_1) | instskip(SKIP_2) | instid1(VALU_DEP_3)
	v_div_fmas_f32 v4, v4, v5, v6
	v_add_co_u32 v1, vcc_lo, s0, v1
	v_add_co_ci_u32_e32 v2, vcc_lo, s1, v2, vcc_lo
	v_div_fixup_f32 v3, v4, 0x42fe0000, v3
	s_delay_alu instid0(VALU_DEP_1)
	v_max_f32_e32 v3, 0x34000000, v3
	global_store_b32 v[1:2], v3, off
.LBB77_50:
	s_or_b32 exec_lo, exec_lo, s3
	s_waitcnt_vscnt null, 0x0
	s_barrier
	buffer_gl0_inv
	s_and_saveexec_b32 s0, s2
	s_cbranch_execz .LBB77_59
; %bb.51:
	s_mul_i32 s0, s19, s15
	s_mul_hi_u32 s1, s18, s15
	s_mul_i32 s2, s18, s15
	s_add_i32 s0, s1, s0
	s_add_u32 s1, s4, s2
	s_addc_u32 s4, s5, s0
	s_add_i32 s9, s17, s13
	v_mov_b32_e32 v1, 0
	s_lshl_b64 s[2:3], s[8:9], 2
	s_mul_i32 s5, s27, 3
	s_add_u32 s2, s6, s2
	s_addc_u32 s3, s7, s3
	s_lshl_b32 s6, s27, 1
	s_mov_b32 s7, 0
	s_add_i32 s8, s27, s27
                                        ; implicit-def: $sgpr9
	s_branch .LBB77_55
.LBB77_52:                              ;   in Loop: Header=BB77_55 Depth=1
	s_or_b32 exec_lo, exec_lo, s16
	s_delay_alu instid0(SALU_CYCLE_1)
	s_or_not1_b32 s0, s0, exec_lo
.LBB77_53:                              ;   in Loop: Header=BB77_55 Depth=1
	s_or_b32 exec_lo, exec_lo, s15
	s_delay_alu instid0(SALU_CYCLE_1) | instskip(SKIP_1) | instid1(SALU_CYCLE_1)
	s_and_not1_b32 s9, s9, exec_lo
	s_and_b32 s0, s0, exec_lo
	s_or_b32 s9, s9, s0
.LBB77_54:                              ;   in Loop: Header=BB77_55 Depth=1
	s_or_b32 exec_lo, exec_lo, s13
	s_delay_alu instid0(SALU_CYCLE_1) | instskip(NEXT) | instid1(SALU_CYCLE_1)
	s_and_b32 s0, exec_lo, s9
	s_or_b32 s7, s0, s7
	s_delay_alu instid0(SALU_CYCLE_1)
	s_and_not1_b32 exec_lo, exec_lo, s7
	s_cbranch_execz .LBB77_59
.LBB77_55:                              ; =>This Inner Loop Header: Depth=1
	v_lshlrev_b64 v[2:3], 3, v[0:1]
	v_lshrrev_b32_e32 v4, 3, v0
	s_or_b32 s9, s9, exec_lo
	s_mov_b32 s13, exec_lo
	s_delay_alu instid0(VALU_DEP_1) | instskip(NEXT) | instid1(VALU_DEP_3)
	v_and_b32_e32 v6, 0x7fffffc, v4
	v_add_co_u32 v4, vcc_lo, s14, v2
	v_add_co_ci_u32_e32 v5, vcc_lo, s26, v3, vcc_lo
	v_add_co_u32 v2, vcc_lo, s10, v2
	v_add_co_ci_u32_e32 v3, vcc_lo, s11, v3, vcc_lo
	global_load_b32 v6, v6, s[2:3]
	global_load_b64 v[4:5], v[4:5], off
	global_load_b64 v[2:3], v[2:3], off
	s_waitcnt vmcnt(2)
	v_div_scale_f32 v7, null, v6, v6, 1.0
	s_waitcnt vmcnt(1)
	v_lshlrev_b32_e32 v11, 16, v4
	v_div_scale_f32 v8, vcc_lo, 1.0, v6, 1.0
	s_delay_alu instid0(VALU_DEP_3) | instskip(NEXT) | instid1(VALU_DEP_2)
	v_rcp_f32_e32 v13, v7
	v_mul_f32_e32 v11, v28, v11
	s_delay_alu instid0(VALU_DEP_1) | instskip(SKIP_4) | instid1(VALU_DEP_1)
	v_bfe_u32 v14, v11, 16, 1
	v_cmp_o_f32_e64 s0, v11, v11
	s_waitcnt_depctr 0xfff
	v_fma_f32 v17, -v7, v13, 1.0
	v_add3_u32 v14, v11, v14, 0x7fff
	v_dual_fmac_f32 v13, v17, v13 :: v_dual_and_b32 v14, 0xffff0000, v14
	v_and_b32_e32 v9, 0xffff0000, v4
	v_alignbit_b32 v4, v5, v4, 16
	s_delay_alu instid0(VALU_DEP_3) | instskip(NEXT) | instid1(VALU_DEP_2)
	v_cndmask_b32_e64 v11, 0x7fc00000, v14, s0
	v_and_b32_e32 v4, 0xffff0000, v4
	s_delay_alu instid0(VALU_DEP_1) | instskip(SKIP_1) | instid1(VALU_DEP_1)
	v_dual_mul_f32 v4, v28, v4 :: v_dual_and_b32 v5, 0xffff0000, v5
	s_waitcnt vmcnt(0)
	v_dual_mul_f32 v5, v28, v5 :: v_dual_lshlrev_b32 v12, 16, v2
	s_delay_alu instid0(VALU_DEP_2) | instskip(NEXT) | instid1(VALU_DEP_2)
	v_bfe_u32 v18, v4, 16, 1
	v_mul_f32_e32 v11, v11, v12
	s_delay_alu instid0(VALU_DEP_3) | instskip(NEXT) | instid1(VALU_DEP_3)
	v_bfe_u32 v16, v5, 16, 1
	v_add3_u32 v17, v4, v18, 0x7fff
	v_mul_f32_e32 v18, v8, v13
	v_dual_mul_f32 v9, v28, v9 :: v_dual_and_b32 v10, 0xffff0000, v2
	s_delay_alu instid0(VALU_DEP_4) | instskip(NEXT) | instid1(VALU_DEP_4)
	v_add3_u32 v16, v5, v16, 0x7fff
	v_and_b32_e32 v14, 0xffff0000, v17
	v_alignbit_b32 v2, v3, v2, 16
	s_delay_alu instid0(VALU_DEP_4) | instskip(SKIP_2) | instid1(VALU_DEP_4)
	v_bfe_u32 v15, v9, 16, 1
	v_cmp_o_f32_e64 s0, v9, v9
	v_and_b32_e32 v16, 0xffff0000, v16
	v_and_b32_e32 v2, 0xffff0000, v2
	s_delay_alu instid0(VALU_DEP_4) | instskip(NEXT) | instid1(VALU_DEP_1)
	v_add3_u32 v15, v9, v15, 0x7fff
	v_and_b32_e32 v15, 0xffff0000, v15
	s_delay_alu instid0(VALU_DEP_1) | instskip(SKIP_1) | instid1(VALU_DEP_2)
	v_cndmask_b32_e64 v9, 0x7fc00000, v15, s0
	v_cmp_o_f32_e64 s0, v5, v5
	v_mul_f32_e32 v9, v9, v10
	s_delay_alu instid0(VALU_DEP_2) | instskip(SKIP_1) | instid1(VALU_DEP_1)
	v_cndmask_b32_e64 v5, 0x7fc00000, v16, s0
	v_cmp_o_f32_e64 s0, v4, v4
	v_cndmask_b32_e64 v4, 0x7fc00000, v14, s0
	v_fma_f32 v14, -v7, v18, v8
	s_delay_alu instid0(VALU_DEP_2) | instskip(NEXT) | instid1(VALU_DEP_1)
	v_dual_mul_f32 v2, v4, v2 :: v_dual_and_b32 v3, 0xffff0000, v3
	v_dual_fmac_f32 v18, v14, v13 :: v_dual_mul_f32 v3, v5, v3
	v_bfe_u32 v4, v11, 16, 1
	v_bfe_u32 v5, v9, 16, 1
	s_delay_alu instid0(VALU_DEP_4) | instskip(NEXT) | instid1(VALU_DEP_4)
	v_bfe_u32 v12, v2, 16, 1
	v_fma_f32 v7, -v7, v18, v8
	v_bfe_u32 v10, v3, 16, 1
	v_add3_u32 v4, v11, v4, 0x7fff
	v_add3_u32 v5, v9, v5, 0x7fff
	s_delay_alu instid0(VALU_DEP_4) | instskip(NEXT) | instid1(VALU_DEP_4)
	v_div_fmas_f32 v7, v7, v13, v18
	v_add3_u32 v8, v3, v10, 0x7fff
	v_add3_u32 v10, v2, v12, 0x7fff
	v_cmp_o_f32_e32 vcc_lo, v11, v11
	s_delay_alu instid0(VALU_DEP_4) | instskip(SKIP_1) | instid1(VALU_DEP_4)
	v_div_fixup_f32 v6, v7, v6, 1.0
	v_and_b32_e32 v4, 0xffff0000, v4
	v_and_b32_e32 v10, 0xffff0000, v10
	;; [unrolled: 1-line block ×3, first 2 shown]
	s_delay_alu instid0(VALU_DEP_3) | instskip(SKIP_1) | instid1(VALU_DEP_2)
	v_cndmask_b32_e32 v4, 0x7fc00000, v4, vcc_lo
	v_cmp_o_f32_e32 vcc_lo, v2, v2
	v_dual_mul_f32 v4, v6, v4 :: v_dual_and_b32 v5, 0xffff0000, v5
	v_cndmask_b32_e32 v2, 0x7fc00000, v10, vcc_lo
	v_cmp_o_f32_e32 vcc_lo, v9, v9
	s_delay_alu instid0(VALU_DEP_3) | instskip(NEXT) | instid1(VALU_DEP_3)
	v_rndne_f32_e32 v4, v4
	v_dual_mul_f32 v2, v6, v2 :: v_dual_cndmask_b32 v5, 0x7fc00000, v5
	v_cmp_o_f32_e32 vcc_lo, v3, v3
	s_delay_alu instid0(VALU_DEP_2) | instskip(NEXT) | instid1(VALU_DEP_3)
	v_rndne_f32_e32 v2, v2
	v_mul_f32_e32 v5, v6, v5
	v_cndmask_b32_e32 v3, 0x7fc00000, v8, vcc_lo
	s_delay_alu instid0(VALU_DEP_3) | instskip(NEXT) | instid1(VALU_DEP_3)
	v_cmp_nlt_f32_e32 vcc_lo, 0x42fe0000, v2
	v_rndne_f32_e32 v5, v5
	s_delay_alu instid0(VALU_DEP_3) | instskip(SKIP_1) | instid1(VALU_DEP_2)
	v_dual_mul_f32 v3, v6, v3 :: v_dual_cndmask_b32 v6, 0x42fe0000, v2
	v_cmp_nlt_f32_e32 vcc_lo, 0x42fe0000, v4
	v_rndne_f32_e32 v3, v3
	v_cndmask_b32_e32 v7, 0x42fe0000, v4, vcc_lo
	v_cmp_nlt_f32_e32 vcc_lo, 0x42fe0000, v5
	v_cndmask_b32_e32 v8, 0x42fe0000, v5, vcc_lo
	v_cmp_ngt_f32_e32 vcc_lo, 0xc3000000, v2
	v_cndmask_b32_e32 v2, 0xc3000000, v6, vcc_lo
	v_cmp_nlt_f32_e32 vcc_lo, 0x42fe0000, v3
	s_delay_alu instid0(VALU_DEP_2) | instskip(SKIP_2) | instid1(VALU_DEP_3)
	v_cvt_i32_f32_e32 v2, v2
	v_cndmask_b32_e32 v6, 0x42fe0000, v3, vcc_lo
	v_cmp_ngt_f32_e32 vcc_lo, 0xc3000000, v5
	v_and_b32_e32 v2, 0xff, v2
	v_cndmask_b32_e32 v5, 0xc3000000, v8, vcc_lo
	v_cmp_ngt_f32_e32 vcc_lo, 0xc3000000, v4
	s_delay_alu instid0(VALU_DEP_3) | instskip(NEXT) | instid1(VALU_DEP_3)
	v_lshlrev_b32_e32 v2, 16, v2
	v_cvt_i32_f32_e32 v5, v5
	v_cndmask_b32_e32 v4, 0xc3000000, v7, vcc_lo
	v_cmp_ngt_f32_e32 vcc_lo, 0xc3000000, v3
	s_delay_alu instid0(VALU_DEP_3) | instskip(SKIP_1) | instid1(VALU_DEP_4)
	v_and_b32_e32 v5, 0xff, v5
	v_cndmask_b32_e32 v3, 0xc3000000, v6, vcc_lo
	v_cvt_i32_f32_e32 v6, v4
	s_delay_alu instid0(VALU_DEP_3) | instskip(NEXT) | instid1(VALU_DEP_3)
	v_lshlrev_b32_e32 v5, 8, v5
	v_cvt_i32_f32_e32 v7, v3
	v_lshlrev_b64 v[3:4], 2, v[0:1]
	s_delay_alu instid0(VALU_DEP_4) | instskip(NEXT) | instid1(VALU_DEP_3)
	v_and_b32_e32 v6, 0xff, v6
	v_lshl_or_b32 v7, v7, 24, v2
	v_add_nc_u32_e32 v2, s27, v0
	s_delay_alu instid0(VALU_DEP_4) | instskip(SKIP_1) | instid1(VALU_DEP_4)
	v_add_co_u32 v3, vcc_lo, s1, v3
	v_add_co_ci_u32_e32 v4, vcc_lo, s4, v4, vcc_lo
	v_or3_b32 v5, v7, v5, v6
	global_store_b32 v[3:4], v5, off
	v_cmpx_gt_u32_e64 s12, v2
	s_cbranch_execz .LBB77_54
; %bb.56:                               ;   in Loop: Header=BB77_55 Depth=1
	v_lshrrev_b32_e32 v4, 3, v2
	v_mov_b32_e32 v3, v1
	s_mov_b32 s15, exec_lo
	s_delay_alu instid0(VALU_DEP_2) | instskip(NEXT) | instid1(VALU_DEP_2)
	v_and_b32_e32 v6, 0x7fffffc, v4
	v_lshlrev_b64 v[4:5], 3, v[2:3]
	global_load_b32 v8, v6, s[2:3]
	v_add_co_u32 v6, vcc_lo, s14, v4
	v_add_co_ci_u32_e32 v7, vcc_lo, s26, v5, vcc_lo
	v_add_co_u32 v4, vcc_lo, s10, v4
	v_add_co_ci_u32_e32 v5, vcc_lo, s11, v5, vcc_lo
	global_load_b64 v[6:7], v[6:7], off
	global_load_b64 v[4:5], v[4:5], off
	s_waitcnt vmcnt(2)
	v_div_scale_f32 v9, null, v8, v8, 1.0
	v_div_scale_f32 v10, vcc_lo, 1.0, v8, 1.0
	s_delay_alu instid0(VALU_DEP_2)
	v_rcp_f32_e32 v11, v9
	s_waitcnt vmcnt(1)
	v_and_b32_e32 v12, 0xffff0000, v6
	s_waitcnt_depctr 0xfff
	v_fma_f32 v16, -v9, v11, 1.0
	v_lshlrev_b32_e32 v14, 16, v6
	v_alignbit_b32 v6, v7, v6, 16
	v_and_b32_e32 v7, 0xffff0000, v7
	s_delay_alu instid0(VALU_DEP_4) | instskip(SKIP_2) | instid1(VALU_DEP_3)
	v_fmac_f32_e32 v11, v16, v11
	s_waitcnt vmcnt(0)
	v_dual_mul_f32 v14, v28, v14 :: v_dual_and_b32 v13, 0xffff0000, v4
	v_mul_f32_e32 v7, v28, v7
	v_mul_f32_e32 v12, v28, v12
	;; [unrolled: 1-line block ×3, first 2 shown]
	s_delay_alu instid0(VALU_DEP_4) | instskip(NEXT) | instid1(VALU_DEP_4)
	v_bfe_u32 v17, v14, 16, 1
	v_bfe_u32 v19, v7, 16, 1
	s_delay_alu instid0(VALU_DEP_4)
	v_bfe_u32 v18, v12, 16, 1
	v_cmp_o_f32_e64 s0, v14, v14
	v_fma_f32 v21, -v9, v20, v10
	v_add3_u32 v16, v14, v17, 0x7fff
	v_add3_u32 v19, v7, v19, 0x7fff
	;; [unrolled: 1-line block ×3, first 2 shown]
	s_delay_alu instid0(VALU_DEP_4) | instskip(NEXT) | instid1(VALU_DEP_4)
	v_fmac_f32_e32 v20, v21, v11
	v_and_b32_e32 v16, 0xffff0000, v16
	s_delay_alu instid0(VALU_DEP_3) | instskip(NEXT) | instid1(VALU_DEP_2)
	v_and_b32_e32 v17, 0xffff0000, v17
	v_cndmask_b32_e64 v14, 0x7fc00000, v16, s0
	v_cmp_o_f32_e64 s0, v12, v12
	s_delay_alu instid0(VALU_DEP_1) | instskip(SKIP_2) | instid1(VALU_DEP_3)
	v_cndmask_b32_e64 v12, 0x7fc00000, v17, s0
	v_and_b32_e32 v19, 0xffff0000, v19
	v_cmp_o_f32_e64 s0, v7, v7
	v_mul_f32_e32 v12, v12, v13
	s_delay_alu instid0(VALU_DEP_2) | instskip(SKIP_4) | instid1(VALU_DEP_1)
	v_cndmask_b32_e64 v7, 0x7fc00000, v19, s0
	v_and_b32_e32 v6, 0xffff0000, v6
	v_lshlrev_b32_e32 v15, 16, v4
	v_alignbit_b32 v4, v5, v4, 16
	v_and_b32_e32 v5, 0xffff0000, v5
	v_dual_mul_f32 v5, v7, v5 :: v_dual_and_b32 v4, 0xffff0000, v4
	v_mul_f32_e32 v6, v28, v6
	s_delay_alu instid0(VALU_DEP_1) | instskip(SKIP_1) | instid1(VALU_DEP_2)
	v_bfe_u32 v18, v6, 16, 1
	v_cmp_o_f32_e64 s0, v6, v6
	v_add3_u32 v18, v6, v18, 0x7fff
	s_delay_alu instid0(VALU_DEP_1) | instskip(NEXT) | instid1(VALU_DEP_1)
	v_and_b32_e32 v16, 0xffff0000, v18
	v_cndmask_b32_e64 v6, 0x7fc00000, v16, s0
	s_mov_b32 s0, -1
	s_delay_alu instid0(VALU_DEP_1) | instskip(SKIP_3) | instid1(VALU_DEP_3)
	v_mul_f32_e32 v4, v6, v4
	v_fma_f32 v6, -v9, v20, v10
	v_bfe_u32 v10, v5, 16, 1
	v_bfe_u32 v9, v12, 16, 1
	v_div_fmas_f32 v6, v6, v11, v20
	s_delay_alu instid0(VALU_DEP_3) | instskip(NEXT) | instid1(VALU_DEP_3)
	v_add3_u32 v10, v5, v10, 0x7fff
	v_add3_u32 v9, v12, v9, 0x7fff
	s_delay_alu instid0(VALU_DEP_3) | instskip(NEXT) | instid1(VALU_DEP_3)
	v_div_fixup_f32 v6, v6, v8, 1.0
	v_and_b32_e32 v10, 0xffff0000, v10
	v_mul_f32_e32 v14, v14, v15
	s_delay_alu instid0(VALU_DEP_4) | instskip(NEXT) | instid1(VALU_DEP_2)
	v_and_b32_e32 v8, 0xffff0000, v9
	v_bfe_u32 v7, v14, 16, 1
	v_cmp_o_f32_e32 vcc_lo, v14, v14
	s_delay_alu instid0(VALU_DEP_2) | instskip(NEXT) | instid1(VALU_DEP_1)
	v_add3_u32 v7, v14, v7, 0x7fff
	v_and_b32_e32 v7, 0xffff0000, v7
	v_bfe_u32 v13, v4, 16, 1
	s_delay_alu instid0(VALU_DEP_2) | instskip(NEXT) | instid1(VALU_DEP_2)
	v_cndmask_b32_e32 v7, 0x7fc00000, v7, vcc_lo
	v_add3_u32 v11, v4, v13, 0x7fff
	v_cmp_o_f32_e32 vcc_lo, v4, v4
	s_delay_alu instid0(VALU_DEP_2) | instskip(NEXT) | instid1(VALU_DEP_1)
	v_and_b32_e32 v9, 0xffff0000, v11
	v_cndmask_b32_e32 v4, 0x7fc00000, v9, vcc_lo
	v_cmp_o_f32_e32 vcc_lo, v12, v12
	s_delay_alu instid0(VALU_DEP_2) | instskip(SKIP_2) | instid1(VALU_DEP_3)
	v_mul_f32_e32 v4, v6, v4
	v_cndmask_b32_e32 v8, 0x7fc00000, v8, vcc_lo
	v_cmp_o_f32_e32 vcc_lo, v5, v5
	v_rndne_f32_e32 v4, v4
	s_delay_alu instid0(VALU_DEP_3) | instskip(SKIP_1) | instid1(VALU_DEP_3)
	v_dual_mul_f32 v8, v6, v8 :: v_dual_cndmask_b32 v5, 0x7fc00000, v10
	v_mul_f32_e32 v7, v6, v7
	v_cmp_nlt_f32_e32 vcc_lo, 0x42fe0000, v4
	s_delay_alu instid0(VALU_DEP_3) | instskip(NEXT) | instid1(VALU_DEP_3)
	v_mul_f32_e32 v5, v6, v5
	v_rndne_f32_e32 v6, v7
	v_rndne_f32_e32 v7, v8
	v_cndmask_b32_e32 v8, 0x42fe0000, v4, vcc_lo
	s_delay_alu instid0(VALU_DEP_4) | instskip(NEXT) | instid1(VALU_DEP_4)
	v_rndne_f32_e32 v5, v5
	v_cmp_nlt_f32_e32 vcc_lo, 0x42fe0000, v6
	v_cndmask_b32_e32 v9, 0x42fe0000, v6, vcc_lo
	v_cmp_nlt_f32_e32 vcc_lo, 0x42fe0000, v7
	v_cndmask_b32_e32 v10, 0x42fe0000, v7, vcc_lo
	v_cmp_ngt_f32_e32 vcc_lo, 0xc3000000, v4
	v_cndmask_b32_e32 v4, 0xc3000000, v8, vcc_lo
	v_cmp_nlt_f32_e32 vcc_lo, 0x42fe0000, v5
	s_delay_alu instid0(VALU_DEP_2) | instskip(SKIP_2) | instid1(VALU_DEP_3)
	v_cvt_i32_f32_e32 v4, v4
	v_cndmask_b32_e32 v8, 0x42fe0000, v5, vcc_lo
	v_cmp_ngt_f32_e32 vcc_lo, 0xc3000000, v7
	v_and_b32_e32 v4, 0xff, v4
	v_cndmask_b32_e32 v7, 0xc3000000, v10, vcc_lo
	v_cmp_ngt_f32_e32 vcc_lo, 0xc3000000, v6
	s_delay_alu instid0(VALU_DEP_2) | instskip(NEXT) | instid1(VALU_DEP_4)
	v_cvt_i32_f32_e32 v7, v7
	v_dual_cndmask_b32 v6, 0xc3000000, v9 :: v_dual_lshlrev_b32 v9, 16, v4
	v_cmp_ngt_f32_e32 vcc_lo, 0xc3000000, v5
	s_delay_alu instid0(VALU_DEP_3) | instskip(NEXT) | instid1(VALU_DEP_3)
	v_and_b32_e32 v7, 0xff, v7
	v_cvt_i32_f32_e32 v6, v6
	v_cndmask_b32_e32 v5, 0xc3000000, v8, vcc_lo
	s_delay_alu instid0(VALU_DEP_3) | instskip(NEXT) | instid1(VALU_DEP_3)
	v_lshlrev_b32_e32 v7, 8, v7
	v_and_b32_e32 v6, 0xff, v6
	s_delay_alu instid0(VALU_DEP_3) | instskip(SKIP_2) | instid1(VALU_DEP_3)
	v_cvt_i32_f32_e32 v8, v5
	v_lshlrev_b64 v[4:5], 2, v[2:3]
	v_add_nc_u32_e32 v3, s6, v0
	v_lshl_or_b32 v8, v8, 24, v9
	s_delay_alu instid0(VALU_DEP_3) | instskip(NEXT) | instid1(VALU_DEP_4)
	v_add_co_u32 v4, vcc_lo, s1, v4
	v_add_co_ci_u32_e32 v5, vcc_lo, s4, v5, vcc_lo
	s_delay_alu instid0(VALU_DEP_3)
	v_or3_b32 v6, v8, v7, v6
	global_store_b32 v[4:5], v6, off
	v_cmpx_gt_u32_e64 s12, v3
	s_cbranch_execz .LBB77_53
; %bb.57:                               ;   in Loop: Header=BB77_55 Depth=1
	v_lshrrev_b32_e32 v5, 3, v3
	v_mov_b32_e32 v4, v1
	v_add_nc_u32_e32 v0, s5, v0
	s_mov_b32 s16, exec_lo
	s_delay_alu instid0(VALU_DEP_3) | instskip(NEXT) | instid1(VALU_DEP_3)
	v_and_b32_e32 v7, 0x7fffffc, v5
	v_lshlrev_b64 v[5:6], 3, v[3:4]
	v_lshlrev_b64 v[3:4], 2, v[3:4]
	global_load_b32 v9, v7, s[2:3]
	v_add_co_u32 v7, vcc_lo, s14, v5
	v_add_co_ci_u32_e32 v8, vcc_lo, s26, v6, vcc_lo
	v_add_co_u32 v5, vcc_lo, s10, v5
	v_add_co_ci_u32_e32 v6, vcc_lo, s11, v6, vcc_lo
	global_load_b64 v[7:8], v[7:8], off
	global_load_b64 v[5:6], v[5:6], off
	s_waitcnt vmcnt(2)
	v_div_scale_f32 v10, null, v9, v9, 1.0
	v_div_scale_f32 v11, vcc_lo, 1.0, v9, 1.0
	s_delay_alu instid0(VALU_DEP_2)
	v_rcp_f32_e32 v12, v10
	s_waitcnt vmcnt(1)
	v_and_b32_e32 v13, 0xffff0000, v7
	s_waitcnt_depctr 0xfff
	v_fma_f32 v17, -v10, v12, 1.0
	v_lshlrev_b32_e32 v15, 16, v7
	v_alignbit_b32 v7, v8, v7, 16
	v_and_b32_e32 v8, 0xffff0000, v8
	s_delay_alu instid0(VALU_DEP_4) | instskip(SKIP_2) | instid1(VALU_DEP_3)
	v_fmac_f32_e32 v12, v17, v12
	s_waitcnt vmcnt(0)
	v_dual_mul_f32 v15, v28, v15 :: v_dual_and_b32 v14, 0xffff0000, v5
	v_mul_f32_e32 v8, v28, v8
	v_mul_f32_e32 v13, v28, v13
	;; [unrolled: 1-line block ×3, first 2 shown]
	s_delay_alu instid0(VALU_DEP_4) | instskip(NEXT) | instid1(VALU_DEP_4)
	v_bfe_u32 v18, v15, 16, 1
	v_bfe_u32 v20, v8, 16, 1
	s_delay_alu instid0(VALU_DEP_4)
	v_bfe_u32 v19, v13, 16, 1
	v_cmp_o_f32_e64 s0, v15, v15
	v_fma_f32 v22, -v10, v21, v11
	v_add3_u32 v17, v15, v18, 0x7fff
	v_add3_u32 v20, v8, v20, 0x7fff
	;; [unrolled: 1-line block ×3, first 2 shown]
	s_delay_alu instid0(VALU_DEP_4) | instskip(NEXT) | instid1(VALU_DEP_4)
	v_fmac_f32_e32 v21, v22, v12
	v_and_b32_e32 v17, 0xffff0000, v17
	s_delay_alu instid0(VALU_DEP_3) | instskip(NEXT) | instid1(VALU_DEP_2)
	v_and_b32_e32 v18, 0xffff0000, v18
	v_cndmask_b32_e64 v15, 0x7fc00000, v17, s0
	v_cmp_o_f32_e64 s0, v13, v13
	s_delay_alu instid0(VALU_DEP_1) | instskip(SKIP_2) | instid1(VALU_DEP_3)
	v_cndmask_b32_e64 v13, 0x7fc00000, v18, s0
	v_and_b32_e32 v20, 0xffff0000, v20
	v_cmp_o_f32_e64 s0, v8, v8
	v_mul_f32_e32 v13, v13, v14
	s_delay_alu instid0(VALU_DEP_2) | instskip(SKIP_4) | instid1(VALU_DEP_1)
	v_cndmask_b32_e64 v8, 0x7fc00000, v20, s0
	v_and_b32_e32 v7, 0xffff0000, v7
	v_lshlrev_b32_e32 v16, 16, v5
	v_alignbit_b32 v5, v6, v5, 16
	v_and_b32_e32 v6, 0xffff0000, v6
	v_dual_mul_f32 v6, v8, v6 :: v_dual_and_b32 v5, 0xffff0000, v5
	v_mul_f32_e32 v7, v28, v7
	s_delay_alu instid0(VALU_DEP_1) | instskip(SKIP_1) | instid1(VALU_DEP_2)
	v_bfe_u32 v19, v7, 16, 1
	v_cmp_o_f32_e64 s0, v7, v7
	v_add3_u32 v19, v7, v19, 0x7fff
	s_delay_alu instid0(VALU_DEP_1) | instskip(NEXT) | instid1(VALU_DEP_1)
	v_and_b32_e32 v17, 0xffff0000, v19
	v_cndmask_b32_e64 v7, 0x7fc00000, v17, s0
	s_mov_b32 s0, -1
	s_delay_alu instid0(VALU_DEP_1) | instskip(SKIP_3) | instid1(VALU_DEP_3)
	v_mul_f32_e32 v5, v7, v5
	v_fma_f32 v7, -v10, v21, v11
	v_bfe_u32 v11, v6, 16, 1
	v_bfe_u32 v10, v13, 16, 1
	v_div_fmas_f32 v7, v7, v12, v21
	s_delay_alu instid0(VALU_DEP_3) | instskip(NEXT) | instid1(VALU_DEP_3)
	v_add3_u32 v11, v6, v11, 0x7fff
	v_add3_u32 v10, v13, v10, 0x7fff
	s_delay_alu instid0(VALU_DEP_3) | instskip(NEXT) | instid1(VALU_DEP_3)
	v_div_fixup_f32 v7, v7, v9, 1.0
	v_and_b32_e32 v11, 0xffff0000, v11
	v_mul_f32_e32 v15, v15, v16
	s_delay_alu instid0(VALU_DEP_4) | instskip(NEXT) | instid1(VALU_DEP_2)
	v_and_b32_e32 v9, 0xffff0000, v10
	v_bfe_u32 v8, v15, 16, 1
	v_cmp_o_f32_e32 vcc_lo, v15, v15
	s_delay_alu instid0(VALU_DEP_2) | instskip(NEXT) | instid1(VALU_DEP_1)
	v_add3_u32 v8, v15, v8, 0x7fff
	v_and_b32_e32 v8, 0xffff0000, v8
	v_bfe_u32 v14, v5, 16, 1
	s_delay_alu instid0(VALU_DEP_2) | instskip(NEXT) | instid1(VALU_DEP_2)
	v_cndmask_b32_e32 v8, 0x7fc00000, v8, vcc_lo
	v_add3_u32 v12, v5, v14, 0x7fff
	v_cmp_o_f32_e32 vcc_lo, v5, v5
	s_delay_alu instid0(VALU_DEP_2) | instskip(NEXT) | instid1(VALU_DEP_1)
	v_and_b32_e32 v10, 0xffff0000, v12
	v_cndmask_b32_e32 v5, 0x7fc00000, v10, vcc_lo
	v_cmp_o_f32_e32 vcc_lo, v13, v13
	s_delay_alu instid0(VALU_DEP_2) | instskip(SKIP_2) | instid1(VALU_DEP_3)
	v_mul_f32_e32 v5, v7, v5
	v_cndmask_b32_e32 v9, 0x7fc00000, v9, vcc_lo
	v_cmp_o_f32_e32 vcc_lo, v6, v6
	v_rndne_f32_e32 v5, v5
	s_delay_alu instid0(VALU_DEP_3) | instskip(SKIP_1) | instid1(VALU_DEP_3)
	v_dual_mul_f32 v9, v7, v9 :: v_dual_cndmask_b32 v6, 0x7fc00000, v11
	v_mul_f32_e32 v8, v7, v8
	v_cmp_nlt_f32_e32 vcc_lo, 0x42fe0000, v5
	s_delay_alu instid0(VALU_DEP_3) | instskip(NEXT) | instid1(VALU_DEP_3)
	v_mul_f32_e32 v6, v7, v6
	v_rndne_f32_e32 v7, v8
	v_rndne_f32_e32 v8, v9
	v_cndmask_b32_e32 v9, 0x42fe0000, v5, vcc_lo
	s_delay_alu instid0(VALU_DEP_4) | instskip(NEXT) | instid1(VALU_DEP_4)
	v_rndne_f32_e32 v6, v6
	v_cmp_nlt_f32_e32 vcc_lo, 0x42fe0000, v7
	v_cndmask_b32_e32 v10, 0x42fe0000, v7, vcc_lo
	v_cmp_nlt_f32_e32 vcc_lo, 0x42fe0000, v8
	v_cndmask_b32_e32 v11, 0x42fe0000, v8, vcc_lo
	v_cmp_ngt_f32_e32 vcc_lo, 0xc3000000, v5
	v_cndmask_b32_e32 v5, 0xc3000000, v9, vcc_lo
	v_cmp_nlt_f32_e32 vcc_lo, 0x42fe0000, v6
	s_delay_alu instid0(VALU_DEP_2) | instskip(SKIP_2) | instid1(VALU_DEP_3)
	v_cvt_i32_f32_e32 v5, v5
	v_cndmask_b32_e32 v9, 0x42fe0000, v6, vcc_lo
	v_cmp_ngt_f32_e32 vcc_lo, 0xc3000000, v8
	v_and_b32_e32 v5, 0xff, v5
	v_cndmask_b32_e32 v8, 0xc3000000, v11, vcc_lo
	v_cmp_ngt_f32_e32 vcc_lo, 0xc3000000, v7
	s_delay_alu instid0(VALU_DEP_3) | instskip(NEXT) | instid1(VALU_DEP_3)
	v_lshlrev_b32_e32 v5, 16, v5
	v_cvt_i32_f32_e32 v8, v8
	v_cndmask_b32_e32 v7, 0xc3000000, v10, vcc_lo
	v_cmp_ngt_f32_e32 vcc_lo, 0xc3000000, v6
	s_delay_alu instid0(VALU_DEP_3) | instskip(NEXT) | instid1(VALU_DEP_3)
	v_and_b32_e32 v8, 0xff, v8
	v_cvt_i32_f32_e32 v7, v7
	v_cndmask_b32_e32 v6, 0xc3000000, v9, vcc_lo
	v_add_co_u32 v3, vcc_lo, s1, v3
	s_delay_alu instid0(VALU_DEP_4) | instskip(NEXT) | instid1(VALU_DEP_4)
	v_lshlrev_b32_e32 v8, 8, v8
	v_and_b32_e32 v7, 0xff, v7
	s_delay_alu instid0(VALU_DEP_4) | instskip(SKIP_1) | instid1(VALU_DEP_2)
	v_cvt_i32_f32_e32 v6, v6
	v_add_co_ci_u32_e32 v4, vcc_lo, s4, v4, vcc_lo
	v_lshl_or_b32 v5, v6, 24, v5
	s_delay_alu instid0(VALU_DEP_1)
	v_or3_b32 v5, v5, v8, v7
	global_store_b32 v[3:4], v5, off
	v_cmpx_gt_u32_e64 s12, v0
	s_cbranch_execz .LBB77_52
; %bb.58:                               ;   in Loop: Header=BB77_55 Depth=1
	v_lshlrev_b64 v[3:4], 3, v[0:1]
	v_lshrrev_b32_e32 v5, 3, v0
	s_delay_alu instid0(VALU_DEP_1) | instskip(NEXT) | instid1(VALU_DEP_3)
	v_and_b32_e32 v7, 0x7fffffc, v5
	v_add_co_u32 v5, vcc_lo, s14, v3
	s_delay_alu instid0(VALU_DEP_4)
	v_add_co_ci_u32_e32 v6, vcc_lo, s26, v4, vcc_lo
	v_add_co_u32 v3, vcc_lo, s10, v3
	v_add_co_ci_u32_e32 v4, vcc_lo, s11, v4, vcc_lo
	global_load_b32 v7, v7, s[2:3]
	global_load_b64 v[5:6], v[5:6], off
	global_load_b64 v[3:4], v[3:4], off
	s_waitcnt vmcnt(2)
	v_div_scale_f32 v8, null, v7, v7, 1.0
	s_waitcnt vmcnt(1)
	v_lshlrev_b32_e32 v12, 16, v5
	v_div_scale_f32 v9, vcc_lo, 1.0, v7, 1.0
	s_delay_alu instid0(VALU_DEP_3) | instskip(NEXT) | instid1(VALU_DEP_2)
	v_rcp_f32_e32 v14, v8
	v_mul_f32_e32 v12, v28, v12
	s_delay_alu instid0(VALU_DEP_1) | instskip(SKIP_4) | instid1(VALU_DEP_1)
	v_bfe_u32 v15, v12, 16, 1
	v_cmp_o_f32_e64 s0, v12, v12
	s_waitcnt_depctr 0xfff
	v_fma_f32 v18, -v8, v14, 1.0
	v_add3_u32 v15, v12, v15, 0x7fff
	v_dual_fmac_f32 v14, v18, v14 :: v_dual_and_b32 v15, 0xffff0000, v15
	v_and_b32_e32 v10, 0xffff0000, v5
	v_alignbit_b32 v5, v6, v5, 16
	s_delay_alu instid0(VALU_DEP_3) | instskip(NEXT) | instid1(VALU_DEP_2)
	v_cndmask_b32_e64 v12, 0x7fc00000, v15, s0
	v_and_b32_e32 v5, 0xffff0000, v5
	s_delay_alu instid0(VALU_DEP_1) | instskip(SKIP_1) | instid1(VALU_DEP_1)
	v_dual_mul_f32 v5, v28, v5 :: v_dual_and_b32 v6, 0xffff0000, v6
	s_waitcnt vmcnt(0)
	v_dual_mul_f32 v6, v28, v6 :: v_dual_lshlrev_b32 v13, 16, v3
	s_delay_alu instid0(VALU_DEP_2) | instskip(NEXT) | instid1(VALU_DEP_2)
	v_bfe_u32 v19, v5, 16, 1
	v_mul_f32_e32 v12, v12, v13
	s_delay_alu instid0(VALU_DEP_3) | instskip(NEXT) | instid1(VALU_DEP_3)
	v_bfe_u32 v17, v6, 16, 1
	v_add3_u32 v18, v5, v19, 0x7fff
	v_mul_f32_e32 v19, v9, v14
	v_dual_mul_f32 v10, v28, v10 :: v_dual_and_b32 v11, 0xffff0000, v3
	s_delay_alu instid0(VALU_DEP_4) | instskip(NEXT) | instid1(VALU_DEP_4)
	v_add3_u32 v17, v6, v17, 0x7fff
	v_and_b32_e32 v15, 0xffff0000, v18
	v_alignbit_b32 v3, v4, v3, 16
	s_delay_alu instid0(VALU_DEP_4) | instskip(SKIP_2) | instid1(VALU_DEP_4)
	v_bfe_u32 v16, v10, 16, 1
	v_cmp_o_f32_e64 s0, v10, v10
	v_and_b32_e32 v17, 0xffff0000, v17
	v_and_b32_e32 v3, 0xffff0000, v3
	s_delay_alu instid0(VALU_DEP_4) | instskip(NEXT) | instid1(VALU_DEP_1)
	v_add3_u32 v16, v10, v16, 0x7fff
	v_and_b32_e32 v16, 0xffff0000, v16
	s_delay_alu instid0(VALU_DEP_1) | instskip(SKIP_1) | instid1(VALU_DEP_2)
	v_cndmask_b32_e64 v10, 0x7fc00000, v16, s0
	v_cmp_o_f32_e64 s0, v6, v6
	v_mul_f32_e32 v10, v10, v11
	s_delay_alu instid0(VALU_DEP_2) | instskip(SKIP_1) | instid1(VALU_DEP_1)
	v_cndmask_b32_e64 v6, 0x7fc00000, v17, s0
	v_cmp_o_f32_e64 s0, v5, v5
	v_cndmask_b32_e64 v5, 0x7fc00000, v15, s0
	v_fma_f32 v15, -v8, v19, v9
	s_delay_alu instid0(VALU_DEP_2) | instskip(NEXT) | instid1(VALU_DEP_1)
	v_dual_mul_f32 v3, v5, v3 :: v_dual_and_b32 v4, 0xffff0000, v4
	v_dual_fmac_f32 v19, v15, v14 :: v_dual_mul_f32 v4, v6, v4
	v_bfe_u32 v5, v12, 16, 1
	v_bfe_u32 v6, v10, 16, 1
	s_delay_alu instid0(VALU_DEP_4) | instskip(NEXT) | instid1(VALU_DEP_4)
	v_bfe_u32 v13, v3, 16, 1
	v_fma_f32 v8, -v8, v19, v9
	v_bfe_u32 v11, v4, 16, 1
	v_add3_u32 v5, v12, v5, 0x7fff
	v_add3_u32 v6, v10, v6, 0x7fff
	s_delay_alu instid0(VALU_DEP_4) | instskip(NEXT) | instid1(VALU_DEP_4)
	v_div_fmas_f32 v8, v8, v14, v19
	v_add3_u32 v9, v4, v11, 0x7fff
	v_add3_u32 v11, v3, v13, 0x7fff
	v_cmp_o_f32_e32 vcc_lo, v12, v12
	s_delay_alu instid0(VALU_DEP_4) | instskip(SKIP_1) | instid1(VALU_DEP_4)
	v_div_fixup_f32 v7, v8, v7, 1.0
	v_and_b32_e32 v5, 0xffff0000, v5
	v_and_b32_e32 v11, 0xffff0000, v11
	;; [unrolled: 1-line block ×3, first 2 shown]
	s_delay_alu instid0(VALU_DEP_3) | instskip(SKIP_1) | instid1(VALU_DEP_2)
	v_cndmask_b32_e32 v5, 0x7fc00000, v5, vcc_lo
	v_cmp_o_f32_e32 vcc_lo, v3, v3
	v_dual_mul_f32 v5, v7, v5 :: v_dual_and_b32 v6, 0xffff0000, v6
	v_cndmask_b32_e32 v3, 0x7fc00000, v11, vcc_lo
	v_cmp_o_f32_e32 vcc_lo, v10, v10
	s_delay_alu instid0(VALU_DEP_3) | instskip(NEXT) | instid1(VALU_DEP_3)
	v_rndne_f32_e32 v5, v5
	v_dual_mul_f32 v3, v7, v3 :: v_dual_cndmask_b32 v6, 0x7fc00000, v6
	v_cmp_o_f32_e32 vcc_lo, v4, v4
	s_delay_alu instid0(VALU_DEP_2) | instskip(NEXT) | instid1(VALU_DEP_3)
	v_rndne_f32_e32 v3, v3
	v_mul_f32_e32 v6, v7, v6
	v_cndmask_b32_e32 v4, 0x7fc00000, v9, vcc_lo
	s_delay_alu instid0(VALU_DEP_3) | instskip(NEXT) | instid1(VALU_DEP_3)
	v_cmp_nlt_f32_e32 vcc_lo, 0x42fe0000, v3
	v_rndne_f32_e32 v6, v6
	s_delay_alu instid0(VALU_DEP_3) | instskip(SKIP_1) | instid1(VALU_DEP_2)
	v_dual_mul_f32 v4, v7, v4 :: v_dual_cndmask_b32 v7, 0x42fe0000, v3
	v_cmp_nlt_f32_e32 vcc_lo, 0x42fe0000, v5
	v_rndne_f32_e32 v4, v4
	v_cndmask_b32_e32 v8, 0x42fe0000, v5, vcc_lo
	v_cmp_nlt_f32_e32 vcc_lo, 0x42fe0000, v6
	v_cndmask_b32_e32 v9, 0x42fe0000, v6, vcc_lo
	v_cmp_ngt_f32_e32 vcc_lo, 0xc3000000, v3
	v_cndmask_b32_e32 v3, 0xc3000000, v7, vcc_lo
	v_cmp_nlt_f32_e32 vcc_lo, 0x42fe0000, v4
	s_delay_alu instid0(VALU_DEP_2) | instskip(SKIP_2) | instid1(VALU_DEP_3)
	v_cvt_i32_f32_e32 v3, v3
	v_cndmask_b32_e32 v7, 0x42fe0000, v4, vcc_lo
	v_cmp_ngt_f32_e32 vcc_lo, 0xc3000000, v6
	v_and_b32_e32 v3, 0xff, v3
	v_cndmask_b32_e32 v6, 0xc3000000, v9, vcc_lo
	v_cmp_ngt_f32_e32 vcc_lo, 0xc3000000, v5
	s_delay_alu instid0(VALU_DEP_2) | instskip(SKIP_3) | instid1(VALU_DEP_4)
	v_cvt_i32_f32_e32 v6, v6
	v_cndmask_b32_e32 v5, 0xc3000000, v8, vcc_lo
	v_cmp_ngt_f32_e32 vcc_lo, 0xc3000000, v4
	v_lshlrev_b32_e32 v8, 16, v3
	v_and_b32_e32 v6, 0xff, v6
	s_delay_alu instid0(VALU_DEP_4) | instskip(SKIP_1) | instid1(VALU_DEP_3)
	v_cvt_i32_f32_e32 v5, v5
	v_cndmask_b32_e32 v4, 0xc3000000, v7, vcc_lo
	v_lshlrev_b32_e32 v6, 8, v6
	s_delay_alu instid0(VALU_DEP_3) | instskip(NEXT) | instid1(VALU_DEP_3)
	v_and_b32_e32 v5, 0xff, v5
	v_cvt_i32_f32_e32 v7, v4
	v_lshlrev_b64 v[3:4], 2, v[0:1]
	v_add3_u32 v0, s8, s27, v2
	s_delay_alu instid0(VALU_DEP_3) | instskip(NEXT) | instid1(VALU_DEP_3)
	v_lshl_or_b32 v7, v7, 24, v8
	v_add_co_u32 v2, vcc_lo, s1, v3
	s_delay_alu instid0(VALU_DEP_4) | instskip(NEXT) | instid1(VALU_DEP_4)
	v_add_co_ci_u32_e32 v3, vcc_lo, s4, v4, vcc_lo
	v_cmp_le_u32_e32 vcc_lo, s12, v0
	s_delay_alu instid0(VALU_DEP_4)
	v_or3_b32 v4, v7, v6, v5
	s_or_not1_b32 s0, vcc_lo, exec_lo
	global_store_b32 v[2:3], v4, off
	s_branch .LBB77_52
.LBB77_59:
	s_nop 0
	s_sendmsg sendmsg(MSG_DEALLOC_VGPRS)
	s_endpgm
	.section	.rodata,"a",@progbits
	.p2align	6, 0x0
	.amdhsa_kernel _ZN4vllm31rms_norm_per_block_quant_kernelIN3c108BFloat16EaLb0ELb0ELi128EEEvPT0_PfPKT_S8_PKffiiPS6_l
		.amdhsa_group_segment_fixed_size 4228
		.amdhsa_private_segment_fixed_size 0
		.amdhsa_kernarg_size 328
		.amdhsa_user_sgpr_count 15
		.amdhsa_user_sgpr_dispatch_ptr 0
		.amdhsa_user_sgpr_queue_ptr 0
		.amdhsa_user_sgpr_kernarg_segment_ptr 1
		.amdhsa_user_sgpr_dispatch_id 0
		.amdhsa_user_sgpr_private_segment_size 0
		.amdhsa_wavefront_size32 1
		.amdhsa_uses_dynamic_stack 0
		.amdhsa_enable_private_segment 0
		.amdhsa_system_sgpr_workgroup_id_x 1
		.amdhsa_system_sgpr_workgroup_id_y 0
		.amdhsa_system_sgpr_workgroup_id_z 0
		.amdhsa_system_sgpr_workgroup_info 0
		.amdhsa_system_vgpr_workitem_id 0
		.amdhsa_next_free_vgpr 46
		.amdhsa_next_free_sgpr 34
		.amdhsa_reserve_vcc 1
		.amdhsa_float_round_mode_32 0
		.amdhsa_float_round_mode_16_64 0
		.amdhsa_float_denorm_mode_32 3
		.amdhsa_float_denorm_mode_16_64 3
		.amdhsa_dx10_clamp 1
		.amdhsa_ieee_mode 1
		.amdhsa_fp16_overflow 0
		.amdhsa_workgroup_processor_mode 1
		.amdhsa_memory_ordered 1
		.amdhsa_forward_progress 0
		.amdhsa_shared_vgpr_count 0
		.amdhsa_exception_fp_ieee_invalid_op 0
		.amdhsa_exception_fp_denorm_src 0
		.amdhsa_exception_fp_ieee_div_zero 0
		.amdhsa_exception_fp_ieee_overflow 0
		.amdhsa_exception_fp_ieee_underflow 0
		.amdhsa_exception_fp_ieee_inexact 0
		.amdhsa_exception_int_div_zero 0
	.end_amdhsa_kernel
	.section	.text._ZN4vllm31rms_norm_per_block_quant_kernelIN3c108BFloat16EaLb0ELb0ELi128EEEvPT0_PfPKT_S8_PKffiiPS6_l,"axG",@progbits,_ZN4vllm31rms_norm_per_block_quant_kernelIN3c108BFloat16EaLb0ELb0ELi128EEEvPT0_PfPKT_S8_PKffiiPS6_l,comdat
.Lfunc_end77:
	.size	_ZN4vllm31rms_norm_per_block_quant_kernelIN3c108BFloat16EaLb0ELb0ELi128EEEvPT0_PfPKT_S8_PKffiiPS6_l, .Lfunc_end77-_ZN4vllm31rms_norm_per_block_quant_kernelIN3c108BFloat16EaLb0ELb0ELi128EEEvPT0_PfPKT_S8_PKffiiPS6_l
                                        ; -- End function
	.section	.AMDGPU.csdata,"",@progbits
; Kernel info:
; codeLenInByte = 10300
; NumSgprs: 36
; NumVgprs: 46
; ScratchSize: 0
; MemoryBound: 0
; FloatMode: 240
; IeeeMode: 1
; LDSByteSize: 4228 bytes/workgroup (compile time only)
; SGPRBlocks: 4
; VGPRBlocks: 5
; NumSGPRsForWavesPerEU: 36
; NumVGPRsForWavesPerEU: 46
; Occupancy: 16
; WaveLimiterHint : 0
; COMPUTE_PGM_RSRC2:SCRATCH_EN: 0
; COMPUTE_PGM_RSRC2:USER_SGPR: 15
; COMPUTE_PGM_RSRC2:TRAP_HANDLER: 0
; COMPUTE_PGM_RSRC2:TGID_X_EN: 1
; COMPUTE_PGM_RSRC2:TGID_Y_EN: 0
; COMPUTE_PGM_RSRC2:TGID_Z_EN: 0
; COMPUTE_PGM_RSRC2:TIDIG_COMP_CNT: 0
	.section	.text._ZN4vllm31rms_norm_per_block_quant_kernelIN3c108BFloat16ENS1_13Float8_e4m3fnELb1ELb1ELi64EEEvPT0_PfPKT_S9_PKffiiPS7_l,"axG",@progbits,_ZN4vllm31rms_norm_per_block_quant_kernelIN3c108BFloat16ENS1_13Float8_e4m3fnELb1ELb1ELi64EEEvPT0_PfPKT_S9_PKffiiPS7_l,comdat
	.protected	_ZN4vllm31rms_norm_per_block_quant_kernelIN3c108BFloat16ENS1_13Float8_e4m3fnELb1ELb1ELi64EEEvPT0_PfPKT_S9_PKffiiPS7_l ; -- Begin function _ZN4vllm31rms_norm_per_block_quant_kernelIN3c108BFloat16ENS1_13Float8_e4m3fnELb1ELb1ELi64EEEvPT0_PfPKT_S9_PKffiiPS7_l
	.globl	_ZN4vllm31rms_norm_per_block_quant_kernelIN3c108BFloat16ENS1_13Float8_e4m3fnELb1ELb1ELi64EEEvPT0_PfPKT_S9_PKffiiPS7_l
	.p2align	8
	.type	_ZN4vllm31rms_norm_per_block_quant_kernelIN3c108BFloat16ENS1_13Float8_e4m3fnELb1ELb1ELi64EEEvPT0_PfPKT_S9_PKffiiPS7_l,@function
_ZN4vllm31rms_norm_per_block_quant_kernelIN3c108BFloat16ENS1_13Float8_e4m3fnELb1ELb1ELi64EEEvPT0_PfPKT_S9_PKffiiPS7_l: ; @_ZN4vllm31rms_norm_per_block_quant_kernelIN3c108BFloat16ENS1_13Float8_e4m3fnELb1ELb1ELi64EEEvPT0_PfPKT_S9_PKffiiPS7_l
; %bb.0:
	s_mov_b32 s16, s15
	s_clause 0x3
	s_load_b128 s[12:15], s[0:1], 0x28
	s_load_b256 s[4:11], s[0:1], 0x0
	s_load_b64 s[26:27], s[0:1], 0x38
	s_load_b32 s36, s[0:1], 0x48
	v_mov_b32_e32 v6, 0
	s_mov_b32 s17, 0
	s_waitcnt lgkmcnt(0)
	s_ashr_i32 s3, s14, 31
	s_mul_hi_u32 s15, s14, s16
	s_mul_i32 s3, s3, s16
	s_ashr_i32 s21, s13, 31
	s_mul_i32 s2, s14, s16
	s_add_i32 s3, s15, s3
	s_mul_hi_u32 s14, s13, s16
	s_mul_i32 s15, s21, s16
	s_lshl_b64 s[24:25], s[2:3], 1
	s_mul_i32 s18, s13, s16
	s_add_i32 s19, s14, s15
	s_add_u32 s30, s8, s24
	s_addc_u32 s31, s9, s25
	s_lshl_b64 s[28:29], s[18:19], 1
	s_mov_b32 s20, s13
	s_add_u32 s33, s26, s28
	s_addc_u32 s34, s27, s29
	s_ashr_i32 s14, s13, 2
	s_add_u32 s22, s0, 0x48
	v_cmp_gt_u32_e64 s2, s14, v0
	s_addc_u32 s23, s1, 0
	s_delay_alu instid0(VALU_DEP_1)
	s_and_saveexec_b32 s3, s2
	s_cbranch_execz .LBB78_10
; %bb.1:
	s_cmp_lt_u32 s16, s36
	v_mov_b32_e32 v2, 0
	s_cselect_b32 s13, 12, 18
                                        ; implicit-def: $sgpr15
	v_mov_b32_e32 v1, v0
	s_add_u32 s38, s22, s13
	s_addc_u32 s39, s23, 0
	s_mov_b32 s13, s17
	global_load_u16 v7, v2, s[38:39]
	s_waitcnt vmcnt(0)
	v_lshlrev_b32_e32 v9, 1, v7
	v_mul_lo_u32 v8, v7, 3
	v_add_nc_u32_e32 v10, v7, v7
	v_mov_b32_e32 v6, v2
	s_branch .LBB78_5
.LBB78_2:                               ;   in Loop: Header=BB78_5 Depth=1
	s_or_b32 exec_lo, exec_lo, s38
	s_delay_alu instid0(SALU_CYCLE_1)
	s_or_not1_b32 s38, s39, exec_lo
.LBB78_3:                               ;   in Loop: Header=BB78_5 Depth=1
	s_or_b32 exec_lo, exec_lo, s37
	s_delay_alu instid0(SALU_CYCLE_1) | instskip(SKIP_1) | instid1(SALU_CYCLE_1)
	s_and_not1_b32 s15, s15, exec_lo
	s_and_b32 s37, s38, exec_lo
	s_or_b32 s15, s15, s37
.LBB78_4:                               ;   in Loop: Header=BB78_5 Depth=1
	s_or_b32 exec_lo, exec_lo, s35
	s_delay_alu instid0(SALU_CYCLE_1) | instskip(NEXT) | instid1(SALU_CYCLE_1)
	s_and_b32 s35, exec_lo, s15
	s_or_b32 s13, s35, s13
	s_delay_alu instid0(SALU_CYCLE_1)
	s_and_not1_b32 exec_lo, exec_lo, s13
	s_cbranch_execz .LBB78_9
.LBB78_5:                               ; =>This Inner Loop Header: Depth=1
	v_lshlrev_b64 v[3:4], 3, v[1:2]
	s_or_b32 s15, s15, exec_lo
	s_mov_b32 s35, exec_lo
	s_delay_alu instid0(VALU_DEP_1) | instskip(NEXT) | instid1(VALU_DEP_2)
	v_add_co_u32 v11, vcc_lo, s30, v3
	v_add_co_ci_u32_e32 v12, vcc_lo, s31, v4, vcc_lo
	v_add_co_u32 v3, vcc_lo, s33, v3
	v_add_co_ci_u32_e32 v4, vcc_lo, s34, v4, vcc_lo
	global_load_b64 v[11:12], v[11:12], off
	global_load_b64 v[3:4], v[3:4], off
	s_waitcnt vmcnt(1)
	v_lshlrev_b32_e32 v5, 16, v11
	s_waitcnt vmcnt(0)
	v_lshlrev_b32_e32 v13, 16, v3
	v_and_b32_e32 v14, 0xffff0000, v11
	v_alignbit_b32 v11, v12, v11, 16
	s_delay_alu instid0(VALU_DEP_3) | instskip(NEXT) | instid1(VALU_DEP_1)
	v_add_f32_e32 v5, v5, v13
	v_dual_fmac_f32 v6, v5, v5 :: v_dual_and_b32 v5, 0xffff0000, v12
	v_and_b32_e32 v15, 0xffff0000, v3
	v_alignbit_b32 v3, v4, v3, 16
	s_delay_alu instid0(VALU_DEP_1) | instskip(SKIP_1) | instid1(VALU_DEP_1)
	v_and_b32_e32 v3, 0xffff0000, v3
	v_and_b32_e32 v4, 0xffff0000, v4
	v_dual_add_f32 v4, v5, v4 :: v_dual_and_b32 v11, 0xffff0000, v11
	v_add_f32_e32 v13, v14, v15
	s_delay_alu instid0(VALU_DEP_1) | instskip(NEXT) | instid1(VALU_DEP_1)
	v_dual_add_f32 v3, v11, v3 :: v_dual_fmac_f32 v6, v13, v13
	v_fmac_f32_e32 v6, v3, v3
	s_delay_alu instid0(VALU_DEP_1) | instskip(NEXT) | instid1(VALU_DEP_1)
	v_dual_fmac_f32 v6, v4, v4 :: v_dual_add_nc_u32 v3, v1, v7
	v_cmpx_gt_u32_e64 s14, v3
	s_cbranch_execz .LBB78_4
; %bb.6:                                ;   in Loop: Header=BB78_5 Depth=1
	v_mov_b32_e32 v4, v2
	s_mov_b32 s38, -1
	s_mov_b32 s37, exec_lo
	s_delay_alu instid0(VALU_DEP_1) | instskip(NEXT) | instid1(VALU_DEP_1)
	v_lshlrev_b64 v[4:5], 3, v[3:4]
	v_add_co_u32 v11, vcc_lo, s30, v4
	s_delay_alu instid0(VALU_DEP_2)
	v_add_co_ci_u32_e32 v12, vcc_lo, s31, v5, vcc_lo
	v_add_co_u32 v4, vcc_lo, s33, v4
	v_add_co_ci_u32_e32 v5, vcc_lo, s34, v5, vcc_lo
	global_load_b64 v[11:12], v[11:12], off
	global_load_b64 v[4:5], v[4:5], off
	s_waitcnt vmcnt(1)
	v_lshlrev_b32_e32 v13, 16, v11
	v_and_b32_e32 v15, 0xffff0000, v11
	v_alignbit_b32 v11, v12, v11, 16
	v_and_b32_e32 v12, 0xffff0000, v12
	s_waitcnt vmcnt(0)
	v_lshlrev_b32_e32 v14, 16, v4
	v_and_b32_e32 v16, 0xffff0000, v4
	v_alignbit_b32 v4, v5, v4, 16
	s_delay_alu instid0(VALU_DEP_1) | instskip(SKIP_1) | instid1(VALU_DEP_1)
	v_and_b32_e32 v4, 0xffff0000, v4
	v_and_b32_e32 v5, 0xffff0000, v5
	v_add_f32_e32 v5, v12, v5
	v_add_f32_e32 v13, v13, v14
	s_delay_alu instid0(VALU_DEP_1) | instskip(SKIP_1) | instid1(VALU_DEP_2)
	v_dual_fmac_f32 v6, v13, v13 :: v_dual_and_b32 v11, 0xffff0000, v11
	v_add_f32_e32 v14, v15, v16
	v_add_f32_e32 v4, v11, v4
	s_delay_alu instid0(VALU_DEP_2) | instskip(NEXT) | instid1(VALU_DEP_1)
	v_fmac_f32_e32 v6, v14, v14
	v_fmac_f32_e32 v6, v4, v4
	v_add_nc_u32_e32 v4, v9, v1
	s_delay_alu instid0(VALU_DEP_2) | instskip(NEXT) | instid1(VALU_DEP_2)
	v_fmac_f32_e32 v6, v5, v5
	v_cmpx_gt_u32_e64 s14, v4
	s_cbranch_execz .LBB78_3
; %bb.7:                                ;   in Loop: Header=BB78_5 Depth=1
	v_mov_b32_e32 v5, v2
	v_add_nc_u32_e32 v1, v8, v1
	s_mov_b32 s39, -1
	s_mov_b32 s38, exec_lo
	s_delay_alu instid0(VALU_DEP_2) | instskip(NEXT) | instid1(VALU_DEP_1)
	v_lshlrev_b64 v[4:5], 3, v[4:5]
	v_add_co_u32 v11, vcc_lo, s30, v4
	s_delay_alu instid0(VALU_DEP_2)
	v_add_co_ci_u32_e32 v12, vcc_lo, s31, v5, vcc_lo
	v_add_co_u32 v4, vcc_lo, s33, v4
	v_add_co_ci_u32_e32 v5, vcc_lo, s34, v5, vcc_lo
	global_load_b64 v[11:12], v[11:12], off
	global_load_b64 v[4:5], v[4:5], off
	s_waitcnt vmcnt(1)
	v_and_b32_e32 v15, 0xffff0000, v11
	s_waitcnt vmcnt(0)
	v_lshlrev_b32_e32 v14, 16, v4
	v_and_b32_e32 v16, 0xffff0000, v4
	v_lshlrev_b32_e32 v13, 16, v11
	v_alignbit_b32 v11, v12, v11, 16
	v_alignbit_b32 v4, v5, v4, 16
	s_delay_alu instid0(VALU_DEP_3) | instskip(NEXT) | instid1(VALU_DEP_1)
	v_dual_add_f32 v13, v13, v14 :: v_dual_and_b32 v12, 0xffff0000, v12
	v_fmac_f32_e32 v6, v13, v13
	s_delay_alu instid0(VALU_DEP_4) | instskip(NEXT) | instid1(VALU_DEP_1)
	v_dual_add_f32 v14, v15, v16 :: v_dual_and_b32 v11, 0xffff0000, v11
	v_dual_fmac_f32 v6, v14, v14 :: v_dual_and_b32 v5, 0xffff0000, v5
	s_delay_alu instid0(VALU_DEP_1) | instskip(NEXT) | instid1(VALU_DEP_1)
	v_dual_add_f32 v5, v12, v5 :: v_dual_and_b32 v4, 0xffff0000, v4
	v_add_f32_e32 v4, v11, v4
	s_delay_alu instid0(VALU_DEP_1) | instskip(NEXT) | instid1(VALU_DEP_1)
	v_fmac_f32_e32 v6, v4, v4
	v_fmac_f32_e32 v6, v5, v5
	v_cmpx_gt_u32_e64 s14, v1
	s_xor_b32 s38, exec_lo, s38
	s_cbranch_execz .LBB78_2
; %bb.8:                                ;   in Loop: Header=BB78_5 Depth=1
	v_lshlrev_b64 v[4:5], 3, v[1:2]
	s_delay_alu instid0(VALU_DEP_1) | instskip(NEXT) | instid1(VALU_DEP_2)
	v_add_co_u32 v11, vcc_lo, s30, v4
	v_add_co_ci_u32_e32 v12, vcc_lo, s31, v5, vcc_lo
	v_add_co_u32 v4, vcc_lo, s33, v4
	v_add_co_ci_u32_e32 v5, vcc_lo, s34, v5, vcc_lo
	global_load_b64 v[11:12], v[11:12], off
	global_load_b64 v[4:5], v[4:5], off
	s_waitcnt vmcnt(0)
	v_lshlrev_b32_e32 v13, 16, v4
	v_and_b32_e32 v14, 0xffff0000, v11
	v_alignbit_b32 v15, v5, v4, 16
	v_and_b32_e32 v4, 0xffff0000, v4
	v_lshlrev_b32_e32 v1, 16, v11
	v_alignbit_b32 v11, v12, v11, 16
	v_and_b32_e32 v12, 0xffff0000, v12
	s_delay_alu instid0(VALU_DEP_3) | instskip(NEXT) | instid1(VALU_DEP_1)
	v_dual_add_f32 v4, v14, v4 :: v_dual_add_f32 v1, v1, v13
	v_dual_fmac_f32 v6, v1, v1 :: v_dual_and_b32 v13, 0xffff0000, v15
	s_delay_alu instid0(VALU_DEP_4) | instskip(SKIP_1) | instid1(VALU_DEP_2)
	v_and_b32_e32 v11, 0xffff0000, v11
	v_add3_u32 v1, v10, v7, v3
	v_dual_fmac_f32 v6, v4, v4 :: v_dual_add_f32 v11, v11, v13
	v_and_b32_e32 v5, 0xffff0000, v5
	s_delay_alu instid0(VALU_DEP_3) | instskip(NEXT) | instid1(VALU_DEP_2)
	v_cmp_le_u32_e32 vcc_lo, s14, v1
	v_dual_fmac_f32 v6, v11, v11 :: v_dual_add_f32 v3, v12, v5
	s_or_not1_b32 s39, vcc_lo, exec_lo
	s_delay_alu instid0(VALU_DEP_1)
	v_fmac_f32_e32 v6, v3, v3
	s_branch .LBB78_2
.LBB78_9:
	s_or_b32 exec_lo, exec_lo, s13
.LBB78_10:
	s_delay_alu instid0(SALU_CYCLE_1) | instskip(SKIP_4) | instid1(VALU_DEP_2)
	s_or_b32 exec_lo, exec_lo, s3
	v_mbcnt_lo_u32_b32 v1, -1, 0
	s_load_b32 s3, s[22:23], 0xc
	v_and_b32_e32 v7, 0x3e0, v0
	s_mov_b32 s13, exec_lo
	v_cmp_ne_u32_e32 vcc_lo, 31, v1
	v_add_nc_u32_e32 v3, 1, v1
	v_add_co_ci_u32_e32 v2, vcc_lo, 0, v1, vcc_lo
	v_cmp_gt_u32_e32 vcc_lo, 30, v1
	s_delay_alu instid0(VALU_DEP_2)
	v_lshlrev_b32_e32 v2, 2, v2
	v_cndmask_b32_e64 v5, 0, 1, vcc_lo
	ds_bpermute_b32 v4, v2, v6
	s_waitcnt lgkmcnt(0)
	s_and_b32 s3, s3, 0xffff
	v_lshlrev_b32_e32 v5, 1, v5
	v_sub_nc_u32_e64 v12, s3, v7 clamp
	s_delay_alu instid0(VALU_DEP_1) | instskip(SKIP_1) | instid1(VALU_DEP_4)
	v_cmp_lt_u32_e32 vcc_lo, v3, v12
	v_add_f32_e32 v7, v6, v4
	v_add_lshl_u32 v4, v5, v1, 2
	s_delay_alu instid0(VALU_DEP_2) | instskip(SKIP_2) | instid1(VALU_DEP_1)
	v_cndmask_b32_e32 v7, v6, v7, vcc_lo
	v_cmp_gt_u32_e32 vcc_lo, 28, v1
	v_cndmask_b32_e64 v5, 0, 1, vcc_lo
	v_lshlrev_b32_e32 v8, 2, v5
	ds_bpermute_b32 v6, v4, v7
	v_add_nc_u32_e32 v5, 2, v1
	s_delay_alu instid0(VALU_DEP_1) | instskip(SKIP_3) | instid1(VALU_DEP_2)
	v_cmp_lt_u32_e32 vcc_lo, v5, v12
	s_waitcnt lgkmcnt(0)
	v_add_f32_e32 v9, v7, v6
	v_add_lshl_u32 v6, v8, v1, 2
	v_cndmask_b32_e32 v9, v7, v9, vcc_lo
	v_cmp_gt_u32_e32 vcc_lo, 24, v1
	ds_bpermute_b32 v8, v6, v9
	v_cndmask_b32_e64 v7, 0, 1, vcc_lo
	s_delay_alu instid0(VALU_DEP_1) | instskip(SKIP_1) | instid1(VALU_DEP_1)
	v_lshlrev_b32_e32 v10, 3, v7
	v_add_nc_u32_e32 v7, 4, v1
	v_cmp_lt_u32_e32 vcc_lo, v7, v12
	s_waitcnt lgkmcnt(0)
	v_add_f32_e32 v11, v9, v8
	v_add_lshl_u32 v8, v10, v1, 2
	s_delay_alu instid0(VALU_DEP_2) | instskip(SKIP_3) | instid1(VALU_DEP_1)
	v_cndmask_b32_e32 v11, v9, v11, vcc_lo
	v_cmp_gt_u32_e32 vcc_lo, 16, v1
	ds_bpermute_b32 v10, v8, v11
	v_cndmask_b32_e64 v9, 0, 1, vcc_lo
	v_lshlrev_b32_e32 v13, 4, v9
	v_add_nc_u32_e32 v9, 8, v1
	s_delay_alu instid0(VALU_DEP_1) | instskip(SKIP_3) | instid1(VALU_DEP_2)
	v_cmp_lt_u32_e32 vcc_lo, v9, v12
	s_waitcnt lgkmcnt(0)
	v_add_f32_e32 v14, v11, v10
	v_add_lshl_u32 v10, v13, v1, 2
	v_cndmask_b32_e32 v13, v11, v14, vcc_lo
	v_add_nc_u32_e32 v11, 16, v1
	ds_bpermute_b32 v14, v10, v13
	v_cmp_lt_u32_e32 vcc_lo, v11, v12
	s_waitcnt lgkmcnt(0)
	v_add_f32_e32 v14, v13, v14
	s_delay_alu instid0(VALU_DEP_1)
	v_cndmask_b32_e32 v12, v13, v14, vcc_lo
	v_cmpx_eq_u32_e32 0, v1
	s_cbranch_execz .LBB78_12
; %bb.11:
	v_lshrrev_b32_e32 v13, 3, v0
	s_delay_alu instid0(VALU_DEP_1)
	v_and_b32_e32 v13, 0x7c, v13
	ds_store_b32 v13, v12 offset:4096
.LBB78_12:
	s_or_b32 exec_lo, exec_lo, s13
	s_delay_alu instid0(SALU_CYCLE_1)
	s_mov_b32 s13, exec_lo
	s_waitcnt lgkmcnt(0)
	s_barrier
	buffer_gl0_inv
	v_cmpx_gt_u32_e32 32, v0
	s_cbranch_execz .LBB78_14
; %bb.13:
	v_lshlrev_b32_e32 v1, 2, v1
	s_add_i32 s3, s3, 31
	s_delay_alu instid0(SALU_CYCLE_1) | instskip(NEXT) | instid1(SALU_CYCLE_1)
	s_lshr_b32 s3, s3, 5
	v_cmp_gt_u32_e32 vcc_lo, s3, v3
	ds_load_b32 v1, v1 offset:4096
	s_waitcnt lgkmcnt(0)
	ds_bpermute_b32 v2, v2, v1
	s_waitcnt lgkmcnt(0)
	v_add_f32_e32 v2, v1, v2
	s_delay_alu instid0(VALU_DEP_1) | instskip(SKIP_4) | instid1(VALU_DEP_1)
	v_cndmask_b32_e32 v1, v1, v2, vcc_lo
	v_cmp_gt_u32_e32 vcc_lo, s3, v5
	ds_bpermute_b32 v2, v4, v1
	s_waitcnt lgkmcnt(0)
	v_add_f32_e32 v2, v1, v2
	v_cndmask_b32_e32 v1, v1, v2, vcc_lo
	v_cmp_gt_u32_e32 vcc_lo, s3, v7
	ds_bpermute_b32 v2, v6, v1
	s_waitcnt lgkmcnt(0)
	v_add_f32_e32 v2, v1, v2
	s_delay_alu instid0(VALU_DEP_1) | instskip(SKIP_4) | instid1(VALU_DEP_1)
	v_cndmask_b32_e32 v1, v1, v2, vcc_lo
	v_cmp_gt_u32_e32 vcc_lo, s3, v9
	ds_bpermute_b32 v2, v8, v1
	s_waitcnt lgkmcnt(0)
	v_add_f32_e32 v2, v1, v2
	v_cndmask_b32_e32 v1, v1, v2, vcc_lo
	v_cmp_gt_u32_e32 vcc_lo, s3, v11
	ds_bpermute_b32 v2, v10, v1
	s_waitcnt lgkmcnt(0)
	v_add_f32_e32 v2, v1, v2
	s_delay_alu instid0(VALU_DEP_1)
	v_cndmask_b32_e32 v12, v1, v2, vcc_lo
.LBB78_14:
	s_or_b32 exec_lo, exec_lo, s13
	s_delay_alu instid0(SALU_CYCLE_1)
	s_mov_b32 s3, exec_lo
	v_cmpx_eq_u32_e32 0, v0
	s_cbranch_execz .LBB78_16
; %bb.15:
	v_cvt_f32_i32_e32 v1, s20
	s_delay_alu instid0(VALU_DEP_1) | instskip(SKIP_1) | instid1(VALU_DEP_2)
	v_div_scale_f32 v2, null, v1, v1, v12
	v_div_scale_f32 v5, vcc_lo, v12, v1, v12
	v_rcp_f32_e32 v3, v2
	s_waitcnt_depctr 0xfff
	v_fma_f32 v4, -v2, v3, 1.0
	s_delay_alu instid0(VALU_DEP_1) | instskip(NEXT) | instid1(VALU_DEP_1)
	v_fmac_f32_e32 v3, v4, v3
	v_mul_f32_e32 v4, v5, v3
	s_delay_alu instid0(VALU_DEP_1) | instskip(NEXT) | instid1(VALU_DEP_1)
	v_fma_f32 v6, -v2, v4, v5
	v_fmac_f32_e32 v4, v6, v3
	s_delay_alu instid0(VALU_DEP_1) | instskip(NEXT) | instid1(VALU_DEP_1)
	v_fma_f32 v2, -v2, v4, v5
	v_div_fmas_f32 v2, v2, v3, v4
	s_delay_alu instid0(VALU_DEP_1) | instskip(NEXT) | instid1(VALU_DEP_1)
	v_div_fixup_f32 v1, v2, v1, v12
	v_add_f32_e32 v1, s12, v1
	s_delay_alu instid0(VALU_DEP_1) | instskip(SKIP_1) | instid1(VALU_DEP_2)
	v_mul_f32_e32 v2, 0x4b800000, v1
	v_cmp_gt_f32_e32 vcc_lo, 0x800000, v1
	v_cndmask_b32_e32 v1, v1, v2, vcc_lo
	s_delay_alu instid0(VALU_DEP_1) | instskip(SKIP_2) | instid1(VALU_DEP_1)
	v_rsq_f32_e32 v1, v1
	s_waitcnt_depctr 0xfff
	v_mul_f32_e32 v2, 0x45800000, v1
	v_dual_cndmask_b32 v1, v1, v2 :: v_dual_mov_b32 v2, 0
	ds_store_b32 v2, v1 offset:4224
.LBB78_16:
	s_or_b32 exec_lo, exec_lo, s3
	s_ashr_i32 s3, s20, 31
	v_mov_b32_e32 v4, 0
	s_lshr_b32 s3, s3, 26
	s_waitcnt lgkmcnt(0)
	s_add_i32 s3, s20, s3
	s_barrier
	s_ashr_i32 s12, s3, 6
	s_cmp_lt_u32 s16, s36
	buffer_gl0_inv
	s_cselect_b32 s13, 12, 18
	ds_load_b32 v28, v4 offset:4224
	s_add_u32 s22, s22, s13
	s_addc_u32 s23, s23, 0
	s_abs_i32 s13, s12
	global_load_u16 v1, v4, s[22:23]
	v_cvt_f32_u32_e32 v2, s13
	s_sub_i32 s22, 0, s13
	s_ashr_i32 s3, s3, 31
	s_delay_alu instid0(VALU_DEP_1) | instskip(SKIP_2) | instid1(VALU_DEP_1)
	v_rcp_iflag_f32_e32 v2, v2
	s_waitcnt_depctr 0xfff
	v_mul_f32_e32 v2, 0x4f7ffffe, v2
	v_cvt_u32_f32_e32 v2, v2
	s_delay_alu instid0(VALU_DEP_1) | instskip(NEXT) | instid1(VALU_DEP_1)
	v_readfirstlane_b32 s15, v2
	s_mul_i32 s22, s22, s15
	s_delay_alu instid0(SALU_CYCLE_1) | instskip(NEXT) | instid1(SALU_CYCLE_1)
	s_mul_hi_u32 s22, s15, s22
	s_add_i32 s15, s15, s22
	s_waitcnt vmcnt(0)
	v_readfirstlane_b32 s35, v1
	s_delay_alu instid0(VALU_DEP_1) | instskip(NEXT) | instid1(SALU_CYCLE_1)
	s_mul_hi_u32 s15, s35, s15
	s_mul_i32 s22, s15, s13
	s_add_i32 s23, s15, 1
	s_sub_i32 s22, s35, s22
	s_delay_alu instid0(SALU_CYCLE_1)
	s_sub_i32 s37, s22, s13
	s_cmp_ge_u32 s22, s13
	s_cselect_b32 s15, s23, s15
	s_cselect_b32 s22, s37, s22
	s_add_i32 s23, s15, 1
	s_cmp_ge_u32 s22, s13
	s_cselect_b32 s13, s23, s15
	s_ashr_i32 s15, s14, 31
	s_xor_b32 s13, s13, s3
	s_delay_alu instid0(SALU_CYCLE_1) | instskip(NEXT) | instid1(SALU_CYCLE_1)
	s_sub_i32 s22, s13, s3
	s_abs_i32 s3, s22
	s_ashr_i32 s23, s22, 31
	v_cvt_f32_u32_e32 v1, s3
	s_sub_i32 s13, 0, s3
	s_delay_alu instid0(VALU_DEP_1) | instskip(SKIP_2) | instid1(VALU_DEP_1)
	v_rcp_iflag_f32_e32 v1, v1
	s_waitcnt_depctr 0xfff
	v_mul_f32_e32 v1, 0x4f7ffffe, v1
	v_cvt_u32_f32_e32 v1, v1
	s_delay_alu instid0(VALU_DEP_1) | instskip(SKIP_1) | instid1(VALU_DEP_1)
	v_mul_lo_u32 v2, s13, v1
	s_mov_b32 s13, exec_lo
	v_mul_hi_u32 v2, v1, v2
	s_delay_alu instid0(VALU_DEP_1) | instskip(NEXT) | instid1(VALU_DEP_1)
	v_add_nc_u32_e32 v1, v1, v2
	v_mul_hi_u32 v1, v0, v1
	s_delay_alu instid0(VALU_DEP_1) | instskip(SKIP_1) | instid1(VALU_DEP_2)
	v_mul_lo_u32 v2, v1, s3
	v_add_nc_u32_e32 v3, 1, v1
	v_sub_nc_u32_e32 v2, v0, v2
	s_delay_alu instid0(VALU_DEP_1) | instskip(SKIP_1) | instid1(VALU_DEP_2)
	v_subrev_nc_u32_e32 v5, s3, v2
	v_cmp_le_u32_e32 vcc_lo, s3, v2
	v_dual_cndmask_b32 v2, v2, v5 :: v_dual_cndmask_b32 v1, v1, v3
	s_delay_alu instid0(VALU_DEP_1) | instskip(NEXT) | instid1(VALU_DEP_2)
	v_cmp_le_u32_e32 vcc_lo, s3, v2
	v_add_nc_u32_e32 v3, 1, v1
	s_delay_alu instid0(VALU_DEP_1) | instskip(NEXT) | instid1(VALU_DEP_1)
	v_cndmask_b32_e32 v1, v1, v3, vcc_lo
	v_xor_b32_e32 v1, s23, v1
	s_delay_alu instid0(VALU_DEP_1) | instskip(NEXT) | instid1(VALU_DEP_1)
	v_subrev_nc_u32_e32 v1, s23, v1
	v_ashrrev_i32_e32 v2, 31, v1
	v_mul_lo_u32 v3, v1, s22
	s_delay_alu instid0(VALU_DEP_2) | instskip(NEXT) | instid1(VALU_DEP_2)
	v_lshlrev_b64 v[7:8], 4, v[1:2]
	v_sub_nc_u32_e32 v3, v0, v3
	s_delay_alu instid0(VALU_DEP_2) | instskip(NEXT) | instid1(VALU_DEP_3)
	v_add_co_u32 v5, vcc_lo, v7, 16
	v_add_co_ci_u32_e32 v6, vcc_lo, 0, v8, vcc_lo
	s_delay_alu instid0(VALU_DEP_1) | instskip(SKIP_4) | instid1(VALU_DEP_3)
	v_cmp_gt_i64_e32 vcc_lo, s[14:15], v[5:6]
	v_cndmask_b32_e32 v6, s15, v6, vcc_lo
	v_cndmask_b32_e32 v5, s14, v5, vcc_lo
	v_add_co_u32 v7, vcc_lo, v7, v3
	v_add_co_ci_u32_e32 v8, vcc_lo, 0, v8, vcc_lo
	v_ashrrev_i32_e32 v10, 31, v5
	v_mov_b32_e32 v9, v5
	s_delay_alu instid0(VALU_DEP_1)
	v_cmpx_lt_i64_e64 v[7:8], v[9:10]
	s_cbranch_execz .LBB78_26
; %bb.17:
	v_lshlrev_b64 v[13:14], 7, v[1:2]
	v_lshlrev_b64 v[11:12], 3, v[3:4]
	s_mul_i32 s3, s22, 24
	s_mul_hi_i32 s15, s22, 24
	s_add_u32 s37, s8, s3
	s_delay_alu instid0(VALU_DEP_2) | instskip(SKIP_2) | instid1(VALU_DEP_2)
	v_add_co_u32 v4, vcc_lo, s24, v13
	v_add_co_ci_u32_e32 v15, vcc_lo, s25, v14, vcc_lo
	s_addc_u32 s24, s9, s15
	v_add_co_u32 v17, vcc_lo, s37, v4
	s_lshl_b64 s[38:39], s[22:23], 4
	s_delay_alu instid0(VALU_DEP_2)
	v_add_co_ci_u32_e32 v18, vcc_lo, s24, v15, vcc_lo
	s_lshl_b64 s[24:25], s[22:23], 5
	s_add_u32 s37, s8, s38
	s_addc_u32 s42, s9, s39
	s_lshl_b64 s[40:41], s[22:23], 3
	v_add_co_u32 v19, vcc_lo, s37, v4
	s_add_u32 s37, s8, s40
	v_add_co_ci_u32_e32 v20, vcc_lo, s42, v15, vcc_lo
	s_addc_u32 s42, s9, s41
	v_add_co_u32 v21, vcc_lo, s37, v4
	v_add_co_ci_u32_e32 v22, vcc_lo, s42, v15, vcc_lo
	v_add_co_u32 v23, vcc_lo, s8, v4
	s_add_u32 s8, s10, s3
	v_add_co_ci_u32_e32 v24, vcc_lo, s9, v15, vcc_lo
	s_addc_u32 s9, s11, s15
	v_add_co_u32 v25, vcc_lo, s8, v13
	s_add_u32 s8, s10, s38
	v_add_co_ci_u32_e32 v26, vcc_lo, s9, v14, vcc_lo
	s_addc_u32 s9, s11, s39
	;; [unrolled: 4-line block ×3, first 2 shown]
	v_add_co_u32 v30, vcc_lo, s8, v13
	v_add_co_ci_u32_e32 v31, vcc_lo, s9, v14, vcc_lo
	v_add_co_u32 v32, vcc_lo, s10, v13
	v_add_co_ci_u32_e32 v33, vcc_lo, s11, v14, vcc_lo
	;; [unrolled: 2-line block ×3, first 2 shown]
	s_add_u32 s3, s26, s3
	s_addc_u32 s8, s27, s15
	s_delay_alu instid0(VALU_DEP_2)
	v_add_co_u32 v34, vcc_lo, s3, v4
	s_add_u32 s3, s26, s38
	v_add_co_ci_u32_e32 v35, vcc_lo, s8, v13, vcc_lo
	s_addc_u32 s8, s27, s39
	v_add_co_u32 v36, vcc_lo, s3, v4
	s_add_u32 s3, s26, s40
	v_add_co_ci_u32_e32 v37, vcc_lo, s8, v13, vcc_lo
	s_addc_u32 s8, s27, s41
	v_add_co_u32 v38, vcc_lo, s3, v4
	v_add_co_ci_u32_e32 v39, vcc_lo, s8, v13, vcc_lo
	v_add_co_u32 v40, vcc_lo, s26, v4
	v_add_co_ci_u32_e32 v41, vcc_lo, s27, v13, vcc_lo
	v_mov_b32_e32 v14, v8
	v_dual_mov_b32 v4, 0 :: v_dual_mov_b32 v13, v7
	s_mul_hi_i32 s15, s22, 3
	s_mul_i32 s26, s22, 3
	s_lshl_b64 s[8:9], s[22:23], 1
	s_mov_b32 s27, 0
                                        ; implicit-def: $sgpr28
	s_branch .LBB78_21
.LBB78_18:                              ;   in Loop: Header=BB78_21 Depth=1
	s_or_b32 exec_lo, exec_lo, s38
	s_delay_alu instid0(SALU_CYCLE_1)
	s_or_not1_b32 s3, s3, exec_lo
.LBB78_19:                              ;   in Loop: Header=BB78_21 Depth=1
	s_or_b32 exec_lo, exec_lo, s37
	s_delay_alu instid0(SALU_CYCLE_1) | instskip(SKIP_1) | instid1(SALU_CYCLE_1)
	s_and_not1_b32 s28, s28, exec_lo
	s_and_b32 s3, s3, exec_lo
	s_or_b32 s28, s28, s3
.LBB78_20:                              ;   in Loop: Header=BB78_21 Depth=1
	s_or_b32 exec_lo, exec_lo, s29
	s_delay_alu instid0(SALU_CYCLE_1) | instskip(NEXT) | instid1(SALU_CYCLE_1)
	s_and_b32 s3, exec_lo, s28
	s_or_b32 s27, s3, s27
	s_delay_alu instid0(SALU_CYCLE_1)
	s_and_not1_b32 exec_lo, exec_lo, s27
	s_cbranch_execz .LBB78_25
.LBB78_21:                              ; =>This Inner Loop Header: Depth=1
	v_add_co_u32 v15, vcc_lo, v23, v11
	v_add_co_ci_u32_e32 v16, vcc_lo, v24, v12, vcc_lo
	v_add_co_u32 v42, vcc_lo, v32, v11
	v_add_co_ci_u32_e32 v43, vcc_lo, v33, v12, vcc_lo
	v_add_co_u32 v44, vcc_lo, v40, v11
	v_add_co_ci_u32_e32 v45, vcc_lo, v41, v12, vcc_lo
	global_load_b64 v[15:16], v[15:16], off
	global_load_b64 v[42:43], v[42:43], off
	;; [unrolled: 1-line block ×3, first 2 shown]
	s_or_b32 s28, s28, exec_lo
	s_mov_b32 s29, exec_lo
	s_waitcnt vmcnt(2)
	v_lshlrev_b32_e32 v48, 16, v15
	s_waitcnt vmcnt(0)
	v_and_b32_e32 v50, 0xffff0000, v44
	v_lshlrev_b32_e32 v49, 16, v44
	v_alignbit_b32 v44, v45, v44, 16
	s_delay_alu instid0(VALU_DEP_1) | instskip(SKIP_2) | instid1(VALU_DEP_1)
	v_and_b32_e32 v44, 0xffff0000, v44
	v_and_b32_e32 v46, 0xffff0000, v15
	v_alignbit_b32 v15, v16, v15, 16
	v_and_b32_e32 v15, 0xffff0000, v15
	s_delay_alu instid0(VALU_DEP_1) | instskip(SKIP_2) | instid1(VALU_DEP_2)
	v_dual_add_f32 v15, v15, v44 :: v_dual_add_f32 v46, v46, v50
	v_dual_add_f32 v48, v48, v49 :: v_dual_and_b32 v47, 0xffff0000, v42
	s_waitcnt lgkmcnt(0)
	v_dual_mul_f32 v15, v28, v15 :: v_dual_and_b32 v16, 0xffff0000, v16
	s_delay_alu instid0(VALU_DEP_3) | instskip(NEXT) | instid1(VALU_DEP_3)
	v_dual_mul_f32 v46, v28, v46 :: v_dual_and_b32 v45, 0xffff0000, v45
	v_mul_f32_e32 v48, v28, v48
	s_delay_alu instid0(VALU_DEP_3) | instskip(NEXT) | instid1(VALU_DEP_3)
	v_bfe_u32 v51, v15, 16, 1
	v_dual_add_f32 v16, v16, v45 :: v_dual_lshlrev_b32 v45, 16, v42
	s_delay_alu instid0(VALU_DEP_3) | instskip(SKIP_1) | instid1(VALU_DEP_3)
	v_bfe_u32 v44, v48, 16, 1
	v_alignbit_b32 v42, v43, v42, 16
	v_dual_mul_f32 v16, v28, v16 :: v_dual_and_b32 v43, 0xffff0000, v43
	v_bfe_u32 v49, v46, 16, 1
	s_delay_alu instid0(VALU_DEP_4)
	v_add3_u32 v44, v48, v44, 0x7fff
	v_cmp_o_f32_e32 vcc_lo, v48, v48
	v_and_b32_e32 v42, 0xffff0000, v42
	v_bfe_u32 v50, v16, 16, 1
	v_add3_u32 v49, v46, v49, 0x7fff
	v_and_b32_e32 v44, 0xffff0000, v44
	v_add3_u32 v51, v15, v51, 0x7fff
	s_delay_alu instid0(VALU_DEP_4) | instskip(NEXT) | instid1(VALU_DEP_4)
	v_add3_u32 v50, v16, v50, 0x7fff
	v_and_b32_e32 v49, 0xffff0000, v49
	s_delay_alu instid0(VALU_DEP_4)
	v_cndmask_b32_e32 v44, 0x7fc00000, v44, vcc_lo
	v_cmp_o_f32_e32 vcc_lo, v46, v46
	v_and_b32_e32 v48, 0xffff0000, v51
	v_and_b32_e32 v50, 0xffff0000, v50
	v_cndmask_b32_e32 v46, 0x7fc00000, v49, vcc_lo
	v_cmp_o_f32_e32 vcc_lo, v16, v16
	s_delay_alu instid0(VALU_DEP_3) | instskip(SKIP_1) | instid1(VALU_DEP_4)
	v_cndmask_b32_e32 v16, 0x7fc00000, v50, vcc_lo
	v_cmp_o_f32_e32 vcc_lo, v15, v15
	v_dual_mul_f32 v44, v44, v45 :: v_dual_mul_f32 v45, v46, v47
	s_delay_alu instid0(VALU_DEP_3) | instskip(SKIP_1) | instid1(VALU_DEP_3)
	v_mul_f32_e32 v43, v16, v43
	v_cndmask_b32_e32 v15, 0x7fc00000, v48, vcc_lo
	v_bfe_u32 v46, v44, 16, 1
	s_delay_alu instid0(VALU_DEP_4) | instskip(SKIP_1) | instid1(VALU_DEP_4)
	v_bfe_u32 v16, v45, 16, 1
	v_cmp_o_f32_e32 vcc_lo, v44, v44
	v_mul_f32_e32 v42, v15, v42
	s_delay_alu instid0(VALU_DEP_4) | instskip(NEXT) | instid1(VALU_DEP_4)
	v_add3_u32 v15, v44, v46, 0x7fff
	v_add3_u32 v16, v45, v16, 0x7fff
	v_bfe_u32 v46, v43, 16, 1
	s_delay_alu instid0(VALU_DEP_4) | instskip(NEXT) | instid1(VALU_DEP_4)
	v_bfe_u32 v47, v42, 16, 1
	v_and_b32_e32 v15, 0xffff0000, v15
	s_delay_alu instid0(VALU_DEP_4) | instskip(NEXT) | instid1(VALU_DEP_4)
	v_and_b32_e32 v16, 0xffff0000, v16
	v_add3_u32 v46, v43, v46, 0x7fff
	s_delay_alu instid0(VALU_DEP_4) | instskip(NEXT) | instid1(VALU_DEP_4)
	v_add3_u32 v47, v42, v47, 0x7fff
	v_cndmask_b32_e64 v44, 0x7fc00000, |v15|, vcc_lo
	v_cmp_o_f32_e32 vcc_lo, v45, v45
	s_delay_alu instid0(VALU_DEP_4) | instskip(NEXT) | instid1(VALU_DEP_4)
	v_and_b32_e32 v46, 0xffff0000, v46
	v_and_b32_e32 v47, 0xffff0000, v47
	v_cndmask_b32_e64 v45, 0x7fc00000, |v16|, vcc_lo
	v_add_co_u32 v15, vcc_lo, v13, s22
	v_add_co_ci_u32_e32 v16, vcc_lo, s23, v14, vcc_lo
	v_cmp_o_f32_e32 vcc_lo, v42, v42
	s_delay_alu instid0(VALU_DEP_4) | instskip(SKIP_3) | instid1(VALU_DEP_1)
	v_max3_f32 v4, v4, v44, v45
	v_cndmask_b32_e64 v42, 0x7fc00000, |v47|, vcc_lo
	v_cmp_o_f32_e32 vcc_lo, v43, v43
	v_cndmask_b32_e64 v43, 0x7fc00000, |v46|, vcc_lo
	v_max3_f32 v4, v4, v42, v43
	v_cmpx_lt_i64_e64 v[15:16], v[9:10]
	s_cbranch_execz .LBB78_20
; %bb.22:                               ;   in Loop: Header=BB78_21 Depth=1
	v_add_co_u32 v42, vcc_lo, v21, v11
	v_add_co_ci_u32_e32 v43, vcc_lo, v22, v12, vcc_lo
	v_add_co_u32 v44, vcc_lo, v30, v11
	v_add_co_ci_u32_e32 v45, vcc_lo, v31, v12, vcc_lo
	;; [unrolled: 2-line block ×3, first 2 shown]
	global_load_b64 v[42:43], v[42:43], off
	global_load_b64 v[44:45], v[44:45], off
	global_load_b64 v[46:47], v[46:47], off
	s_mov_b32 s3, -1
	s_mov_b32 s37, exec_lo
	s_waitcnt vmcnt(2)
	v_lshlrev_b32_e32 v50, 16, v42
	s_waitcnt vmcnt(0)
	v_lshlrev_b32_e32 v51, 16, v46
	v_and_b32_e32 v52, 0xffff0000, v46
	v_alignbit_b32 v46, v47, v46, 16
	v_and_b32_e32 v47, 0xffff0000, v47
	v_and_b32_e32 v48, 0xffff0000, v42
	v_alignbit_b32 v42, v43, v42, 16
	v_and_b32_e32 v43, 0xffff0000, v43
	s_delay_alu instid0(VALU_DEP_1) | instskip(NEXT) | instid1(VALU_DEP_4)
	v_dual_add_f32 v43, v43, v47 :: v_dual_and_b32 v46, 0xffff0000, v46
	v_add_f32_e32 v48, v48, v52
	v_lshlrev_b32_e32 v47, 16, v44
	s_delay_alu instid0(VALU_DEP_3) | instskip(NEXT) | instid1(VALU_DEP_3)
	v_mul_f32_e32 v43, v28, v43
	v_mul_f32_e32 v48, v28, v48
	v_dual_add_f32 v50, v50, v51 :: v_dual_and_b32 v49, 0xffff0000, v44
	v_alignbit_b32 v44, v45, v44, 16
	v_and_b32_e32 v45, 0xffff0000, v45
	v_and_b32_e32 v42, 0xffff0000, v42
	v_bfe_u32 v51, v48, 16, 1
	v_mul_f32_e32 v50, v28, v50
	v_bfe_u32 v52, v43, 16, 1
	v_and_b32_e32 v44, 0xffff0000, v44
	v_add_f32_e32 v42, v42, v46
	v_add3_u32 v51, v48, v51, 0x7fff
	v_bfe_u32 v46, v50, 16, 1
	v_cmp_o_f32_e32 vcc_lo, v50, v50
	v_add3_u32 v52, v43, v52, 0x7fff
	s_delay_alu instid0(VALU_DEP_4) | instskip(NEXT) | instid1(VALU_DEP_4)
	v_dual_mul_f32 v42, v28, v42 :: v_dual_and_b32 v51, 0xffff0000, v51
	v_add3_u32 v46, v50, v46, 0x7fff
	s_delay_alu instid0(VALU_DEP_3) | instskip(NEXT) | instid1(VALU_DEP_3)
	v_and_b32_e32 v52, 0xffff0000, v52
	v_bfe_u32 v53, v42, 16, 1
	s_delay_alu instid0(VALU_DEP_3) | instskip(NEXT) | instid1(VALU_DEP_2)
	v_and_b32_e32 v46, 0xffff0000, v46
	v_add3_u32 v53, v42, v53, 0x7fff
	s_delay_alu instid0(VALU_DEP_2) | instskip(SKIP_1) | instid1(VALU_DEP_3)
	v_cndmask_b32_e32 v46, 0x7fc00000, v46, vcc_lo
	v_cmp_o_f32_e32 vcc_lo, v48, v48
	v_and_b32_e32 v50, 0xffff0000, v53
	s_delay_alu instid0(VALU_DEP_3) | instskip(SKIP_2) | instid1(VALU_DEP_2)
	v_mul_f32_e32 v46, v46, v47
	v_cndmask_b32_e32 v48, 0x7fc00000, v51, vcc_lo
	v_cmp_o_f32_e32 vcc_lo, v43, v43
	v_mul_f32_e32 v47, v48, v49
	v_cndmask_b32_e32 v43, 0x7fc00000, v52, vcc_lo
	v_cmp_o_f32_e32 vcc_lo, v42, v42
	v_bfe_u32 v48, v46, 16, 1
	s_delay_alu instid0(VALU_DEP_3) | instskip(SKIP_2) | instid1(VALU_DEP_2)
	v_dual_mul_f32 v45, v43, v45 :: v_dual_cndmask_b32 v42, 0x7fc00000, v50
	v_bfe_u32 v43, v47, 16, 1
	v_cmp_o_f32_e32 vcc_lo, v46, v46
	v_add3_u32 v43, v47, v43, 0x7fff
	s_delay_alu instid0(VALU_DEP_4) | instskip(SKIP_2) | instid1(VALU_DEP_4)
	v_mul_f32_e32 v44, v42, v44
	v_add3_u32 v42, v46, v48, 0x7fff
	v_bfe_u32 v48, v45, 16, 1
	v_and_b32_e32 v43, 0xffff0000, v43
	s_delay_alu instid0(VALU_DEP_4) | instskip(NEXT) | instid1(VALU_DEP_4)
	v_bfe_u32 v49, v44, 16, 1
	v_and_b32_e32 v42, 0xffff0000, v42
	s_delay_alu instid0(VALU_DEP_4) | instskip(NEXT) | instid1(VALU_DEP_3)
	v_add3_u32 v48, v45, v48, 0x7fff
	v_add3_u32 v49, v44, v49, 0x7fff
	s_delay_alu instid0(VALU_DEP_3) | instskip(SKIP_1) | instid1(VALU_DEP_4)
	v_cndmask_b32_e64 v46, 0x7fc00000, |v42|, vcc_lo
	v_cmp_o_f32_e32 vcc_lo, v47, v47
	v_and_b32_e32 v48, 0xffff0000, v48
	s_delay_alu instid0(VALU_DEP_4) | instskip(SKIP_4) | instid1(VALU_DEP_4)
	v_and_b32_e32 v49, 0xffff0000, v49
	v_cndmask_b32_e64 v47, 0x7fc00000, |v43|, vcc_lo
	v_add_co_u32 v42, vcc_lo, s8, v13
	v_add_co_ci_u32_e32 v43, vcc_lo, s9, v14, vcc_lo
	v_cmp_o_f32_e32 vcc_lo, v44, v44
	v_max3_f32 v4, v4, v46, v47
	v_cndmask_b32_e64 v44, 0x7fc00000, |v49|, vcc_lo
	v_cmp_o_f32_e32 vcc_lo, v45, v45
	v_cndmask_b32_e64 v45, 0x7fc00000, |v48|, vcc_lo
	s_delay_alu instid0(VALU_DEP_1)
	v_max3_f32 v4, v4, v44, v45
	v_cmpx_lt_i64_e64 v[42:43], v[9:10]
	s_cbranch_execz .LBB78_19
; %bb.23:                               ;   in Loop: Header=BB78_21 Depth=1
	v_add_co_u32 v42, vcc_lo, v19, v11
	v_add_co_ci_u32_e32 v43, vcc_lo, v20, v12, vcc_lo
	v_add_co_u32 v44, vcc_lo, v27, v11
	v_add_co_ci_u32_e32 v45, vcc_lo, v29, v12, vcc_lo
	;; [unrolled: 2-line block ×3, first 2 shown]
	global_load_b64 v[42:43], v[42:43], off
	global_load_b64 v[44:45], v[44:45], off
	;; [unrolled: 1-line block ×3, first 2 shown]
	s_waitcnt vmcnt(2)
	v_lshlrev_b32_e32 v50, 16, v42
	s_waitcnt vmcnt(0)
	v_lshlrev_b32_e32 v51, 16, v46
	v_and_b32_e32 v52, 0xffff0000, v46
	v_alignbit_b32 v46, v47, v46, 16
	v_and_b32_e32 v47, 0xffff0000, v47
	v_and_b32_e32 v48, 0xffff0000, v42
	v_alignbit_b32 v42, v43, v42, 16
	v_and_b32_e32 v43, 0xffff0000, v43
	s_delay_alu instid0(VALU_DEP_1) | instskip(NEXT) | instid1(VALU_DEP_4)
	v_dual_add_f32 v43, v43, v47 :: v_dual_and_b32 v46, 0xffff0000, v46
	v_add_f32_e32 v48, v48, v52
	v_lshlrev_b32_e32 v47, 16, v44
	s_delay_alu instid0(VALU_DEP_3) | instskip(NEXT) | instid1(VALU_DEP_3)
	v_mul_f32_e32 v43, v28, v43
	v_mul_f32_e32 v48, v28, v48
	v_dual_add_f32 v50, v50, v51 :: v_dual_and_b32 v49, 0xffff0000, v44
	v_alignbit_b32 v44, v45, v44, 16
	v_and_b32_e32 v45, 0xffff0000, v45
	v_and_b32_e32 v42, 0xffff0000, v42
	v_bfe_u32 v51, v48, 16, 1
	v_mul_f32_e32 v50, v28, v50
	v_bfe_u32 v52, v43, 16, 1
	v_and_b32_e32 v44, 0xffff0000, v44
	v_add_f32_e32 v42, v42, v46
	v_add3_u32 v51, v48, v51, 0x7fff
	v_bfe_u32 v46, v50, 16, 1
	v_cmp_o_f32_e32 vcc_lo, v50, v50
	v_add3_u32 v52, v43, v52, 0x7fff
	s_delay_alu instid0(VALU_DEP_4) | instskip(NEXT) | instid1(VALU_DEP_4)
	v_dual_mul_f32 v42, v28, v42 :: v_dual_and_b32 v51, 0xffff0000, v51
	v_add3_u32 v46, v50, v46, 0x7fff
	s_delay_alu instid0(VALU_DEP_3) | instskip(NEXT) | instid1(VALU_DEP_3)
	v_and_b32_e32 v52, 0xffff0000, v52
	v_bfe_u32 v53, v42, 16, 1
	s_delay_alu instid0(VALU_DEP_3) | instskip(NEXT) | instid1(VALU_DEP_2)
	v_and_b32_e32 v46, 0xffff0000, v46
	v_add3_u32 v53, v42, v53, 0x7fff
	s_delay_alu instid0(VALU_DEP_2) | instskip(SKIP_1) | instid1(VALU_DEP_3)
	v_cndmask_b32_e32 v46, 0x7fc00000, v46, vcc_lo
	v_cmp_o_f32_e32 vcc_lo, v48, v48
	v_and_b32_e32 v50, 0xffff0000, v53
	s_delay_alu instid0(VALU_DEP_3) | instskip(SKIP_2) | instid1(VALU_DEP_2)
	v_mul_f32_e32 v46, v46, v47
	v_cndmask_b32_e32 v48, 0x7fc00000, v51, vcc_lo
	v_cmp_o_f32_e32 vcc_lo, v43, v43
	v_mul_f32_e32 v47, v48, v49
	v_cndmask_b32_e32 v43, 0x7fc00000, v52, vcc_lo
	v_cmp_o_f32_e32 vcc_lo, v42, v42
	v_bfe_u32 v48, v46, 16, 1
	s_delay_alu instid0(VALU_DEP_3) | instskip(SKIP_2) | instid1(VALU_DEP_2)
	v_dual_mul_f32 v43, v43, v45 :: v_dual_cndmask_b32 v42, 0x7fc00000, v50
	v_bfe_u32 v45, v47, 16, 1
	v_cmp_o_f32_e32 vcc_lo, v46, v46
	v_add3_u32 v45, v47, v45, 0x7fff
	s_delay_alu instid0(VALU_DEP_4) | instskip(SKIP_2) | instid1(VALU_DEP_4)
	v_mul_f32_e32 v42, v42, v44
	v_add3_u32 v44, v46, v48, 0x7fff
	v_bfe_u32 v48, v43, 16, 1
	v_and_b32_e32 v45, 0xffff0000, v45
	s_delay_alu instid0(VALU_DEP_4) | instskip(NEXT) | instid1(VALU_DEP_4)
	v_bfe_u32 v49, v42, 16, 1
	v_and_b32_e32 v44, 0xffff0000, v44
	s_delay_alu instid0(VALU_DEP_4) | instskip(NEXT) | instid1(VALU_DEP_3)
	v_add3_u32 v48, v43, v48, 0x7fff
	v_add3_u32 v49, v42, v49, 0x7fff
	s_delay_alu instid0(VALU_DEP_3) | instskip(SKIP_1) | instid1(VALU_DEP_4)
	v_cndmask_b32_e64 v44, 0x7fc00000, |v44|, vcc_lo
	v_cmp_o_f32_e32 vcc_lo, v47, v47
	v_and_b32_e32 v47, 0xffff0000, v48
	s_delay_alu instid0(VALU_DEP_4) | instskip(SKIP_4) | instid1(VALU_DEP_4)
	v_and_b32_e32 v46, 0xffff0000, v49
	v_cndmask_b32_e64 v45, 0x7fc00000, |v45|, vcc_lo
	v_add_co_u32 v13, vcc_lo, s26, v13
	v_add_co_ci_u32_e32 v14, vcc_lo, s15, v14, vcc_lo
	v_cmp_o_f32_e32 vcc_lo, v42, v42
	v_max3_f32 v4, v4, v44, v45
	v_cndmask_b32_e64 v42, 0x7fc00000, |v46|, vcc_lo
	v_cmp_o_f32_e32 vcc_lo, v43, v43
	v_cndmask_b32_e64 v43, 0x7fc00000, |v47|, vcc_lo
	v_cmp_lt_i64_e32 vcc_lo, v[13:14], v[9:10]
                                        ; implicit-def: $vgpr13_vgpr14
	s_delay_alu instid0(VALU_DEP_2) | instskip(SKIP_1) | instid1(SALU_CYCLE_1)
	v_max3_f32 v4, v4, v42, v43
	s_and_saveexec_b32 s38, vcc_lo
	s_xor_b32 s38, exec_lo, s38
	s_cbranch_execz .LBB78_18
; %bb.24:                               ;   in Loop: Header=BB78_21 Depth=1
	v_add_co_u32 v13, vcc_lo, v17, v11
	v_add_co_ci_u32_e32 v14, vcc_lo, v18, v12, vcc_lo
	v_add_co_u32 v42, vcc_lo, v25, v11
	v_add_co_ci_u32_e32 v43, vcc_lo, v26, v12, vcc_lo
	v_add_co_u32 v44, vcc_lo, v34, v11
	v_add_co_ci_u32_e32 v45, vcc_lo, v35, v12, vcc_lo
	global_load_b64 v[13:14], v[13:14], off
	global_load_b64 v[42:43], v[42:43], off
	;; [unrolled: 1-line block ×3, first 2 shown]
	v_add_co_u32 v17, vcc_lo, v17, s24
	v_add_co_ci_u32_e32 v18, vcc_lo, s25, v18, vcc_lo
	v_add_co_u32 v19, vcc_lo, v19, s24
	v_add_co_ci_u32_e32 v20, vcc_lo, s25, v20, vcc_lo
	;; [unrolled: 2-line block ×10, first 2 shown]
	s_add_u32 s3, s22, s22
	s_addc_u32 s39, s23, s23
	s_add_u32 s3, s3, s22
	s_addc_u32 s39, s39, s23
	s_waitcnt vmcnt(2)
	v_lshlrev_b32_e32 v48, 16, v13
	s_waitcnt vmcnt(0)
	v_and_b32_e32 v50, 0xffff0000, v44
	v_lshlrev_b32_e32 v49, 16, v44
	v_alignbit_b32 v44, v45, v44, 16
	s_delay_alu instid0(VALU_DEP_1) | instskip(SKIP_2) | instid1(VALU_DEP_1)
	v_and_b32_e32 v44, 0xffff0000, v44
	v_and_b32_e32 v46, 0xffff0000, v13
	v_alignbit_b32 v13, v14, v13, 16
	v_and_b32_e32 v13, 0xffff0000, v13
	s_delay_alu instid0(VALU_DEP_1) | instskip(SKIP_1) | instid1(VALU_DEP_2)
	v_dual_add_f32 v13, v13, v44 :: v_dual_add_f32 v46, v46, v50
	v_dual_add_f32 v48, v48, v49 :: v_dual_and_b32 v47, 0xffff0000, v42
	v_dual_mul_f32 v13, v28, v13 :: v_dual_and_b32 v14, 0xffff0000, v14
	s_delay_alu instid0(VALU_DEP_3) | instskip(NEXT) | instid1(VALU_DEP_3)
	v_dual_mul_f32 v46, v28, v46 :: v_dual_and_b32 v45, 0xffff0000, v45
	v_mul_f32_e32 v48, v28, v48
	s_delay_alu instid0(VALU_DEP_3) | instskip(NEXT) | instid1(VALU_DEP_3)
	v_bfe_u32 v51, v13, 16, 1
	v_dual_add_f32 v14, v14, v45 :: v_dual_lshlrev_b32 v45, 16, v42
	s_delay_alu instid0(VALU_DEP_3) | instskip(SKIP_2) | instid1(VALU_DEP_4)
	v_bfe_u32 v44, v48, 16, 1
	v_bfe_u32 v49, v46, 16, 1
	v_alignbit_b32 v42, v43, v42, 16
	v_dual_mul_f32 v14, v28, v14 :: v_dual_and_b32 v43, 0xffff0000, v43
	s_delay_alu instid0(VALU_DEP_4) | instskip(NEXT) | instid1(VALU_DEP_4)
	v_add3_u32 v44, v48, v44, 0x7fff
	v_add3_u32 v49, v46, v49, 0x7fff
	v_cmp_o_f32_e32 vcc_lo, v48, v48
	s_delay_alu instid0(VALU_DEP_4)
	v_bfe_u32 v50, v14, 16, 1
	v_and_b32_e32 v42, 0xffff0000, v42
	v_and_b32_e32 v44, 0xffff0000, v44
	;; [unrolled: 1-line block ×3, first 2 shown]
	v_add3_u32 v51, v13, v51, 0x7fff
	v_add3_u32 v50, v14, v50, 0x7fff
	s_delay_alu instid0(VALU_DEP_4) | instskip(SKIP_1) | instid1(VALU_DEP_4)
	v_cndmask_b32_e32 v44, 0x7fc00000, v44, vcc_lo
	v_cmp_o_f32_e32 vcc_lo, v46, v46
	v_and_b32_e32 v48, 0xffff0000, v51
	s_delay_alu instid0(VALU_DEP_4) | instskip(SKIP_2) | instid1(VALU_DEP_3)
	v_and_b32_e32 v50, 0xffff0000, v50
	v_cndmask_b32_e32 v46, 0x7fc00000, v49, vcc_lo
	v_cmp_o_f32_e32 vcc_lo, v14, v14
	v_cndmask_b32_e32 v14, 0x7fc00000, v50, vcc_lo
	v_cmp_o_f32_e32 vcc_lo, v13, v13
	s_delay_alu instid0(VALU_DEP_4) | instskip(NEXT) | instid1(VALU_DEP_3)
	v_dual_mul_f32 v44, v44, v45 :: v_dual_mul_f32 v45, v46, v47
	v_mul_f32_e32 v43, v14, v43
	v_cndmask_b32_e32 v13, 0x7fc00000, v48, vcc_lo
	s_delay_alu instid0(VALU_DEP_3) | instskip(NEXT) | instid1(VALU_DEP_4)
	v_bfe_u32 v14, v44, 16, 1
	v_bfe_u32 v46, v45, 16, 1
	v_cmp_o_f32_e32 vcc_lo, v44, v44
	s_delay_alu instid0(VALU_DEP_4) | instskip(NEXT) | instid1(VALU_DEP_4)
	v_mul_f32_e32 v42, v13, v42
	v_add3_u32 v14, v44, v14, 0x7fff
	v_bfe_u32 v13, v43, 16, 1
	v_add3_u32 v46, v45, v46, 0x7fff
	s_delay_alu instid0(VALU_DEP_4) | instskip(NEXT) | instid1(VALU_DEP_4)
	v_bfe_u32 v47, v42, 16, 1
	v_and_b32_e32 v14, 0xffff0000, v14
	s_delay_alu instid0(VALU_DEP_4) | instskip(NEXT) | instid1(VALU_DEP_4)
	v_add3_u32 v13, v43, v13, 0x7fff
	v_and_b32_e32 v46, 0xffff0000, v46
	s_delay_alu instid0(VALU_DEP_4) | instskip(NEXT) | instid1(VALU_DEP_4)
	v_add3_u32 v47, v42, v47, 0x7fff
	v_cndmask_b32_e64 v44, 0x7fc00000, |v14|, vcc_lo
	v_cmp_o_f32_e32 vcc_lo, v45, v45
	v_and_b32_e32 v48, 0xffff0000, v13
	v_cndmask_b32_e64 v45, 0x7fc00000, |v46|, vcc_lo
	v_add_co_u32 v13, vcc_lo, s3, v15
	v_add_co_ci_u32_e32 v14, vcc_lo, s39, v16, vcc_lo
	v_cmp_o_f32_e32 vcc_lo, v43, v43
	v_and_b32_e32 v15, 0xffff0000, v47
	v_max3_f32 v4, v4, v44, v45
	v_add_co_u32 v40, s3, v40, s24
	v_cndmask_b32_e64 v16, 0x7fc00000, |v48|, vcc_lo
	v_cmp_o_f32_e32 vcc_lo, v42, v42
	v_add_co_ci_u32_e64 v41, s3, s25, v41, s3
	v_cndmask_b32_e64 v15, 0x7fc00000, |v15|, vcc_lo
	v_add_co_u32 v38, vcc_lo, v38, s24
	v_add_co_ci_u32_e32 v39, vcc_lo, s25, v39, vcc_lo
	v_cmp_ge_i64_e32 vcc_lo, v[13:14], v[9:10]
	s_delay_alu instid0(VALU_DEP_4)
	v_max3_f32 v4, v4, v15, v16
	s_or_not1_b32 s3, vcc_lo, exec_lo
	s_branch .LBB78_18
.LBB78_25:
	s_or_b32 exec_lo, exec_lo, s27
.LBB78_26:
	s_delay_alu instid0(SALU_CYCLE_1)
	s_or_b32 exec_lo, exec_lo, s13
	s_lshr_b32 s15, s35, 5
	v_lshlrev_b32_e32 v29, 2, v0
	v_cvt_f32_u32_e32 v9, s15
	s_sub_i32 s8, 0, s15
	s_add_i32 s9, s12, s15
	s_delay_alu instid0(SALU_CYCLE_1) | instskip(NEXT) | instid1(VALU_DEP_1)
	s_add_i32 s9, s9, -1
	v_rcp_iflag_f32_e32 v9, v9
	s_abs_i32 s13, s9
	s_ashr_i32 s9, s9, 31
	ds_store_b32 v29, v4
	s_waitcnt lgkmcnt(0)
	s_barrier
	buffer_gl0_inv
	v_mul_f32_e32 v9, 0x4f7ffffe, v9
	s_delay_alu instid0(VALU_DEP_1) | instskip(NEXT) | instid1(VALU_DEP_1)
	v_cvt_u32_f32_e32 v9, v9
	v_readfirstlane_b32 s3, v9
	s_delay_alu instid0(VALU_DEP_1) | instskip(NEXT) | instid1(SALU_CYCLE_1)
	s_mul_i32 s8, s8, s3
	s_mul_hi_u32 s8, s3, s8
	s_delay_alu instid0(SALU_CYCLE_1) | instskip(NEXT) | instid1(SALU_CYCLE_1)
	s_add_i32 s3, s3, s8
	s_mul_hi_u32 s3, s13, s3
	s_delay_alu instid0(SALU_CYCLE_1) | instskip(NEXT) | instid1(SALU_CYCLE_1)
	s_mul_i32 s8, s3, s15
	s_sub_i32 s8, s13, s8
	s_add_i32 s13, s3, 1
	s_sub_i32 s24, s8, s15
	s_cmp_ge_u32 s8, s15
	s_cselect_b32 s3, s13, s3
	s_cselect_b32 s8, s24, s8
	s_add_i32 s13, s3, 1
	s_cmp_ge_u32 s8, s15
	s_cselect_b32 s3, s13, s3
	s_delay_alu instid0(SALU_CYCLE_1) | instskip(NEXT) | instid1(SALU_CYCLE_1)
	s_xor_b32 s3, s3, s9
	s_sub_i32 s8, s3, s9
	s_delay_alu instid0(SALU_CYCLE_1) | instskip(NEXT) | instid1(SALU_CYCLE_1)
	s_ashr_i32 s9, s8, 31
	v_cmp_lt_i64_e64 s3, s[8:9], 1
	s_delay_alu instid0(VALU_DEP_1)
	s_and_b32 vcc_lo, exec_lo, s3
	s_cbranch_vccnz .LBB78_46
; %bb.27:
	v_lshrrev_b32_e32 v9, 5, v0
	v_and_b32_e32 v4, 31, v0
	s_ashr_i32 s13, s12, 31
	s_mov_b64 s[24:25], 0
	s_mov_b64 s[26:27], src_shared_base
	v_mul_lo_u32 v19, s22, v9
	v_add_co_u32 v11, s3, v4, 16
	s_delay_alu instid0(VALU_DEP_1) | instskip(SKIP_1) | instid1(VALU_DEP_1)
	v_add_co_ci_u32_e64 v12, null, 0, 0, s3
	v_add_co_u32 v13, s3, v4, 8
	v_add_co_ci_u32_e64 v14, null, 0, 0, s3
	v_add_co_u32 v15, s3, v4, 4
	v_dual_mov_b32 v10, 0 :: v_dual_lshlrev_b32 v21, 2, v19
	v_lshlrev_b32_e32 v22, 2, v4
	v_add_co_ci_u32_e64 v16, null, 0, 0, s3
	v_add_co_u32 v17, s3, v4, 2
	s_delay_alu instid0(VALU_DEP_1) | instskip(SKIP_1) | instid1(VALU_DEP_1)
	v_add_co_ci_u32_e64 v18, null, 0, 0, s3
	v_add_co_u32 v19, s3, v4, 1
	v_add_co_ci_u32_e64 v20, null, 0, 0, s3
	v_add3_u32 v30, v21, v22, 0x80
	s_mul_i32 s3, s22, s15
	s_delay_alu instid0(SALU_CYCLE_1)
	s_lshl_b32 s28, s3, 2
	s_branch .LBB78_30
.LBB78_28:                              ;   in Loop: Header=BB78_30 Depth=1
	s_or_b32 exec_lo, exec_lo, s3
	v_mov_b32_e32 v22, s27
	flat_load_b32 v21, v[21:22] glc dlc
	s_waitcnt vmcnt(0)
.LBB78_29:                              ;   in Loop: Header=BB78_30 Depth=1
	s_or_b32 exec_lo, exec_lo, s26
	s_add_u32 s24, s24, 1
	v_add_nc_u32_e32 v30, s28, v30
	s_addc_u32 s25, s25, 0
	s_delay_alu instid0(SALU_CYCLE_1)
	s_cmp_eq_u64 s[24:25], s[8:9]
	s_cbranch_scc1 .LBB78_46
.LBB78_30:                              ; =>This Loop Header: Depth=1
                                        ;     Child Loop BB78_33 Depth 2
	s_waitcnt lgkmcnt(0)
	v_mad_u64_u32 v[21:22], null, s24, s15, v[9:10]
	s_mov_b32 s26, exec_lo
	s_delay_alu instid0(VALU_DEP_1) | instskip(NEXT) | instid1(VALU_DEP_1)
	v_mad_u64_u32 v[23:24], null, s25, s15, v[22:23]
	v_mov_b32_e32 v22, v23
	s_delay_alu instid0(VALU_DEP_1)
	v_cmpx_gt_i64_e64 s[12:13], v[21:22]
	s_cbranch_execz .LBB78_29
; %bb.31:                               ;   in Loop: Header=BB78_30 Depth=1
	v_mul_lo_u32 v24, v22, s22
	v_mul_lo_u32 v25, v21, s23
	v_mad_u64_u32 v[22:23], null, v21, s22, 0
	s_delay_alu instid0(VALU_DEP_1) | instskip(NEXT) | instid1(VALU_DEP_2)
	v_add3_u32 v23, v23, v25, v24
	v_add_co_u32 v24, vcc_lo, v22, s22
	v_add_co_u32 v31, s3, v22, v4
	s_delay_alu instid0(VALU_DEP_3) | instskip(SKIP_2) | instid1(VALU_DEP_2)
	v_add_co_ci_u32_e32 v25, vcc_lo, s23, v23, vcc_lo
	v_add_co_ci_u32_e64 v21, s3, 0, v23, s3
	s_mov_b32 s3, exec_lo
	v_cmp_gt_i64_e32 vcc_lo, s[20:21], v[24:25]
	v_cndmask_b32_e32 v25, s21, v25, vcc_lo
	v_cndmask_b32_e32 v24, s20, v24, vcc_lo
	v_add_co_u32 v26, vcc_lo, v31, 32
	v_add_co_ci_u32_e32 v27, vcc_lo, 0, v21, vcc_lo
	v_lshlrev_b32_e32 v21, 2, v31
	s_delay_alu instid0(VALU_DEP_2)
	v_cmpx_lt_i64_e64 v[26:27], v[24:25]
	s_cbranch_execz .LBB78_34
; %bb.32:                               ;   in Loop: Header=BB78_30 Depth=1
	ds_load_b32 v33, v21
	v_mov_b32_e32 v32, v30
	s_mov_b32 s29, 0
.LBB78_33:                              ;   Parent Loop BB78_30 Depth=1
                                        ; =>  This Inner Loop Header: Depth=2
	ds_load_b32 v34, v32
	v_add_co_u32 v26, vcc_lo, v26, 32
	v_add_co_ci_u32_e32 v27, vcc_lo, 0, v27, vcc_lo
	s_waitcnt lgkmcnt(1)
	v_dual_max_f32 v33, v33, v33 :: v_dual_add_nc_u32 v32, 0x80, v32
	s_delay_alu instid0(VALU_DEP_2) | instskip(SKIP_3) | instid1(VALU_DEP_1)
	v_cmp_ge_i64_e32 vcc_lo, v[26:27], v[24:25]
	s_or_b32 s29, vcc_lo, s29
	s_waitcnt lgkmcnt(0)
	v_max_f32_e32 v34, v34, v34
	v_max_f32_e32 v33, v33, v34
	ds_store_b32 v21, v33
	s_and_not1_b32 exec_lo, exec_lo, s29
	s_cbranch_execnz .LBB78_33
.LBB78_34:                              ;   in Loop: Header=BB78_30 Depth=1
	s_or_b32 exec_lo, exec_lo, s3
	v_sub_co_u32 v22, vcc_lo, v24, v22
	v_sub_co_ci_u32_e32 v23, vcc_lo, v25, v23, vcc_lo
	s_mov_b32 s3, exec_lo
	s_delay_alu instid0(VALU_DEP_1) | instskip(SKIP_1) | instid1(VALU_DEP_1)
	v_cmp_gt_i64_e32 vcc_lo, 32, v[22:23]
	v_dual_cndmask_b32 v24, 0, v23 :: v_dual_cndmask_b32 v23, 32, v22
	v_cmpx_lt_i64_e64 v[11:12], v[23:24]
	s_cbranch_execz .LBB78_36
; %bb.35:                               ;   in Loop: Header=BB78_30 Depth=1
	v_dual_mov_b32 v22, s27 :: v_dual_add_nc_u32 v25, 64, v21
	v_mov_b32_e32 v26, s27
	flat_load_b32 v27, v[21:22] glc dlc
	s_waitcnt vmcnt(0)
	flat_load_b32 v25, v[25:26] glc dlc
	s_waitcnt vmcnt(0) lgkmcnt(0)
	v_dual_max_f32 v26, v27, v27 :: v_dual_max_f32 v25, v25, v25
	s_delay_alu instid0(VALU_DEP_1)
	v_max_f32_e32 v25, v26, v25
	flat_store_b32 v[21:22], v25 dlc
	s_waitcnt_vscnt null, 0x0
.LBB78_36:                              ;   in Loop: Header=BB78_30 Depth=1
	s_or_b32 exec_lo, exec_lo, s3
	s_delay_alu instid0(SALU_CYCLE_1)
	s_mov_b32 s3, exec_lo
	v_cmpx_lt_i64_e64 v[13:14], v[23:24]
	s_cbranch_execz .LBB78_38
; %bb.37:                               ;   in Loop: Header=BB78_30 Depth=1
	v_dual_mov_b32 v22, s27 :: v_dual_add_nc_u32 v25, 32, v21
	v_mov_b32_e32 v26, s27
	flat_load_b32 v27, v[21:22] glc dlc
	s_waitcnt vmcnt(0)
	flat_load_b32 v25, v[25:26] glc dlc
	s_waitcnt vmcnt(0) lgkmcnt(0)
	v_dual_max_f32 v26, v27, v27 :: v_dual_max_f32 v25, v25, v25
	s_delay_alu instid0(VALU_DEP_1)
	v_max_f32_e32 v25, v26, v25
	flat_store_b32 v[21:22], v25 dlc
	s_waitcnt_vscnt null, 0x0
.LBB78_38:                              ;   in Loop: Header=BB78_30 Depth=1
	s_or_b32 exec_lo, exec_lo, s3
	s_delay_alu instid0(SALU_CYCLE_1)
	s_mov_b32 s3, exec_lo
	v_cmpx_ge_i64_e64 v[15:16], v[23:24]
	s_xor_b32 s3, exec_lo, s3
; %bb.39:                               ;   in Loop: Header=BB78_30 Depth=1
                                        ; implicit-def: $vgpr21
; %bb.40:                               ;   in Loop: Header=BB78_30 Depth=1
	s_delay_alu instid0(SALU_CYCLE_1)
	s_and_not1_saveexec_b32 s3, s3
	s_cbranch_execz .LBB78_42
; %bb.41:                               ;   in Loop: Header=BB78_30 Depth=1
	v_dual_mov_b32 v22, s27 :: v_dual_add_nc_u32 v25, 16, v21
	v_mov_b32_e32 v26, s27
	flat_load_b32 v27, v[21:22] glc dlc
	s_waitcnt vmcnt(0)
	flat_load_b32 v25, v[25:26] glc dlc
	s_waitcnt vmcnt(0) lgkmcnt(0)
	v_dual_max_f32 v26, v27, v27 :: v_dual_max_f32 v25, v25, v25
	s_delay_alu instid0(VALU_DEP_1)
	v_max_f32_e32 v25, v26, v25
	flat_store_b32 v[21:22], v25 dlc
	s_waitcnt_vscnt null, 0x0
.LBB78_42:                              ;   in Loop: Header=BB78_30 Depth=1
	s_or_b32 exec_lo, exec_lo, s3
	v_lshlrev_b32_e32 v21, 2, v31
	s_mov_b32 s3, exec_lo
	v_cmpx_lt_i64_e64 v[17:18], v[23:24]
	s_cbranch_execz .LBB78_44
; %bb.43:                               ;   in Loop: Header=BB78_30 Depth=1
	s_delay_alu instid0(VALU_DEP_2)
	v_dual_mov_b32 v22, s27 :: v_dual_add_nc_u32 v25, 8, v21
	v_mov_b32_e32 v26, s27
	flat_load_b32 v27, v[21:22] glc dlc
	s_waitcnt vmcnt(0)
	flat_load_b32 v25, v[25:26] glc dlc
	s_waitcnt vmcnt(0) lgkmcnt(0)
	v_dual_max_f32 v26, v27, v27 :: v_dual_max_f32 v25, v25, v25
	s_delay_alu instid0(VALU_DEP_1)
	v_max_f32_e32 v25, v26, v25
	flat_store_b32 v[21:22], v25 dlc
	s_waitcnt_vscnt null, 0x0
.LBB78_44:                              ;   in Loop: Header=BB78_30 Depth=1
	s_or_b32 exec_lo, exec_lo, s3
	s_delay_alu instid0(SALU_CYCLE_1)
	s_mov_b32 s3, exec_lo
	v_cmpx_lt_i64_e64 v[19:20], v[23:24]
	s_cbranch_execz .LBB78_28
; %bb.45:                               ;   in Loop: Header=BB78_30 Depth=1
	v_dual_mov_b32 v22, s27 :: v_dual_add_nc_u32 v23, 4, v21
	v_mov_b32_e32 v24, s27
	flat_load_b32 v25, v[21:22] glc dlc
	s_waitcnt vmcnt(0)
	flat_load_b32 v23, v[23:24] glc dlc
	s_waitcnt vmcnt(0) lgkmcnt(0)
	v_dual_max_f32 v24, v25, v25 :: v_dual_max_f32 v23, v23, v23
	s_delay_alu instid0(VALU_DEP_1)
	v_max_f32_e32 v23, v24, v23
	flat_store_b32 v[21:22], v23 dlc
	s_waitcnt_vscnt null, 0x0
	s_branch .LBB78_28
.LBB78_46:
	s_load_b64 s[8:9], s[0:1], 0x40
	v_cmp_lt_i64_e32 vcc_lo, v[7:8], v[5:6]
	v_cmp_eq_u32_e64 s3, 0, v3
	s_waitcnt lgkmcnt(0)
	s_barrier
	buffer_gl0_inv
	s_and_b32 s12, s3, vcc_lo
	s_delay_alu instid0(SALU_CYCLE_1)
	s_and_saveexec_b32 s3, s12
	s_cbranch_execz .LBB78_53
; %bb.47:
	s_load_b64 s[0:1], s[0:1], 0x20
	ds_load_b32 v5, v29
	s_waitcnt lgkmcnt(0)
	s_cmp_eq_u64 s[0:1], 0
	s_cbranch_scc1 .LBB78_49
; %bb.48:
	s_load_b32 s0, s[0:1], 0x0
	v_max_f32_e32 v3, v5, v5
	s_waitcnt lgkmcnt(0)
	v_max_f32_e64 v4, s0, s0
	s_delay_alu instid0(VALU_DEP_1)
	v_min_f32_e32 v5, v3, v4
.LBB78_49:
	s_add_u32 s0, s8, s36
	s_addc_u32 s1, s9, 0
	s_add_u32 s12, s0, -1
	s_addc_u32 s13, s1, -1
	s_delay_alu instid0(SALU_CYCLE_1) | instskip(SKIP_1) | instid1(SALU_CYCLE_1)
	s_or_b64 s[20:21], s[12:13], s[8:9]
	s_mov_b32 s20, 0
	s_cmp_lg_u64 s[20:21], 0
	s_cbranch_scc0 .LBB78_162
; %bb.50:
	s_ashr_i32 s0, s9, 31
	s_delay_alu instid0(SALU_CYCLE_1) | instskip(SKIP_2) | instid1(SALU_CYCLE_1)
	s_add_u32 s22, s8, s0
	s_mov_b32 s1, s0
	s_addc_u32 s23, s9, s0
	s_xor_b64 s[0:1], s[22:23], s[0:1]
	s_delay_alu instid0(SALU_CYCLE_1) | instskip(SKIP_3) | instid1(VALU_DEP_1)
	v_cvt_f32_u32_e32 v3, s0
	v_cvt_f32_u32_e32 v4, s1
	s_sub_u32 s22, 0, s0
	s_subb_u32 s23, 0, s1
	v_fmamk_f32 v3, v4, 0x4f800000, v3
	s_delay_alu instid0(VALU_DEP_1) | instskip(SKIP_2) | instid1(VALU_DEP_1)
	v_rcp_f32_e32 v3, v3
	s_waitcnt_depctr 0xfff
	v_mul_f32_e32 v3, 0x5f7ffffc, v3
	v_mul_f32_e32 v4, 0x2f800000, v3
	s_delay_alu instid0(VALU_DEP_1) | instskip(NEXT) | instid1(VALU_DEP_1)
	v_trunc_f32_e32 v4, v4
	v_fmamk_f32 v3, v4, 0xcf800000, v3
	v_cvt_u32_f32_e32 v4, v4
	s_delay_alu instid0(VALU_DEP_2) | instskip(NEXT) | instid1(VALU_DEP_2)
	v_cvt_u32_f32_e32 v3, v3
	v_readfirstlane_b32 s15, v4
	s_delay_alu instid0(VALU_DEP_2) | instskip(NEXT) | instid1(VALU_DEP_2)
	v_readfirstlane_b32 s21, v3
	s_mul_i32 s24, s22, s15
	s_delay_alu instid0(VALU_DEP_1)
	s_mul_hi_u32 s26, s22, s21
	s_mul_i32 s25, s23, s21
	s_add_i32 s24, s26, s24
	s_mul_i32 s27, s22, s21
	s_add_i32 s24, s24, s25
	s_mul_hi_u32 s26, s21, s27
	s_mul_hi_u32 s28, s15, s27
	s_mul_i32 s25, s15, s27
	s_mul_hi_u32 s27, s21, s24
	s_mul_i32 s21, s21, s24
	s_mul_hi_u32 s29, s15, s24
	s_add_u32 s21, s26, s21
	s_addc_u32 s26, 0, s27
	s_add_u32 s21, s21, s25
	s_mul_i32 s24, s15, s24
	s_addc_u32 s21, s26, s28
	s_addc_u32 s25, s29, 0
	s_add_u32 s21, s21, s24
	s_addc_u32 s24, 0, s25
	v_add_co_u32 v3, s21, v3, s21
	s_delay_alu instid0(VALU_DEP_1) | instskip(SKIP_1) | instid1(VALU_DEP_1)
	s_cmp_lg_u32 s21, 0
	s_addc_u32 s15, s15, s24
	v_readfirstlane_b32 s21, v3
	s_mul_i32 s24, s22, s15
	s_delay_alu instid0(VALU_DEP_1)
	s_mul_hi_u32 s25, s22, s21
	s_mul_i32 s23, s23, s21
	s_add_i32 s24, s25, s24
	s_mul_i32 s22, s22, s21
	s_add_i32 s24, s24, s23
	s_mul_hi_u32 s25, s15, s22
	s_mul_i32 s26, s15, s22
	s_mul_hi_u32 s22, s21, s22
	s_mul_hi_u32 s27, s21, s24
	s_mul_i32 s21, s21, s24
	s_mul_hi_u32 s23, s15, s24
	s_add_u32 s21, s22, s21
	s_addc_u32 s22, 0, s27
	s_add_u32 s21, s21, s26
	s_mul_i32 s24, s15, s24
	s_addc_u32 s21, s22, s25
	s_addc_u32 s22, s23, 0
	s_add_u32 s21, s21, s24
	s_addc_u32 s22, 0, s22
	v_add_co_u32 v3, s21, v3, s21
	s_delay_alu instid0(VALU_DEP_1) | instskip(SKIP_2) | instid1(VALU_DEP_1)
	s_cmp_lg_u32 s21, 0
	s_addc_u32 s15, s15, s22
	s_ashr_i32 s22, s13, 31
	v_readfirstlane_b32 s21, v3
	s_add_u32 s24, s12, s22
	s_mov_b32 s23, s22
	s_addc_u32 s25, s13, s22
	s_delay_alu instid0(SALU_CYCLE_1) | instskip(NEXT) | instid1(SALU_CYCLE_1)
	s_xor_b64 s[24:25], s[24:25], s[22:23]
	s_mul_i32 s26, s24, s15
	s_mul_hi_u32 s27, s24, s21
	s_mul_hi_u32 s23, s24, s15
	;; [unrolled: 1-line block ×3, first 2 shown]
	s_mul_i32 s21, s25, s21
	s_add_u32 s26, s27, s26
	s_addc_u32 s23, 0, s23
	s_mul_hi_u32 s28, s25, s15
	s_add_u32 s21, s26, s21
	s_mul_i32 s15, s25, s15
	s_addc_u32 s21, s23, s29
	s_addc_u32 s23, s28, 0
	s_add_u32 s15, s21, s15
	s_addc_u32 s21, 0, s23
	s_mul_hi_u32 s23, s0, s15
	s_mul_i32 s21, s0, s21
	s_mul_i32 s26, s1, s15
	;; [unrolled: 1-line block ×3, first 2 shown]
	s_add_i32 s21, s23, s21
	v_sub_co_u32 v3, s15, s24, s15
	s_add_i32 s21, s21, s26
	s_delay_alu instid0(SALU_CYCLE_1) | instskip(SKIP_1) | instid1(VALU_DEP_1)
	s_sub_i32 s23, s25, s21
	s_cmp_lg_u32 s15, 0
	v_sub_co_u32 v4, s24, v3, s0
	s_subb_u32 s23, s23, s1
	s_cmp_lg_u32 s24, 0
	s_subb_u32 s26, s23, 0
	s_delay_alu instid0(VALU_DEP_1)
	v_cmp_le_u32_e32 vcc_lo, s0, v4
	s_cmp_ge_u32 s26, s1
	s_cselect_b32 s27, -1, 0
	s_cmp_eq_u32 s26, s1
	v_cndmask_b32_e64 v6, 0, -1, vcc_lo
	s_cselect_b32 vcc_lo, -1, 0
	s_cmp_lg_u32 s24, 0
	v_sub_co_u32 v7, s24, v4, s0
	s_subb_u32 s23, s23, s1
	s_cmp_lg_u32 s24, 0
	v_cndmask_b32_e32 v6, s27, v6, vcc_lo
	s_subb_u32 s23, s23, 0
	s_cmp_lg_u32 s15, 0
	v_cmp_le_u32_e32 vcc_lo, s0, v3
	s_subb_u32 s15, s25, s21
	s_delay_alu instid0(SALU_CYCLE_1)
	s_cmp_ge_u32 s15, s1
	v_cndmask_b32_e64 v8, 0, -1, vcc_lo
	s_cselect_b32 s21, -1, 0
	s_cmp_eq_u32 s15, s1
	v_cmp_ne_u32_e32 vcc_lo, 0, v6
	v_mov_b32_e32 v6, s23
	s_cselect_b32 s0, -1, 0
	s_delay_alu instid0(SALU_CYCLE_1) | instskip(SKIP_1) | instid1(VALU_DEP_3)
	v_cndmask_b32_e64 v8, s21, v8, s0
	v_cndmask_b32_e32 v4, v4, v7, vcc_lo
	v_cndmask_b32_e32 v6, s26, v6, vcc_lo
	s_delay_alu instid0(VALU_DEP_3) | instskip(NEXT) | instid1(VALU_DEP_3)
	v_cmp_ne_u32_e32 vcc_lo, 0, v8
	v_cndmask_b32_e32 v3, v3, v4, vcc_lo
	s_delay_alu instid0(VALU_DEP_3) | instskip(NEXT) | instid1(VALU_DEP_2)
	v_cndmask_b32_e32 v6, s15, v6, vcc_lo
	v_xor_b32_e32 v3, s22, v3
	s_delay_alu instid0(VALU_DEP_2) | instskip(NEXT) | instid1(VALU_DEP_2)
	v_xor_b32_e32 v4, s22, v6
	v_sub_co_u32 v3, vcc_lo, v3, s22
	s_delay_alu instid0(VALU_DEP_2)
	v_subrev_co_ci_u32_e32 v4, vcc_lo, s22, v4, vcc_lo
	s_and_not1_b32 vcc_lo, exec_lo, s20
	s_cbranch_vccnz .LBB78_52
.LBB78_51:
	v_cvt_f32_u32_e32 v3, s8
	s_sub_i32 s0, 0, s8
	s_delay_alu instid0(VALU_DEP_1) | instskip(SKIP_2) | instid1(VALU_DEP_1)
	v_rcp_iflag_f32_e32 v3, v3
	s_waitcnt_depctr 0xfff
	v_mul_f32_e32 v3, 0x4f7ffffe, v3
	v_cvt_u32_f32_e32 v3, v3
	s_delay_alu instid0(VALU_DEP_1) | instskip(NEXT) | instid1(VALU_DEP_1)
	v_mul_lo_u32 v4, s0, v3
	v_mul_hi_u32 v4, v3, v4
	s_delay_alu instid0(VALU_DEP_1) | instskip(NEXT) | instid1(VALU_DEP_1)
	v_add_nc_u32_e32 v3, v3, v4
	v_mul_hi_u32 v3, s12, v3
	s_delay_alu instid0(VALU_DEP_1) | instskip(NEXT) | instid1(VALU_DEP_1)
	v_mul_lo_u32 v3, v3, s8
	v_sub_nc_u32_e32 v3, s12, v3
	s_delay_alu instid0(VALU_DEP_1) | instskip(SKIP_1) | instid1(VALU_DEP_2)
	v_subrev_nc_u32_e32 v4, s8, v3
	v_cmp_le_u32_e32 vcc_lo, s8, v3
	v_cndmask_b32_e32 v3, v3, v4, vcc_lo
	s_delay_alu instid0(VALU_DEP_1) | instskip(SKIP_1) | instid1(VALU_DEP_2)
	v_subrev_nc_u32_e32 v4, s8, v3
	v_cmp_le_u32_e32 vcc_lo, s8, v3
	v_dual_cndmask_b32 v3, v3, v4 :: v_dual_mov_b32 v4, 0
.LBB78_52:
	v_div_scale_f32 v6, null, 0x43e00000, 0x43e00000, v5
	v_div_scale_f32 v9, vcc_lo, v5, 0x43e00000, v5
	s_delay_alu instid0(VALU_DEP_3) | instskip(NEXT) | instid1(VALU_DEP_3)
	v_sub_co_u32 v10, s0, s12, v3
	v_rcp_f32_e32 v7, v6
	v_sub_co_ci_u32_e64 v3, s0, s13, v4, s0
	s_lshl_b64 s[0:1], s[16:17], 2
	s_delay_alu instid0(SALU_CYCLE_1) | instskip(NEXT) | instid1(VALU_DEP_1)
	s_add_u32 s0, s0, s6
	v_mul_lo_u32 v11, v3, v1
	s_addc_u32 s1, s1, s7
	s_waitcnt_depctr 0xfff
	v_fma_f32 v8, -v6, v7, 1.0
	s_delay_alu instid0(VALU_DEP_1) | instskip(NEXT) | instid1(VALU_DEP_1)
	v_fmac_f32_e32 v7, v8, v7
	v_mul_f32_e32 v8, v9, v7
	s_delay_alu instid0(VALU_DEP_1) | instskip(NEXT) | instid1(VALU_DEP_1)
	v_fma_f32 v4, -v6, v8, v9
	v_fmac_f32_e32 v8, v4, v7
	v_mul_lo_u32 v4, v10, v2
	v_mad_u64_u32 v[2:3], null, v10, v1, 0
	s_delay_alu instid0(VALU_DEP_3) | instskip(NEXT) | instid1(VALU_DEP_2)
	v_fma_f32 v1, -v6, v8, v9
	v_add3_u32 v3, v3, v4, v11
	s_delay_alu instid0(VALU_DEP_2) | instskip(NEXT) | instid1(VALU_DEP_1)
	v_div_fmas_f32 v1, v1, v7, v8
	v_div_fixup_f32 v4, v1, 0x43e00000, v5
	s_delay_alu instid0(VALU_DEP_3) | instskip(NEXT) | instid1(VALU_DEP_2)
	v_lshlrev_b64 v[1:2], 2, v[2:3]
	v_max_f32_e32 v3, 0x36924925, v4
	s_delay_alu instid0(VALU_DEP_2) | instskip(NEXT) | instid1(VALU_DEP_3)
	v_add_co_u32 v1, vcc_lo, s0, v1
	v_add_co_ci_u32_e32 v2, vcc_lo, s1, v2, vcc_lo
	global_store_b32 v[1:2], v3, off
.LBB78_53:
	s_or_b32 exec_lo, exec_lo, s3
	s_waitcnt_vscnt null, 0x0
	s_barrier
	buffer_gl0_inv
	s_and_saveexec_b32 s0, s2
	s_cbranch_execz .LBB78_161
; %bb.54:
	s_add_u32 s0, s8, s36
	s_addc_u32 s1, s9, 0
	s_add_u32 s2, s0, -1
	s_addc_u32 s3, s1, -1
	s_delay_alu instid0(SALU_CYCLE_1) | instskip(SKIP_1) | instid1(SALU_CYCLE_1)
	s_or_b64 s[12:13], s[2:3], s[8:9]
	s_mov_b32 s12, 0
	s_cmp_lg_u64 s[12:13], 0
	s_cbranch_scc0 .LBB78_163
; %bb.55:
	s_ashr_i32 s0, s9, 31
	s_delay_alu instid0(SALU_CYCLE_1) | instskip(SKIP_2) | instid1(SALU_CYCLE_1)
	s_add_u32 s20, s8, s0
	s_mov_b32 s1, s0
	s_addc_u32 s21, s9, s0
	s_xor_b64 s[0:1], s[20:21], s[0:1]
	s_delay_alu instid0(SALU_CYCLE_1) | instskip(SKIP_3) | instid1(VALU_DEP_1)
	v_cvt_f32_u32_e32 v1, s0
	v_cvt_f32_u32_e32 v2, s1
	s_sub_u32 s15, 0, s0
	s_subb_u32 s20, 0, s1
	v_fmamk_f32 v1, v2, 0x4f800000, v1
	s_delay_alu instid0(VALU_DEP_1) | instskip(SKIP_2) | instid1(VALU_DEP_1)
	v_rcp_f32_e32 v1, v1
	s_waitcnt_depctr 0xfff
	v_mul_f32_e32 v1, 0x5f7ffffc, v1
	v_mul_f32_e32 v2, 0x2f800000, v1
	s_delay_alu instid0(VALU_DEP_1) | instskip(NEXT) | instid1(VALU_DEP_1)
	v_trunc_f32_e32 v2, v2
	v_fmamk_f32 v1, v2, 0xcf800000, v1
	v_cvt_u32_f32_e32 v2, v2
	s_delay_alu instid0(VALU_DEP_2) | instskip(NEXT) | instid1(VALU_DEP_2)
	v_cvt_u32_f32_e32 v1, v1
	v_readfirstlane_b32 s9, v2
	s_delay_alu instid0(VALU_DEP_2) | instskip(NEXT) | instid1(VALU_DEP_2)
	v_readfirstlane_b32 s13, v1
	s_mul_i32 s21, s15, s9
	s_delay_alu instid0(VALU_DEP_1)
	s_mul_hi_u32 s23, s15, s13
	s_mul_i32 s22, s20, s13
	s_add_i32 s21, s23, s21
	s_mul_i32 s24, s15, s13
	s_add_i32 s21, s21, s22
	s_mul_hi_u32 s23, s13, s24
	s_mul_hi_u32 s25, s9, s24
	s_mul_i32 s22, s9, s24
	s_mul_hi_u32 s24, s13, s21
	s_mul_i32 s13, s13, s21
	s_mul_hi_u32 s26, s9, s21
	s_add_u32 s13, s23, s13
	s_addc_u32 s23, 0, s24
	s_add_u32 s13, s13, s22
	s_mul_i32 s21, s9, s21
	s_addc_u32 s13, s23, s25
	s_addc_u32 s22, s26, 0
	s_add_u32 s13, s13, s21
	s_addc_u32 s21, 0, s22
	v_add_co_u32 v1, s13, v1, s13
	s_delay_alu instid0(VALU_DEP_1) | instskip(SKIP_1) | instid1(VALU_DEP_1)
	s_cmp_lg_u32 s13, 0
	s_addc_u32 s9, s9, s21
	v_readfirstlane_b32 s13, v1
	s_mul_i32 s21, s15, s9
	s_delay_alu instid0(VALU_DEP_1)
	s_mul_hi_u32 s22, s15, s13
	s_mul_i32 s20, s20, s13
	s_add_i32 s21, s22, s21
	s_mul_i32 s15, s15, s13
	s_add_i32 s21, s21, s20
	s_mul_hi_u32 s22, s9, s15
	s_mul_i32 s23, s9, s15
	s_mul_hi_u32 s15, s13, s15
	s_mul_hi_u32 s24, s13, s21
	s_mul_i32 s13, s13, s21
	s_mul_hi_u32 s20, s9, s21
	s_add_u32 s13, s15, s13
	s_addc_u32 s15, 0, s24
	s_add_u32 s13, s13, s23
	s_mul_i32 s21, s9, s21
	s_addc_u32 s13, s15, s22
	s_addc_u32 s15, s20, 0
	s_add_u32 s13, s13, s21
	s_addc_u32 s15, 0, s15
	v_add_co_u32 v1, s13, v1, s13
	s_delay_alu instid0(VALU_DEP_1) | instskip(SKIP_2) | instid1(VALU_DEP_1)
	s_cmp_lg_u32 s13, 0
	s_addc_u32 s9, s9, s15
	s_ashr_i32 s20, s3, 31
	v_readfirstlane_b32 s13, v1
	s_add_u32 s22, s2, s20
	s_mov_b32 s21, s20
	s_addc_u32 s23, s3, s20
	s_delay_alu instid0(SALU_CYCLE_1) | instskip(NEXT) | instid1(SALU_CYCLE_1)
	s_xor_b64 s[22:23], s[22:23], s[20:21]
	s_mul_i32 s21, s22, s9
	s_mul_hi_u32 s24, s22, s13
	s_mul_hi_u32 s15, s22, s9
	;; [unrolled: 1-line block ×3, first 2 shown]
	s_mul_i32 s13, s23, s13
	s_add_u32 s21, s24, s21
	s_addc_u32 s15, 0, s15
	s_mul_hi_u32 s25, s23, s9
	s_add_u32 s13, s21, s13
	s_mul_i32 s9, s23, s9
	s_addc_u32 s13, s15, s26
	s_addc_u32 s15, s25, 0
	s_add_u32 s9, s13, s9
	s_addc_u32 s13, 0, s15
	s_mul_hi_u32 s15, s0, s9
	s_mul_i32 s13, s0, s13
	s_mul_i32 s21, s1, s9
	;; [unrolled: 1-line block ×3, first 2 shown]
	s_add_i32 s13, s15, s13
	v_sub_co_u32 v1, s9, s22, s9
	s_add_i32 s13, s13, s21
	s_delay_alu instid0(SALU_CYCLE_1) | instskip(SKIP_1) | instid1(VALU_DEP_1)
	s_sub_i32 s15, s23, s13
	s_cmp_lg_u32 s9, 0
	v_sub_co_u32 v2, s21, v1, s0
	s_subb_u32 s15, s15, s1
	s_cmp_lg_u32 s21, 0
	s_subb_u32 s22, s15, 0
	s_delay_alu instid0(VALU_DEP_1)
	v_cmp_le_u32_e32 vcc_lo, s0, v2
	s_cmp_ge_u32 s22, s1
	s_cselect_b32 s24, -1, 0
	s_cmp_eq_u32 s22, s1
	v_cndmask_b32_e64 v3, 0, -1, vcc_lo
	s_cselect_b32 vcc_lo, -1, 0
	s_cmp_lg_u32 s21, 0
	v_sub_co_u32 v4, s21, v2, s0
	s_subb_u32 s15, s15, s1
	s_cmp_lg_u32 s21, 0
	v_cndmask_b32_e32 v3, s24, v3, vcc_lo
	s_subb_u32 s15, s15, 0
	s_cmp_lg_u32 s9, 0
	v_cmp_le_u32_e32 vcc_lo, s0, v1
	s_subb_u32 s9, s23, s13
	s_delay_alu instid0(SALU_CYCLE_1)
	s_cmp_ge_u32 s9, s1
	v_cndmask_b32_e64 v5, 0, -1, vcc_lo
	s_cselect_b32 s13, -1, 0
	s_cmp_eq_u32 s9, s1
	v_cmp_ne_u32_e32 vcc_lo, 0, v3
	v_mov_b32_e32 v3, s15
	s_cselect_b32 s0, -1, 0
	s_delay_alu instid0(SALU_CYCLE_1) | instskip(SKIP_1) | instid1(VALU_DEP_3)
	v_cndmask_b32_e64 v5, s13, v5, s0
	v_cndmask_b32_e32 v2, v2, v4, vcc_lo
	v_cndmask_b32_e32 v3, s22, v3, vcc_lo
	s_delay_alu instid0(VALU_DEP_3) | instskip(NEXT) | instid1(VALU_DEP_3)
	v_cmp_ne_u32_e32 vcc_lo, 0, v5
	v_cndmask_b32_e32 v1, v1, v2, vcc_lo
	s_delay_alu instid0(VALU_DEP_3) | instskip(NEXT) | instid1(VALU_DEP_2)
	v_cndmask_b32_e32 v3, s9, v3, vcc_lo
	v_xor_b32_e32 v1, s20, v1
	s_delay_alu instid0(VALU_DEP_2) | instskip(NEXT) | instid1(VALU_DEP_2)
	v_xor_b32_e32 v2, s20, v3
	v_sub_co_u32 v1, vcc_lo, v1, s20
	s_delay_alu instid0(VALU_DEP_2)
	v_subrev_co_ci_u32_e32 v2, vcc_lo, s20, v2, vcc_lo
	s_and_not1_b32 vcc_lo, exec_lo, s12
	s_cbranch_vccnz .LBB78_57
.LBB78_56:
	v_cvt_f32_u32_e32 v1, s8
	s_sub_i32 s0, 0, s8
	s_delay_alu instid0(VALU_DEP_1) | instskip(SKIP_2) | instid1(VALU_DEP_1)
	v_rcp_iflag_f32_e32 v1, v1
	s_waitcnt_depctr 0xfff
	v_mul_f32_e32 v1, 0x4f7ffffe, v1
	v_cvt_u32_f32_e32 v1, v1
	s_delay_alu instid0(VALU_DEP_1) | instskip(NEXT) | instid1(VALU_DEP_1)
	v_mul_lo_u32 v2, s0, v1
	v_mul_hi_u32 v2, v1, v2
	s_delay_alu instid0(VALU_DEP_1) | instskip(NEXT) | instid1(VALU_DEP_1)
	v_add_nc_u32_e32 v1, v1, v2
	v_mul_hi_u32 v1, s2, v1
	s_delay_alu instid0(VALU_DEP_1) | instskip(NEXT) | instid1(VALU_DEP_1)
	v_mul_lo_u32 v1, v1, s8
	v_sub_nc_u32_e32 v1, s2, v1
	s_delay_alu instid0(VALU_DEP_1) | instskip(SKIP_1) | instid1(VALU_DEP_2)
	v_subrev_nc_u32_e32 v2, s8, v1
	v_cmp_le_u32_e32 vcc_lo, s8, v1
	v_cndmask_b32_e32 v1, v1, v2, vcc_lo
	s_delay_alu instid0(VALU_DEP_1) | instskip(SKIP_1) | instid1(VALU_DEP_2)
	v_subrev_nc_u32_e32 v2, s8, v1
	v_cmp_le_u32_e32 vcc_lo, s8, v1
	v_dual_cndmask_b32 v1, v1, v2 :: v_dual_mov_b32 v2, 0
.LBB78_57:
	s_delay_alu instid0(VALU_DEP_1)
	v_sub_co_u32 v7, vcc_lo, s2, v1
	s_add_u32 s0, s4, s18
	s_addc_u32 s1, s5, s19
	s_lshl_b64 s[4:5], s[16:17], 2
	v_sub_co_ci_u32_e32 v8, vcc_lo, s3, v2, vcc_lo
	v_mov_b32_e32 v1, 0
	s_add_u32 s4, s6, s4
	s_addc_u32 s5, s7, s5
	s_mul_i32 s2, s35, 3
	s_lshl_b32 s3, s35, 1
	s_mov_b32 s6, 0
	s_mov_b32 s7, 0x43e00000
	s_add_i32 s8, s35, s35
	s_branch .LBB78_63
.LBB78_58:                              ;   in Loop: Header=BB78_63 Depth=1
	s_or_b32 exec_lo, exec_lo, s16
.LBB78_59:                              ;   in Loop: Header=BB78_63 Depth=1
	s_delay_alu instid0(SALU_CYCLE_1)
	s_or_b32 exec_lo, exec_lo, s15
	v_lshrrev_b32_e32 v5, 24, v14
	v_lshrrev_b32_e32 v11, 24, v12
	v_lshlrev_b32_e32 v12, 24, v3
	v_lshrrev_b32_e32 v9, 24, v9
	v_and_b32_e32 v10, 0xff, v10
	v_and_b32_e32 v5, 0x80, v5
	;; [unrolled: 1-line block ×3, first 2 shown]
	s_delay_alu instid0(VALU_DEP_3) | instskip(NEXT) | instid1(VALU_DEP_3)
	v_and_or_b32 v9, 0x80, v9, v10
	v_and_or_b32 v5, 0xff, v13, v5
	v_and_b32_e32 v13, 0x80000000, v4
	v_lshlrev_b64 v[3:4], 2, v[0:1]
	v_and_or_b32 v6, 0xff, v6, v11
	v_add3_u32 v0, s8, s35, v2
	v_lshlrev_b32_e32 v5, 16, v5
	s_delay_alu instid0(VALU_DEP_3) | instskip(SKIP_1) | instid1(VALU_DEP_3)
	v_lshlrev_b32_e32 v6, 8, v6
	v_add_co_u32 v2, vcc_lo, s0, v3
	v_or3_b32 v5, v13, v12, v5
	v_add_co_ci_u32_e32 v3, vcc_lo, s1, v4, vcc_lo
	v_cmp_le_u32_e32 vcc_lo, s14, v0
	s_delay_alu instid0(VALU_DEP_3)
	v_or3_b32 v4, v5, v6, v9
	s_or_not1_b32 s15, vcc_lo, exec_lo
	global_store_b32 v[2:3], v4, off
.LBB78_60:                              ;   in Loop: Header=BB78_63 Depth=1
	s_or_b32 exec_lo, exec_lo, s13
	s_delay_alu instid0(SALU_CYCLE_1)
	s_or_not1_b32 s13, s15, exec_lo
.LBB78_61:                              ;   in Loop: Header=BB78_63 Depth=1
	s_or_b32 exec_lo, exec_lo, s12
	s_delay_alu instid0(SALU_CYCLE_1)
	s_or_not1_b32 s12, s13, exec_lo
.LBB78_62:                              ;   in Loop: Header=BB78_63 Depth=1
	s_or_b32 exec_lo, exec_lo, s9
	s_delay_alu instid0(SALU_CYCLE_1) | instskip(NEXT) | instid1(SALU_CYCLE_1)
	s_and_b32 s9, exec_lo, s12
	s_or_b32 s6, s9, s6
	s_delay_alu instid0(SALU_CYCLE_1)
	s_and_not1_b32 exec_lo, exec_lo, s6
	s_cbranch_execz .LBB78_161
.LBB78_63:                              ; =>This Inner Loop Header: Depth=1
	v_lshlrev_b64 v[2:3], 3, v[0:1]
	v_bfe_u32 v16, v0, 4, 26
	s_mov_b32 s9, exec_lo
	s_delay_alu instid0(VALU_DEP_1) | instskip(NEXT) | instid1(VALU_DEP_3)
	v_mad_u64_u32 v[11:12], null, v7, v16, 0
	v_add_co_u32 v4, vcc_lo, s30, v2
	s_delay_alu instid0(VALU_DEP_4)
	v_add_co_ci_u32_e32 v5, vcc_lo, s31, v3, vcc_lo
	v_add_co_u32 v14, vcc_lo, s33, v2
	v_add_co_ci_u32_e32 v15, vcc_lo, s34, v3, vcc_lo
	global_load_b64 v[5:6], v[4:5], off
	global_load_b64 v[9:10], v[14:15], off
	v_add_co_u32 v2, vcc_lo, s10, v2
	v_add_co_ci_u32_e32 v3, vcc_lo, s11, v3, vcc_lo
	v_mov_b32_e32 v4, v12
	global_load_b64 v[2:3], v[2:3], off
	s_waitcnt vmcnt(2)
	v_mad_u64_u32 v[12:13], null, v8, v16, v[4:5]
	s_delay_alu instid0(VALU_DEP_1) | instskip(SKIP_2) | instid1(VALU_DEP_2)
	v_lshlrev_b64 v[11:12], 2, v[11:12]
	s_waitcnt vmcnt(0)
	v_lshlrev_b32_e32 v16, 16, v2
	v_add_co_u32 v11, vcc_lo, s4, v11
	s_delay_alu instid0(VALU_DEP_3) | instskip(SKIP_3) | instid1(VALU_DEP_1)
	v_add_co_ci_u32_e32 v12, vcc_lo, s5, v12, vcc_lo
	global_load_b32 v4, v[11:12], off
	v_lshlrev_b32_e32 v11, 16, v5
	v_lshlrev_b32_e32 v12, 16, v9
	v_add_f32_e32 v13, v11, v12
	s_delay_alu instid0(VALU_DEP_1) | instskip(NEXT) | instid1(VALU_DEP_1)
	v_mul_f32_e32 v11, v28, v13
	v_bfe_u32 v12, v11, 16, 1
	s_delay_alu instid0(VALU_DEP_1) | instskip(NEXT) | instid1(VALU_DEP_1)
	v_add3_u32 v12, v11, v12, 0x7fff
	v_and_b32_e32 v12, 0xffff0000, v12
	v_cmp_o_f32_e32 vcc_lo, v11, v11
	s_delay_alu instid0(VALU_DEP_2) | instskip(NEXT) | instid1(VALU_DEP_1)
	v_cndmask_b32_e32 v11, 0x7fc00000, v12, vcc_lo
	v_mul_f32_e32 v11, v11, v16
	s_delay_alu instid0(VALU_DEP_1) | instskip(SKIP_1) | instid1(VALU_DEP_2)
	v_bfe_u32 v12, v11, 16, 1
	v_cmp_o_f32_e32 vcc_lo, v11, v11
	v_add3_u32 v12, v11, v12, 0x7fff
	s_delay_alu instid0(VALU_DEP_1) | instskip(NEXT) | instid1(VALU_DEP_1)
	v_and_b32_e32 v12, 0xffff0000, v12
	v_cndmask_b32_e32 v16, 0x7fc00000, v12, vcc_lo
	v_and_b32_e32 v12, 0xffff0000, v5
	v_alignbit_b32 v5, v6, v5, 16
	v_and_b32_e32 v6, 0xffff0000, v6
	s_delay_alu instid0(VALU_DEP_2) | instskip(SKIP_2) | instid1(VALU_DEP_1)
	v_and_b32_e32 v5, 0xffff0000, v5
	s_waitcnt vmcnt(0)
	v_div_scale_f32 v17, null, v4, v4, v16
	v_rcp_f32_e32 v18, v17
	s_waitcnt_depctr 0xfff
	v_fma_f32 v11, -v17, v18, 1.0
	s_delay_alu instid0(VALU_DEP_1) | instskip(SKIP_3) | instid1(VALU_DEP_3)
	v_fmac_f32_e32 v18, v11, v18
	v_alignbit_b32 v11, v10, v9, 16
	v_and_b32_e32 v9, 0xffff0000, v9
	v_and_b32_e32 v10, 0xffff0000, v10
	;; [unrolled: 1-line block ×3, first 2 shown]
	s_delay_alu instid0(VALU_DEP_2) | instskip(SKIP_1) | instid1(VALU_DEP_2)
	v_dual_add_f32 v11, v12, v9 :: v_dual_add_f32 v10, v6, v10
	v_div_scale_f32 v19, vcc_lo, v16, v4, v16
	v_bfe_u32 v6, v11, 16, 1
	s_delay_alu instid0(VALU_DEP_2) | instskip(NEXT) | instid1(VALU_DEP_2)
	v_mul_f32_e32 v20, v19, v18
	v_add3_u32 v6, v11, v6, 0x7fff
	s_delay_alu instid0(VALU_DEP_2) | instskip(NEXT) | instid1(VALU_DEP_2)
	v_fma_f32 v9, -v17, v20, v19
	v_and_b32_e32 v6, 0xffff0000, v6
	s_delay_alu instid0(VALU_DEP_2) | instskip(SKIP_1) | instid1(VALU_DEP_1)
	v_fmac_f32_e32 v20, v9, v18
	v_bfe_u32 v9, v10, 16, 1
	v_add3_u32 v9, v10, v9, 0x7fff
	s_delay_alu instid0(VALU_DEP_1) | instskip(NEXT) | instid1(VALU_DEP_4)
	v_and_b32_e32 v9, 0xffff0000, v9
	v_fma_f32 v17, -v17, v20, v19
	s_delay_alu instid0(VALU_DEP_1) | instskip(SKIP_3) | instid1(VALU_DEP_4)
	v_div_fmas_f32 v17, v17, v18, v20
	v_cmp_o_f32_e32 vcc_lo, v11, v11
	v_add_f32_e32 v12, v5, v21
	v_bfe_u32 v5, v13, 16, 1
	v_div_fixup_f32 v16, v17, v4, v16
	v_cndmask_b32_e32 v17, 0x7fc00000, v6, vcc_lo
	s_delay_alu instid0(VALU_DEP_4) | instskip(NEXT) | instid1(VALU_DEP_4)
	v_bfe_u32 v21, v12, 16, 1
	v_add3_u32 v5, v13, v5, 0x7fff
	v_cmp_o_f32_e32 vcc_lo, v13, v13
	v_minmax_f32 v6, v16, s7, 0xc3e00000
	s_delay_alu instid0(VALU_DEP_4) | instskip(NEXT) | instid1(VALU_DEP_4)
	v_add3_u32 v19, v12, v21, 0x7fff
	v_lshrrev_b32_e32 v5, 16, v5
	s_delay_alu instid0(VALU_DEP_3) | instskip(NEXT) | instid1(VALU_DEP_3)
	v_and_b32_e32 v13, 0x7fffffff, v6
	v_lshrrev_b32_e32 v18, 16, v19
	s_delay_alu instid0(VALU_DEP_3)
	v_cndmask_b32_e32 v5, 0x7fc0, v5, vcc_lo
	v_cmp_o_f32_e32 vcc_lo, v10, v10
	v_cndmask_b32_e32 v9, 0x7fc00000, v9, vcc_lo
	v_cmp_o_f32_e32 vcc_lo, v12, v12
	v_cndmask_b32_e32 v16, 0x7fc0, v18, vcc_lo
	v_or_b32_e32 v18, v5, v17
	v_mov_b32_e32 v5, 0x7f
	s_delay_alu instid0(VALU_DEP_3) | instskip(NEXT) | instid1(VALU_DEP_3)
	v_or3_b32 v17, 0, v16, v9
	v_or3_b32 v16, v18, 0, 0
	v_mov_b32_e32 v9, 0x7f
	global_store_b64 v[14:15], v[16:17], off
	v_cmpx_gt_u32_e32 0x43f00000, v13
	s_cbranch_execz .LBB78_69
; %bb.64:                               ;   in Loop: Header=BB78_63 Depth=1
	s_mov_b32 s12, exec_lo
                                        ; implicit-def: $vgpr9
	v_cmpx_lt_u32_e32 0x3c7fffff, v13
	s_xor_b32 s12, exec_lo, s12
; %bb.65:                               ;   in Loop: Header=BB78_63 Depth=1
	v_bfe_u32 v9, v6, 20, 1
	s_delay_alu instid0(VALU_DEP_1) | instskip(NEXT) | instid1(VALU_DEP_1)
	v_add3_u32 v9, v6, v9, 0x407ffff
	v_lshrrev_b32_e32 v9, 20, v9
; %bb.66:                               ;   in Loop: Header=BB78_63 Depth=1
	s_and_not1_saveexec_b32 s12, s12
; %bb.67:                               ;   in Loop: Header=BB78_63 Depth=1
	v_add_f32_e64 v9, 0x46800000, |v6|
; %bb.68:                               ;   in Loop: Header=BB78_63 Depth=1
	s_or_b32 exec_lo, exec_lo, s12
.LBB78_69:                              ;   in Loop: Header=BB78_63 Depth=1
	s_delay_alu instid0(SALU_CYCLE_1) | instskip(SKIP_2) | instid1(VALU_DEP_1)
	s_or_b32 exec_lo, exec_lo, s9
	v_dual_mul_f32 v11, v28, v11 :: v_dual_and_b32 v14, 0xffff0000, v2
	s_mov_b32 s9, exec_lo
	v_bfe_u32 v13, v11, 16, 1
	v_cmp_o_f32_e32 vcc_lo, v11, v11
	s_delay_alu instid0(VALU_DEP_2) | instskip(NEXT) | instid1(VALU_DEP_1)
	v_add3_u32 v13, v11, v13, 0x7fff
	v_and_b32_e32 v13, 0xffff0000, v13
	s_delay_alu instid0(VALU_DEP_1) | instskip(NEXT) | instid1(VALU_DEP_1)
	v_cndmask_b32_e32 v11, 0x7fc00000, v13, vcc_lo
	v_mul_f32_e32 v11, v11, v14
	s_delay_alu instid0(VALU_DEP_1) | instskip(SKIP_1) | instid1(VALU_DEP_2)
	v_bfe_u32 v13, v11, 16, 1
	v_cmp_o_f32_e32 vcc_lo, v11, v11
	v_add3_u32 v13, v11, v13, 0x7fff
	s_delay_alu instid0(VALU_DEP_1) | instskip(NEXT) | instid1(VALU_DEP_1)
	v_and_b32_e32 v13, 0xffff0000, v13
	v_cndmask_b32_e32 v11, 0x7fc00000, v13, vcc_lo
	s_delay_alu instid0(VALU_DEP_1) | instskip(NEXT) | instid1(VALU_DEP_1)
	v_div_scale_f32 v13, null, v4, v4, v11
	v_rcp_f32_e32 v14, v13
	s_waitcnt_depctr 0xfff
	v_fma_f32 v15, -v13, v14, 1.0
	s_delay_alu instid0(VALU_DEP_1) | instskip(SKIP_1) | instid1(VALU_DEP_1)
	v_fmac_f32_e32 v14, v15, v14
	v_div_scale_f32 v15, vcc_lo, v11, v4, v11
	v_mul_f32_e32 v16, v15, v14
	s_delay_alu instid0(VALU_DEP_1) | instskip(NEXT) | instid1(VALU_DEP_1)
	v_fma_f32 v17, -v13, v16, v15
	v_fmac_f32_e32 v16, v17, v14
	s_delay_alu instid0(VALU_DEP_1) | instskip(NEXT) | instid1(VALU_DEP_1)
	v_fma_f32 v13, -v13, v16, v15
	v_div_fmas_f32 v13, v13, v14, v16
	s_delay_alu instid0(VALU_DEP_1) | instskip(NEXT) | instid1(VALU_DEP_1)
	v_div_fixup_f32 v11, v13, v4, v11
	v_minmax_f32 v11, v11, s7, 0xc3e00000
	s_delay_alu instid0(VALU_DEP_1) | instskip(NEXT) | instid1(VALU_DEP_1)
	v_and_b32_e32 v13, 0x7fffffff, v11
	v_cmpx_gt_u32_e32 0x43f00000, v13
	s_cbranch_execz .LBB78_75
; %bb.70:                               ;   in Loop: Header=BB78_63 Depth=1
	s_mov_b32 s12, exec_lo
                                        ; implicit-def: $vgpr5
	v_cmpx_lt_u32_e32 0x3c7fffff, v13
	s_xor_b32 s12, exec_lo, s12
; %bb.71:                               ;   in Loop: Header=BB78_63 Depth=1
	v_bfe_u32 v5, v11, 20, 1
	s_delay_alu instid0(VALU_DEP_1) | instskip(NEXT) | instid1(VALU_DEP_1)
	v_add3_u32 v5, v11, v5, 0x407ffff
	v_lshrrev_b32_e32 v5, 20, v5
; %bb.72:                               ;   in Loop: Header=BB78_63 Depth=1
	s_and_not1_saveexec_b32 s12, s12
; %bb.73:                               ;   in Loop: Header=BB78_63 Depth=1
	v_add_f32_e64 v5, 0x46800000, |v11|
; %bb.74:                               ;   in Loop: Header=BB78_63 Depth=1
	s_or_b32 exec_lo, exec_lo, s12
.LBB78_75:                              ;   in Loop: Header=BB78_63 Depth=1
	s_delay_alu instid0(SALU_CYCLE_1) | instskip(SKIP_3) | instid1(VALU_DEP_2)
	s_or_b32 exec_lo, exec_lo, s9
	v_mul_f32_e32 v12, v28, v12
	v_alignbit_b32 v2, v3, v2, 16
	s_mov_b32 s9, exec_lo
	v_bfe_u32 v13, v12, 16, 1
	s_delay_alu instid0(VALU_DEP_2) | instskip(NEXT) | instid1(VALU_DEP_2)
	v_and_b32_e32 v2, 0xffff0000, v2
	v_add3_u32 v13, v12, v13, 0x7fff
	s_delay_alu instid0(VALU_DEP_1) | instskip(SKIP_1) | instid1(VALU_DEP_2)
	v_and_b32_e32 v13, 0xffff0000, v13
	v_cmp_o_f32_e32 vcc_lo, v12, v12
	v_cndmask_b32_e32 v12, 0x7fc00000, v13, vcc_lo
	s_delay_alu instid0(VALU_DEP_1) | instskip(NEXT) | instid1(VALU_DEP_1)
	v_mul_f32_e32 v2, v12, v2
	v_bfe_u32 v12, v2, 16, 1
	v_cmp_o_f32_e32 vcc_lo, v2, v2
	s_delay_alu instid0(VALU_DEP_2) | instskip(NEXT) | instid1(VALU_DEP_1)
	v_add3_u32 v12, v2, v12, 0x7fff
	v_and_b32_e32 v12, 0xffff0000, v12
	s_delay_alu instid0(VALU_DEP_1) | instskip(NEXT) | instid1(VALU_DEP_1)
	v_cndmask_b32_e32 v2, 0x7fc00000, v12, vcc_lo
	v_div_scale_f32 v12, null, v4, v4, v2
	v_div_scale_f32 v15, vcc_lo, v2, v4, v2
	s_delay_alu instid0(VALU_DEP_2) | instskip(SKIP_2) | instid1(VALU_DEP_1)
	v_rcp_f32_e32 v13, v12
	s_waitcnt_depctr 0xfff
	v_fma_f32 v14, -v12, v13, 1.0
	v_fmac_f32_e32 v13, v14, v13
	s_delay_alu instid0(VALU_DEP_1) | instskip(NEXT) | instid1(VALU_DEP_1)
	v_mul_f32_e32 v14, v15, v13
	v_fma_f32 v16, -v12, v14, v15
	s_delay_alu instid0(VALU_DEP_1) | instskip(NEXT) | instid1(VALU_DEP_1)
	v_fmac_f32_e32 v14, v16, v13
	v_fma_f32 v12, -v12, v14, v15
	s_delay_alu instid0(VALU_DEP_1) | instskip(NEXT) | instid1(VALU_DEP_1)
	v_div_fmas_f32 v12, v12, v13, v14
	v_div_fixup_f32 v2, v12, v4, v2
	v_mov_b32_e32 v12, 0x7f
	s_delay_alu instid0(VALU_DEP_2) | instskip(SKIP_1) | instid1(VALU_DEP_2)
	v_minmax_f32 v13, v2, s7, 0xc3e00000
	v_mov_b32_e32 v2, 0x7f
	v_and_b32_e32 v14, 0x7fffffff, v13
	s_delay_alu instid0(VALU_DEP_1)
	v_cmpx_gt_u32_e32 0x43f00000, v14
	s_cbranch_execz .LBB78_81
; %bb.76:                               ;   in Loop: Header=BB78_63 Depth=1
	s_mov_b32 s12, exec_lo
                                        ; implicit-def: $vgpr12
	v_cmpx_lt_u32_e32 0x3c7fffff, v14
	s_xor_b32 s12, exec_lo, s12
; %bb.77:                               ;   in Loop: Header=BB78_63 Depth=1
	v_bfe_u32 v12, v13, 20, 1
	s_delay_alu instid0(VALU_DEP_1) | instskip(NEXT) | instid1(VALU_DEP_1)
	v_add3_u32 v12, v13, v12, 0x407ffff
	v_lshrrev_b32_e32 v12, 20, v12
; %bb.78:                               ;   in Loop: Header=BB78_63 Depth=1
	s_and_not1_saveexec_b32 s12, s12
; %bb.79:                               ;   in Loop: Header=BB78_63 Depth=1
	v_add_f32_e64 v12, 0x46800000, |v13|
; %bb.80:                               ;   in Loop: Header=BB78_63 Depth=1
	s_or_b32 exec_lo, exec_lo, s12
.LBB78_81:                              ;   in Loop: Header=BB78_63 Depth=1
	s_delay_alu instid0(SALU_CYCLE_1) | instskip(SKIP_2) | instid1(VALU_DEP_1)
	s_or_b32 exec_lo, exec_lo, s9
	v_dual_mul_f32 v10, v28, v10 :: v_dual_and_b32 v3, 0xffff0000, v3
	s_mov_b32 s9, exec_lo
	v_bfe_u32 v14, v10, 16, 1
	v_cmp_o_f32_e32 vcc_lo, v10, v10
	s_delay_alu instid0(VALU_DEP_2) | instskip(NEXT) | instid1(VALU_DEP_1)
	v_add3_u32 v14, v10, v14, 0x7fff
	v_and_b32_e32 v14, 0xffff0000, v14
	s_delay_alu instid0(VALU_DEP_1) | instskip(NEXT) | instid1(VALU_DEP_1)
	v_cndmask_b32_e32 v10, 0x7fc00000, v14, vcc_lo
	v_mul_f32_e32 v3, v10, v3
	s_delay_alu instid0(VALU_DEP_1) | instskip(SKIP_1) | instid1(VALU_DEP_2)
	v_bfe_u32 v10, v3, 16, 1
	v_cmp_o_f32_e32 vcc_lo, v3, v3
	v_add3_u32 v10, v3, v10, 0x7fff
	s_delay_alu instid0(VALU_DEP_1) | instskip(NEXT) | instid1(VALU_DEP_1)
	v_and_b32_e32 v10, 0xffff0000, v10
	v_cndmask_b32_e32 v3, 0x7fc00000, v10, vcc_lo
	s_delay_alu instid0(VALU_DEP_1) | instskip(NEXT) | instid1(VALU_DEP_1)
	v_div_scale_f32 v10, null, v4, v4, v3
	v_rcp_f32_e32 v14, v10
	s_waitcnt_depctr 0xfff
	v_fma_f32 v15, -v10, v14, 1.0
	s_delay_alu instid0(VALU_DEP_1) | instskip(SKIP_1) | instid1(VALU_DEP_1)
	v_fmac_f32_e32 v14, v15, v14
	v_div_scale_f32 v15, vcc_lo, v3, v4, v3
	v_mul_f32_e32 v16, v15, v14
	s_delay_alu instid0(VALU_DEP_1) | instskip(NEXT) | instid1(VALU_DEP_1)
	v_fma_f32 v17, -v10, v16, v15
	v_fmac_f32_e32 v16, v17, v14
	s_delay_alu instid0(VALU_DEP_1) | instskip(NEXT) | instid1(VALU_DEP_1)
	v_fma_f32 v10, -v10, v16, v15
	v_div_fmas_f32 v10, v10, v14, v16
	s_delay_alu instid0(VALU_DEP_1) | instskip(NEXT) | instid1(VALU_DEP_1)
	v_div_fixup_f32 v3, v10, v4, v3
	v_minmax_f32 v3, v3, s7, 0xc3e00000
	s_delay_alu instid0(VALU_DEP_1) | instskip(NEXT) | instid1(VALU_DEP_1)
	v_and_b32_e32 v4, 0x7fffffff, v3
	v_cmpx_gt_u32_e32 0x43f00000, v4
	s_cbranch_execz .LBB78_87
; %bb.82:                               ;   in Loop: Header=BB78_63 Depth=1
	s_mov_b32 s12, exec_lo
                                        ; implicit-def: $vgpr2
	v_cmpx_lt_u32_e32 0x3c7fffff, v4
	s_xor_b32 s12, exec_lo, s12
; %bb.83:                               ;   in Loop: Header=BB78_63 Depth=1
	v_bfe_u32 v2, v3, 20, 1
	s_delay_alu instid0(VALU_DEP_1) | instskip(NEXT) | instid1(VALU_DEP_1)
	v_add3_u32 v2, v3, v2, 0x407ffff
	v_lshrrev_b32_e32 v2, 20, v2
; %bb.84:                               ;   in Loop: Header=BB78_63 Depth=1
	s_and_not1_saveexec_b32 s12, s12
; %bb.85:                               ;   in Loop: Header=BB78_63 Depth=1
	v_add_f32_e64 v2, 0x46800000, |v3|
; %bb.86:                               ;   in Loop: Header=BB78_63 Depth=1
	s_or_b32 exec_lo, exec_lo, s12
.LBB78_87:                              ;   in Loop: Header=BB78_63 Depth=1
	s_delay_alu instid0(SALU_CYCLE_1)
	s_or_b32 exec_lo, exec_lo, s9
	v_lshrrev_b32_e32 v4, 24, v13
	v_lshrrev_b32_e32 v10, 24, v11
	;; [unrolled: 1-line block ×3, first 2 shown]
	v_lshlrev_b32_e32 v2, 24, v2
	v_and_b32_e32 v11, 0x80000000, v3
	v_and_b32_e32 v4, 0x80, v4
	;; [unrolled: 1-line block ×4, first 2 shown]
	s_mov_b32 s12, -1
	s_mov_b32 s9, exec_lo
	v_and_or_b32 v4, 0xff, v12, v4
	v_and_or_b32 v5, 0xff, v5, v10
	;; [unrolled: 1-line block ×3, first 2 shown]
	s_delay_alu instid0(VALU_DEP_3) | instskip(SKIP_1) | instid1(VALU_DEP_4)
	v_lshlrev_b32_e32 v10, 16, v4
	v_lshlrev_b64 v[3:4], 2, v[0:1]
	v_lshlrev_b32_e32 v5, 8, v5
	s_delay_alu instid0(VALU_DEP_3) | instskip(SKIP_1) | instid1(VALU_DEP_4)
	v_or3_b32 v9, v11, v2, v10
	v_add_nc_u32_e32 v2, s35, v0
	v_add_co_u32 v3, vcc_lo, s0, v3
	v_add_co_ci_u32_e32 v4, vcc_lo, s1, v4, vcc_lo
	s_delay_alu instid0(VALU_DEP_4)
	v_or3_b32 v5, v9, v5, v6
	global_store_b32 v[3:4], v5, off
	v_cmpx_gt_u32_e64 s14, v2
	s_cbranch_execz .LBB78_62
; %bb.88:                               ;   in Loop: Header=BB78_63 Depth=1
	v_bfe_u32 v18, v2, 4, 26
	s_mov_b32 s12, exec_lo
	s_delay_alu instid0(VALU_DEP_1) | instskip(NEXT) | instid1(VALU_DEP_1)
	v_mad_u64_u32 v[13:14], null, v7, v18, 0
	v_dual_mov_b32 v3, v1 :: v_dual_mov_b32 v6, v14
	s_delay_alu instid0(VALU_DEP_1) | instskip(NEXT) | instid1(VALU_DEP_2)
	v_lshlrev_b64 v[4:5], 3, v[2:3]
	v_mad_u64_u32 v[14:15], null, v8, v18, v[6:7]
	s_delay_alu instid0(VALU_DEP_2) | instskip(NEXT) | instid1(VALU_DEP_3)
	v_add_co_u32 v9, vcc_lo, s30, v4
	v_add_co_ci_u32_e32 v10, vcc_lo, s31, v5, vcc_lo
	v_add_co_u32 v16, vcc_lo, s33, v4
	v_add_co_ci_u32_e32 v17, vcc_lo, s34, v5, vcc_lo
	;; [unrolled: 2-line block ×3, first 2 shown]
	global_load_b64 v[9:10], v[9:10], off
	global_load_b64 v[11:12], v[16:17], off
	v_lshlrev_b64 v[13:14], 2, v[13:14]
	global_load_b64 v[4:5], v[4:5], off
	v_add_co_u32 v13, vcc_lo, s4, v13
	v_add_co_ci_u32_e32 v14, vcc_lo, s5, v14, vcc_lo
	global_load_b32 v6, v[13:14], off
	s_waitcnt vmcnt(3)
	v_lshlrev_b32_e32 v13, 16, v9
	s_waitcnt vmcnt(1)
	v_lshlrev_b32_e32 v18, 16, v4
	v_lshlrev_b32_e32 v14, 16, v11
	s_delay_alu instid0(VALU_DEP_1) | instskip(NEXT) | instid1(VALU_DEP_1)
	v_add_f32_e32 v15, v13, v14
	v_mul_f32_e32 v13, v28, v15
	s_delay_alu instid0(VALU_DEP_1) | instskip(NEXT) | instid1(VALU_DEP_1)
	v_bfe_u32 v14, v13, 16, 1
	v_add3_u32 v14, v13, v14, 0x7fff
	s_delay_alu instid0(VALU_DEP_1) | instskip(SKIP_1) | instid1(VALU_DEP_2)
	v_and_b32_e32 v14, 0xffff0000, v14
	v_cmp_o_f32_e32 vcc_lo, v13, v13
	v_cndmask_b32_e32 v13, 0x7fc00000, v14, vcc_lo
	s_delay_alu instid0(VALU_DEP_1) | instskip(NEXT) | instid1(VALU_DEP_1)
	v_mul_f32_e32 v13, v13, v18
	v_bfe_u32 v14, v13, 16, 1
	v_cmp_o_f32_e32 vcc_lo, v13, v13
	s_delay_alu instid0(VALU_DEP_2) | instskip(NEXT) | instid1(VALU_DEP_1)
	v_add3_u32 v14, v13, v14, 0x7fff
	v_and_b32_e32 v14, 0xffff0000, v14
	s_delay_alu instid0(VALU_DEP_1) | instskip(SKIP_3) | instid1(VALU_DEP_3)
	v_cndmask_b32_e32 v18, 0x7fc00000, v14, vcc_lo
	v_and_b32_e32 v14, 0xffff0000, v9
	v_alignbit_b32 v9, v10, v9, 16
	s_waitcnt vmcnt(0)
	v_div_scale_f32 v19, null, v6, v6, v18
	v_div_scale_f32 v21, vcc_lo, v18, v6, v18
	s_delay_alu instid0(VALU_DEP_3) | instskip(NEXT) | instid1(VALU_DEP_3)
	v_and_b32_e32 v9, 0xffff0000, v9
	v_rcp_f32_e32 v20, v19
	s_waitcnt_depctr 0xfff
	v_fma_f32 v13, -v19, v20, 1.0
	s_delay_alu instid0(VALU_DEP_1) | instskip(SKIP_4) | instid1(VALU_DEP_4)
	v_fmac_f32_e32 v20, v13, v20
	v_alignbit_b32 v13, v12, v11, 16
	v_and_b32_e32 v11, 0xffff0000, v11
	v_and_b32_e32 v10, 0xffff0000, v10
	;; [unrolled: 1-line block ×3, first 2 shown]
	v_dual_mul_f32 v22, v21, v20 :: v_dual_and_b32 v23, 0xffff0000, v13
	s_delay_alu instid0(VALU_DEP_4) | instskip(NEXT) | instid1(VALU_DEP_3)
	v_add_f32_e32 v13, v14, v11
	v_add_f32_e32 v12, v10, v12
	s_delay_alu instid0(VALU_DEP_3) | instskip(NEXT) | instid1(VALU_DEP_3)
	v_fma_f32 v11, -v19, v22, v21
	v_bfe_u32 v10, v13, 16, 1
	s_delay_alu instid0(VALU_DEP_2) | instskip(NEXT) | instid1(VALU_DEP_4)
	v_fmac_f32_e32 v22, v11, v20
	v_bfe_u32 v11, v12, 16, 1
	s_delay_alu instid0(VALU_DEP_3) | instskip(NEXT) | instid1(VALU_DEP_2)
	v_add3_u32 v10, v13, v10, 0x7fff
	v_add3_u32 v11, v12, v11, 0x7fff
	s_delay_alu instid0(VALU_DEP_2) | instskip(NEXT) | instid1(VALU_DEP_2)
	v_and_b32_e32 v10, 0xffff0000, v10
	v_and_b32_e32 v11, 0xffff0000, v11
	v_fma_f32 v19, -v19, v22, v21
	s_delay_alu instid0(VALU_DEP_1) | instskip(SKIP_3) | instid1(VALU_DEP_4)
	v_div_fmas_f32 v19, v19, v20, v22
	v_cmp_o_f32_e32 vcc_lo, v13, v13
	v_add_f32_e32 v14, v9, v23
	v_bfe_u32 v9, v15, 16, 1
	v_div_fixup_f32 v18, v19, v6, v18
	v_cndmask_b32_e32 v19, 0x7fc00000, v10, vcc_lo
	s_delay_alu instid0(VALU_DEP_4) | instskip(NEXT) | instid1(VALU_DEP_4)
	v_bfe_u32 v23, v14, 16, 1
	v_add3_u32 v9, v15, v9, 0x7fff
	v_cmp_o_f32_e32 vcc_lo, v15, v15
	v_minmax_f32 v10, v18, s7, 0xc3e00000
	s_delay_alu instid0(VALU_DEP_4) | instskip(NEXT) | instid1(VALU_DEP_4)
	v_add3_u32 v21, v14, v23, 0x7fff
	v_lshrrev_b32_e32 v9, 16, v9
	s_delay_alu instid0(VALU_DEP_3) | instskip(NEXT) | instid1(VALU_DEP_3)
	v_and_b32_e32 v15, 0x7fffffff, v10
	v_lshrrev_b32_e32 v20, 16, v21
	s_delay_alu instid0(VALU_DEP_3)
	v_cndmask_b32_e32 v9, 0x7fc0, v9, vcc_lo
	v_cmp_o_f32_e32 vcc_lo, v12, v12
	v_cndmask_b32_e32 v11, 0x7fc00000, v11, vcc_lo
	v_cmp_o_f32_e32 vcc_lo, v14, v14
	v_cndmask_b32_e32 v18, 0x7fc0, v20, vcc_lo
	v_or_b32_e32 v20, v9, v19
	v_mov_b32_e32 v9, 0x7f
	s_delay_alu instid0(VALU_DEP_3) | instskip(NEXT) | instid1(VALU_DEP_3)
	v_or3_b32 v19, 0, v18, v11
	v_or3_b32 v18, v20, 0, 0
	v_mov_b32_e32 v11, 0x7f
	global_store_b64 v[16:17], v[18:19], off
	v_cmpx_gt_u32_e32 0x43f00000, v15
	s_cbranch_execz .LBB78_94
; %bb.89:                               ;   in Loop: Header=BB78_63 Depth=1
	s_mov_b32 s13, exec_lo
                                        ; implicit-def: $vgpr11
	v_cmpx_lt_u32_e32 0x3c7fffff, v15
	s_xor_b32 s13, exec_lo, s13
; %bb.90:                               ;   in Loop: Header=BB78_63 Depth=1
	v_bfe_u32 v11, v10, 20, 1
	s_delay_alu instid0(VALU_DEP_1) | instskip(NEXT) | instid1(VALU_DEP_1)
	v_add3_u32 v11, v10, v11, 0x407ffff
	v_lshrrev_b32_e32 v11, 20, v11
; %bb.91:                               ;   in Loop: Header=BB78_63 Depth=1
	s_and_not1_saveexec_b32 s13, s13
; %bb.92:                               ;   in Loop: Header=BB78_63 Depth=1
	v_add_f32_e64 v11, 0x46800000, |v10|
; %bb.93:                               ;   in Loop: Header=BB78_63 Depth=1
	s_or_b32 exec_lo, exec_lo, s13
.LBB78_94:                              ;   in Loop: Header=BB78_63 Depth=1
	s_delay_alu instid0(SALU_CYCLE_1) | instskip(SKIP_2) | instid1(VALU_DEP_1)
	s_or_b32 exec_lo, exec_lo, s12
	v_dual_mul_f32 v13, v28, v13 :: v_dual_and_b32 v16, 0xffff0000, v4
	s_mov_b32 s12, exec_lo
	v_bfe_u32 v15, v13, 16, 1
	v_cmp_o_f32_e32 vcc_lo, v13, v13
	s_delay_alu instid0(VALU_DEP_2) | instskip(NEXT) | instid1(VALU_DEP_1)
	v_add3_u32 v15, v13, v15, 0x7fff
	v_and_b32_e32 v15, 0xffff0000, v15
	s_delay_alu instid0(VALU_DEP_1) | instskip(NEXT) | instid1(VALU_DEP_1)
	v_cndmask_b32_e32 v13, 0x7fc00000, v15, vcc_lo
	v_mul_f32_e32 v13, v13, v16
	s_delay_alu instid0(VALU_DEP_1) | instskip(SKIP_1) | instid1(VALU_DEP_2)
	v_bfe_u32 v15, v13, 16, 1
	v_cmp_o_f32_e32 vcc_lo, v13, v13
	v_add3_u32 v15, v13, v15, 0x7fff
	s_delay_alu instid0(VALU_DEP_1) | instskip(NEXT) | instid1(VALU_DEP_1)
	v_and_b32_e32 v15, 0xffff0000, v15
	v_cndmask_b32_e32 v13, 0x7fc00000, v15, vcc_lo
	s_delay_alu instid0(VALU_DEP_1) | instskip(NEXT) | instid1(VALU_DEP_1)
	v_div_scale_f32 v15, null, v6, v6, v13
	v_rcp_f32_e32 v16, v15
	s_waitcnt_depctr 0xfff
	v_fma_f32 v17, -v15, v16, 1.0
	s_delay_alu instid0(VALU_DEP_1) | instskip(SKIP_1) | instid1(VALU_DEP_1)
	v_fmac_f32_e32 v16, v17, v16
	v_div_scale_f32 v17, vcc_lo, v13, v6, v13
	v_mul_f32_e32 v18, v17, v16
	s_delay_alu instid0(VALU_DEP_1) | instskip(NEXT) | instid1(VALU_DEP_1)
	v_fma_f32 v19, -v15, v18, v17
	v_fmac_f32_e32 v18, v19, v16
	s_delay_alu instid0(VALU_DEP_1) | instskip(NEXT) | instid1(VALU_DEP_1)
	v_fma_f32 v15, -v15, v18, v17
	v_div_fmas_f32 v15, v15, v16, v18
	s_delay_alu instid0(VALU_DEP_1) | instskip(NEXT) | instid1(VALU_DEP_1)
	v_div_fixup_f32 v13, v15, v6, v13
	v_minmax_f32 v13, v13, s7, 0xc3e00000
	s_delay_alu instid0(VALU_DEP_1) | instskip(NEXT) | instid1(VALU_DEP_1)
	v_and_b32_e32 v15, 0x7fffffff, v13
	v_cmpx_gt_u32_e32 0x43f00000, v15
	s_cbranch_execz .LBB78_100
; %bb.95:                               ;   in Loop: Header=BB78_63 Depth=1
	s_mov_b32 s13, exec_lo
                                        ; implicit-def: $vgpr9
	v_cmpx_lt_u32_e32 0x3c7fffff, v15
	s_xor_b32 s13, exec_lo, s13
; %bb.96:                               ;   in Loop: Header=BB78_63 Depth=1
	v_bfe_u32 v9, v13, 20, 1
	s_delay_alu instid0(VALU_DEP_1) | instskip(NEXT) | instid1(VALU_DEP_1)
	v_add3_u32 v9, v13, v9, 0x407ffff
	v_lshrrev_b32_e32 v9, 20, v9
; %bb.97:                               ;   in Loop: Header=BB78_63 Depth=1
	s_and_not1_saveexec_b32 s13, s13
; %bb.98:                               ;   in Loop: Header=BB78_63 Depth=1
	v_add_f32_e64 v9, 0x46800000, |v13|
; %bb.99:                               ;   in Loop: Header=BB78_63 Depth=1
	s_or_b32 exec_lo, exec_lo, s13
.LBB78_100:                             ;   in Loop: Header=BB78_63 Depth=1
	s_delay_alu instid0(SALU_CYCLE_1) | instskip(SKIP_3) | instid1(VALU_DEP_2)
	s_or_b32 exec_lo, exec_lo, s12
	v_mul_f32_e32 v14, v28, v14
	v_alignbit_b32 v4, v5, v4, 16
	s_mov_b32 s12, exec_lo
	v_bfe_u32 v15, v14, 16, 1
	s_delay_alu instid0(VALU_DEP_2) | instskip(NEXT) | instid1(VALU_DEP_2)
	v_and_b32_e32 v4, 0xffff0000, v4
	v_add3_u32 v15, v14, v15, 0x7fff
	s_delay_alu instid0(VALU_DEP_1) | instskip(SKIP_1) | instid1(VALU_DEP_2)
	v_and_b32_e32 v15, 0xffff0000, v15
	v_cmp_o_f32_e32 vcc_lo, v14, v14
	v_cndmask_b32_e32 v14, 0x7fc00000, v15, vcc_lo
	s_delay_alu instid0(VALU_DEP_1) | instskip(NEXT) | instid1(VALU_DEP_1)
	v_mul_f32_e32 v4, v14, v4
	v_bfe_u32 v14, v4, 16, 1
	v_cmp_o_f32_e32 vcc_lo, v4, v4
	s_delay_alu instid0(VALU_DEP_2) | instskip(NEXT) | instid1(VALU_DEP_1)
	v_add3_u32 v14, v4, v14, 0x7fff
	v_and_b32_e32 v14, 0xffff0000, v14
	s_delay_alu instid0(VALU_DEP_1) | instskip(NEXT) | instid1(VALU_DEP_1)
	v_cndmask_b32_e32 v4, 0x7fc00000, v14, vcc_lo
	v_div_scale_f32 v14, null, v6, v6, v4
	v_div_scale_f32 v17, vcc_lo, v4, v6, v4
	s_delay_alu instid0(VALU_DEP_2) | instskip(SKIP_2) | instid1(VALU_DEP_1)
	v_rcp_f32_e32 v15, v14
	s_waitcnt_depctr 0xfff
	v_fma_f32 v16, -v14, v15, 1.0
	v_fmac_f32_e32 v15, v16, v15
	s_delay_alu instid0(VALU_DEP_1) | instskip(NEXT) | instid1(VALU_DEP_1)
	v_mul_f32_e32 v16, v17, v15
	v_fma_f32 v18, -v14, v16, v17
	s_delay_alu instid0(VALU_DEP_1) | instskip(NEXT) | instid1(VALU_DEP_1)
	v_fmac_f32_e32 v16, v18, v15
	v_fma_f32 v14, -v14, v16, v17
	s_delay_alu instid0(VALU_DEP_1) | instskip(NEXT) | instid1(VALU_DEP_1)
	v_div_fmas_f32 v14, v14, v15, v16
	v_div_fixup_f32 v4, v14, v6, v4
	v_mov_b32_e32 v14, 0x7f
	s_delay_alu instid0(VALU_DEP_2) | instskip(SKIP_1) | instid1(VALU_DEP_2)
	v_minmax_f32 v15, v4, s7, 0xc3e00000
	v_mov_b32_e32 v4, 0x7f
	v_and_b32_e32 v16, 0x7fffffff, v15
	s_delay_alu instid0(VALU_DEP_1)
	v_cmpx_gt_u32_e32 0x43f00000, v16
	s_cbranch_execz .LBB78_106
; %bb.101:                              ;   in Loop: Header=BB78_63 Depth=1
	s_mov_b32 s13, exec_lo
                                        ; implicit-def: $vgpr14
	v_cmpx_lt_u32_e32 0x3c7fffff, v16
	s_xor_b32 s13, exec_lo, s13
; %bb.102:                              ;   in Loop: Header=BB78_63 Depth=1
	v_bfe_u32 v14, v15, 20, 1
	s_delay_alu instid0(VALU_DEP_1) | instskip(NEXT) | instid1(VALU_DEP_1)
	v_add3_u32 v14, v15, v14, 0x407ffff
	v_lshrrev_b32_e32 v14, 20, v14
; %bb.103:                              ;   in Loop: Header=BB78_63 Depth=1
	s_and_not1_saveexec_b32 s13, s13
; %bb.104:                              ;   in Loop: Header=BB78_63 Depth=1
	v_add_f32_e64 v14, 0x46800000, |v15|
; %bb.105:                              ;   in Loop: Header=BB78_63 Depth=1
	s_or_b32 exec_lo, exec_lo, s13
.LBB78_106:                             ;   in Loop: Header=BB78_63 Depth=1
	s_delay_alu instid0(SALU_CYCLE_1) | instskip(SKIP_2) | instid1(VALU_DEP_1)
	s_or_b32 exec_lo, exec_lo, s12
	v_dual_mul_f32 v12, v28, v12 :: v_dual_and_b32 v5, 0xffff0000, v5
	s_mov_b32 s12, exec_lo
	v_bfe_u32 v16, v12, 16, 1
	v_cmp_o_f32_e32 vcc_lo, v12, v12
	s_delay_alu instid0(VALU_DEP_2) | instskip(NEXT) | instid1(VALU_DEP_1)
	v_add3_u32 v16, v12, v16, 0x7fff
	v_and_b32_e32 v16, 0xffff0000, v16
	s_delay_alu instid0(VALU_DEP_1) | instskip(NEXT) | instid1(VALU_DEP_1)
	v_cndmask_b32_e32 v12, 0x7fc00000, v16, vcc_lo
	v_mul_f32_e32 v5, v12, v5
	s_delay_alu instid0(VALU_DEP_1) | instskip(SKIP_1) | instid1(VALU_DEP_2)
	v_bfe_u32 v12, v5, 16, 1
	v_cmp_o_f32_e32 vcc_lo, v5, v5
	v_add3_u32 v12, v5, v12, 0x7fff
	s_delay_alu instid0(VALU_DEP_1) | instskip(NEXT) | instid1(VALU_DEP_1)
	v_and_b32_e32 v12, 0xffff0000, v12
	v_cndmask_b32_e32 v5, 0x7fc00000, v12, vcc_lo
	s_delay_alu instid0(VALU_DEP_1) | instskip(NEXT) | instid1(VALU_DEP_1)
	v_div_scale_f32 v12, null, v6, v6, v5
	v_rcp_f32_e32 v16, v12
	s_waitcnt_depctr 0xfff
	v_fma_f32 v17, -v12, v16, 1.0
	s_delay_alu instid0(VALU_DEP_1) | instskip(SKIP_1) | instid1(VALU_DEP_1)
	v_fmac_f32_e32 v16, v17, v16
	v_div_scale_f32 v17, vcc_lo, v5, v6, v5
	v_mul_f32_e32 v18, v17, v16
	s_delay_alu instid0(VALU_DEP_1) | instskip(NEXT) | instid1(VALU_DEP_1)
	v_fma_f32 v19, -v12, v18, v17
	v_fmac_f32_e32 v18, v19, v16
	s_delay_alu instid0(VALU_DEP_1) | instskip(NEXT) | instid1(VALU_DEP_1)
	v_fma_f32 v12, -v12, v18, v17
	v_div_fmas_f32 v12, v12, v16, v18
	s_delay_alu instid0(VALU_DEP_1) | instskip(NEXT) | instid1(VALU_DEP_1)
	v_div_fixup_f32 v5, v12, v6, v5
	v_minmax_f32 v5, v5, s7, 0xc3e00000
	s_delay_alu instid0(VALU_DEP_1) | instskip(NEXT) | instid1(VALU_DEP_1)
	v_and_b32_e32 v6, 0x7fffffff, v5
	v_cmpx_gt_u32_e32 0x43f00000, v6
	s_cbranch_execz .LBB78_112
; %bb.107:                              ;   in Loop: Header=BB78_63 Depth=1
	s_mov_b32 s13, exec_lo
                                        ; implicit-def: $vgpr4
	v_cmpx_lt_u32_e32 0x3c7fffff, v6
	s_xor_b32 s13, exec_lo, s13
; %bb.108:                              ;   in Loop: Header=BB78_63 Depth=1
	v_bfe_u32 v4, v5, 20, 1
	s_delay_alu instid0(VALU_DEP_1) | instskip(NEXT) | instid1(VALU_DEP_1)
	v_add3_u32 v4, v5, v4, 0x407ffff
	v_lshrrev_b32_e32 v4, 20, v4
; %bb.109:                              ;   in Loop: Header=BB78_63 Depth=1
	s_and_not1_saveexec_b32 s13, s13
; %bb.110:                              ;   in Loop: Header=BB78_63 Depth=1
	v_add_f32_e64 v4, 0x46800000, |v5|
; %bb.111:                              ;   in Loop: Header=BB78_63 Depth=1
	s_or_b32 exec_lo, exec_lo, s13
.LBB78_112:                             ;   in Loop: Header=BB78_63 Depth=1
	s_delay_alu instid0(SALU_CYCLE_1)
	s_or_b32 exec_lo, exec_lo, s12
	v_lshrrev_b32_e32 v6, 24, v15
	v_lshrrev_b32_e32 v12, 24, v13
	;; [unrolled: 1-line block ×3, first 2 shown]
	v_lshlrev_b32_e32 v13, 24, v4
	v_and_b32_e32 v11, 0xff, v11
	v_and_b32_e32 v6, 0x80, v6
	;; [unrolled: 1-line block ×3, first 2 shown]
	s_mov_b32 s13, -1
	s_mov_b32 s12, exec_lo
	v_and_or_b32 v10, 0x80, v10, v11
	v_and_or_b32 v6, 0xff, v14, v6
	v_and_b32_e32 v14, 0x80000000, v5
	v_and_or_b32 v9, 0xff, v9, v12
	v_lshlrev_b64 v[4:5], 2, v[2:3]
	v_add_nc_u32_e32 v3, s3, v0
	v_lshlrev_b32_e32 v6, 16, v6
	s_delay_alu instid0(VALU_DEP_4) | instskip(NEXT) | instid1(VALU_DEP_4)
	v_lshlrev_b32_e32 v9, 8, v9
	v_add_co_u32 v4, vcc_lo, s0, v4
	s_delay_alu instid0(VALU_DEP_3) | instskip(SKIP_1) | instid1(VALU_DEP_2)
	v_or3_b32 v6, v14, v13, v6
	v_add_co_ci_u32_e32 v5, vcc_lo, s1, v5, vcc_lo
	v_or3_b32 v6, v6, v9, v10
	global_store_b32 v[4:5], v6, off
	v_cmpx_gt_u32_e64 s14, v3
	s_cbranch_execz .LBB78_61
; %bb.113:                              ;   in Loop: Header=BB78_63 Depth=1
	v_bfe_u32 v19, v3, 4, 26
	s_mov_b32 s13, exec_lo
	s_delay_alu instid0(VALU_DEP_1) | instskip(SKIP_1) | instid1(VALU_DEP_1)
	v_mad_u64_u32 v[14:15], null, v7, v19, 0
	v_mov_b32_e32 v4, v1
	v_lshlrev_b64 v[5:6], 3, v[3:4]
	s_delay_alu instid0(VALU_DEP_1) | instskip(NEXT) | instid1(VALU_DEP_2)
	v_add_co_u32 v9, vcc_lo, s30, v5
	v_add_co_ci_u32_e32 v10, vcc_lo, s31, v6, vcc_lo
	v_add_co_u32 v17, vcc_lo, s33, v5
	v_add_co_ci_u32_e32 v18, vcc_lo, s34, v6, vcc_lo
	global_load_b64 v[10:11], v[9:10], off
	global_load_b64 v[12:13], v[17:18], off
	v_mov_b32_e32 v9, v15
	v_add_co_u32 v5, vcc_lo, s10, v5
	v_add_co_ci_u32_e32 v6, vcc_lo, s11, v6, vcc_lo
	global_load_b64 v[5:6], v[5:6], off
	s_waitcnt vmcnt(2)
	v_mad_u64_u32 v[15:16], null, v8, v19, v[9:10]
	s_delay_alu instid0(VALU_DEP_1) | instskip(SKIP_2) | instid1(VALU_DEP_2)
	v_lshlrev_b64 v[14:15], 2, v[14:15]
	s_waitcnt vmcnt(0)
	v_lshlrev_b32_e32 v19, 16, v5
	v_add_co_u32 v14, vcc_lo, s4, v14
	s_delay_alu instid0(VALU_DEP_3) | instskip(SKIP_3) | instid1(VALU_DEP_1)
	v_add_co_ci_u32_e32 v15, vcc_lo, s5, v15, vcc_lo
	global_load_b32 v9, v[14:15], off
	v_lshlrev_b32_e32 v14, 16, v10
	v_lshlrev_b32_e32 v15, 16, v12
	v_add_f32_e32 v16, v14, v15
	s_delay_alu instid0(VALU_DEP_1) | instskip(NEXT) | instid1(VALU_DEP_1)
	v_mul_f32_e32 v14, v28, v16
	v_bfe_u32 v15, v14, 16, 1
	s_delay_alu instid0(VALU_DEP_1) | instskip(NEXT) | instid1(VALU_DEP_1)
	v_add3_u32 v15, v14, v15, 0x7fff
	v_and_b32_e32 v15, 0xffff0000, v15
	v_cmp_o_f32_e32 vcc_lo, v14, v14
	s_delay_alu instid0(VALU_DEP_2) | instskip(NEXT) | instid1(VALU_DEP_1)
	v_cndmask_b32_e32 v14, 0x7fc00000, v15, vcc_lo
	v_mul_f32_e32 v14, v14, v19
	s_delay_alu instid0(VALU_DEP_1) | instskip(SKIP_1) | instid1(VALU_DEP_2)
	v_bfe_u32 v15, v14, 16, 1
	v_cmp_o_f32_e32 vcc_lo, v14, v14
	v_add3_u32 v15, v14, v15, 0x7fff
	s_delay_alu instid0(VALU_DEP_1) | instskip(NEXT) | instid1(VALU_DEP_1)
	v_and_b32_e32 v15, 0xffff0000, v15
	v_cndmask_b32_e32 v19, 0x7fc00000, v15, vcc_lo
	v_and_b32_e32 v15, 0xffff0000, v10
	v_alignbit_b32 v10, v11, v10, 16
	s_delay_alu instid0(VALU_DEP_1) | instskip(SKIP_3) | instid1(VALU_DEP_2)
	v_and_b32_e32 v10, 0xffff0000, v10
	s_waitcnt vmcnt(0)
	v_div_scale_f32 v20, null, v9, v9, v19
	v_div_scale_f32 v22, vcc_lo, v19, v9, v19
	v_rcp_f32_e32 v21, v20
	s_waitcnt_depctr 0xfff
	v_fma_f32 v14, -v20, v21, 1.0
	s_delay_alu instid0(VALU_DEP_1) | instskip(SKIP_4) | instid1(VALU_DEP_4)
	v_fmac_f32_e32 v21, v14, v21
	v_alignbit_b32 v14, v13, v12, 16
	v_and_b32_e32 v12, 0xffff0000, v12
	v_and_b32_e32 v11, 0xffff0000, v11
	;; [unrolled: 1-line block ×3, first 2 shown]
	v_dual_mul_f32 v23, v22, v21 :: v_dual_and_b32 v24, 0xffff0000, v14
	s_delay_alu instid0(VALU_DEP_4) | instskip(NEXT) | instid1(VALU_DEP_3)
	v_add_f32_e32 v14, v15, v12
	v_add_f32_e32 v13, v11, v13
	s_delay_alu instid0(VALU_DEP_3) | instskip(NEXT) | instid1(VALU_DEP_3)
	v_fma_f32 v12, -v20, v23, v22
	v_bfe_u32 v11, v14, 16, 1
	s_delay_alu instid0(VALU_DEP_2) | instskip(NEXT) | instid1(VALU_DEP_4)
	v_fmac_f32_e32 v23, v12, v21
	v_bfe_u32 v12, v13, 16, 1
	s_delay_alu instid0(VALU_DEP_3) | instskip(NEXT) | instid1(VALU_DEP_2)
	v_add3_u32 v11, v14, v11, 0x7fff
	v_add3_u32 v12, v13, v12, 0x7fff
	s_delay_alu instid0(VALU_DEP_2) | instskip(NEXT) | instid1(VALU_DEP_2)
	v_and_b32_e32 v11, 0xffff0000, v11
	v_and_b32_e32 v12, 0xffff0000, v12
	v_fma_f32 v20, -v20, v23, v22
	s_delay_alu instid0(VALU_DEP_1) | instskip(SKIP_3) | instid1(VALU_DEP_4)
	v_div_fmas_f32 v20, v20, v21, v23
	v_cmp_o_f32_e32 vcc_lo, v14, v14
	v_add_f32_e32 v15, v10, v24
	v_bfe_u32 v10, v16, 16, 1
	v_div_fixup_f32 v19, v20, v9, v19
	v_cndmask_b32_e32 v20, 0x7fc00000, v11, vcc_lo
	s_delay_alu instid0(VALU_DEP_4) | instskip(NEXT) | instid1(VALU_DEP_4)
	v_bfe_u32 v24, v15, 16, 1
	v_add3_u32 v10, v16, v10, 0x7fff
	v_cmp_o_f32_e32 vcc_lo, v16, v16
	v_minmax_f32 v11, v19, s7, 0xc3e00000
	s_delay_alu instid0(VALU_DEP_4) | instskip(NEXT) | instid1(VALU_DEP_4)
	v_add3_u32 v22, v15, v24, 0x7fff
	v_lshrrev_b32_e32 v10, 16, v10
	s_delay_alu instid0(VALU_DEP_3) | instskip(NEXT) | instid1(VALU_DEP_3)
	v_and_b32_e32 v16, 0x7fffffff, v11
	v_lshrrev_b32_e32 v21, 16, v22
	s_delay_alu instid0(VALU_DEP_3)
	v_cndmask_b32_e32 v10, 0x7fc0, v10, vcc_lo
	v_cmp_o_f32_e32 vcc_lo, v13, v13
	v_cndmask_b32_e32 v12, 0x7fc00000, v12, vcc_lo
	v_cmp_o_f32_e32 vcc_lo, v15, v15
	v_cndmask_b32_e32 v19, 0x7fc0, v21, vcc_lo
	v_or_b32_e32 v21, v10, v20
	v_mov_b32_e32 v10, 0x7f
	s_delay_alu instid0(VALU_DEP_3) | instskip(NEXT) | instid1(VALU_DEP_3)
	v_or3_b32 v20, 0, v19, v12
	v_or3_b32 v19, v21, 0, 0
	v_mov_b32_e32 v12, 0x7f
	global_store_b64 v[17:18], v[19:20], off
	v_cmpx_gt_u32_e32 0x43f00000, v16
	s_cbranch_execz .LBB78_119
; %bb.114:                              ;   in Loop: Header=BB78_63 Depth=1
	s_mov_b32 s15, exec_lo
                                        ; implicit-def: $vgpr12
	v_cmpx_lt_u32_e32 0x3c7fffff, v16
	s_xor_b32 s15, exec_lo, s15
; %bb.115:                              ;   in Loop: Header=BB78_63 Depth=1
	v_bfe_u32 v12, v11, 20, 1
	s_delay_alu instid0(VALU_DEP_1) | instskip(NEXT) | instid1(VALU_DEP_1)
	v_add3_u32 v12, v11, v12, 0x407ffff
	v_lshrrev_b32_e32 v12, 20, v12
; %bb.116:                              ;   in Loop: Header=BB78_63 Depth=1
	s_and_not1_saveexec_b32 s15, s15
; %bb.117:                              ;   in Loop: Header=BB78_63 Depth=1
	v_add_f32_e64 v12, 0x46800000, |v11|
; %bb.118:                              ;   in Loop: Header=BB78_63 Depth=1
	s_or_b32 exec_lo, exec_lo, s15
.LBB78_119:                             ;   in Loop: Header=BB78_63 Depth=1
	s_delay_alu instid0(SALU_CYCLE_1) | instskip(SKIP_2) | instid1(VALU_DEP_1)
	s_or_b32 exec_lo, exec_lo, s13
	v_dual_mul_f32 v14, v28, v14 :: v_dual_and_b32 v17, 0xffff0000, v5
	s_mov_b32 s13, exec_lo
	v_bfe_u32 v16, v14, 16, 1
	v_cmp_o_f32_e32 vcc_lo, v14, v14
	s_delay_alu instid0(VALU_DEP_2) | instskip(NEXT) | instid1(VALU_DEP_1)
	v_add3_u32 v16, v14, v16, 0x7fff
	v_and_b32_e32 v16, 0xffff0000, v16
	s_delay_alu instid0(VALU_DEP_1) | instskip(NEXT) | instid1(VALU_DEP_1)
	v_cndmask_b32_e32 v14, 0x7fc00000, v16, vcc_lo
	v_mul_f32_e32 v14, v14, v17
	s_delay_alu instid0(VALU_DEP_1) | instskip(SKIP_1) | instid1(VALU_DEP_2)
	v_bfe_u32 v16, v14, 16, 1
	v_cmp_o_f32_e32 vcc_lo, v14, v14
	v_add3_u32 v16, v14, v16, 0x7fff
	s_delay_alu instid0(VALU_DEP_1) | instskip(NEXT) | instid1(VALU_DEP_1)
	v_and_b32_e32 v16, 0xffff0000, v16
	v_cndmask_b32_e32 v14, 0x7fc00000, v16, vcc_lo
	s_delay_alu instid0(VALU_DEP_1) | instskip(NEXT) | instid1(VALU_DEP_1)
	v_div_scale_f32 v16, null, v9, v9, v14
	v_rcp_f32_e32 v17, v16
	s_waitcnt_depctr 0xfff
	v_fma_f32 v18, -v16, v17, 1.0
	s_delay_alu instid0(VALU_DEP_1) | instskip(SKIP_1) | instid1(VALU_DEP_1)
	v_fmac_f32_e32 v17, v18, v17
	v_div_scale_f32 v18, vcc_lo, v14, v9, v14
	v_mul_f32_e32 v19, v18, v17
	s_delay_alu instid0(VALU_DEP_1) | instskip(NEXT) | instid1(VALU_DEP_1)
	v_fma_f32 v20, -v16, v19, v18
	v_fmac_f32_e32 v19, v20, v17
	s_delay_alu instid0(VALU_DEP_1) | instskip(NEXT) | instid1(VALU_DEP_1)
	v_fma_f32 v16, -v16, v19, v18
	v_div_fmas_f32 v16, v16, v17, v19
	s_delay_alu instid0(VALU_DEP_1) | instskip(NEXT) | instid1(VALU_DEP_1)
	v_div_fixup_f32 v14, v16, v9, v14
	v_minmax_f32 v14, v14, s7, 0xc3e00000
	s_delay_alu instid0(VALU_DEP_1) | instskip(NEXT) | instid1(VALU_DEP_1)
	v_and_b32_e32 v16, 0x7fffffff, v14
	v_cmpx_gt_u32_e32 0x43f00000, v16
	s_cbranch_execz .LBB78_125
; %bb.120:                              ;   in Loop: Header=BB78_63 Depth=1
	s_mov_b32 s15, exec_lo
                                        ; implicit-def: $vgpr10
	v_cmpx_lt_u32_e32 0x3c7fffff, v16
	s_xor_b32 s15, exec_lo, s15
; %bb.121:                              ;   in Loop: Header=BB78_63 Depth=1
	v_bfe_u32 v10, v14, 20, 1
	s_delay_alu instid0(VALU_DEP_1) | instskip(NEXT) | instid1(VALU_DEP_1)
	v_add3_u32 v10, v14, v10, 0x407ffff
	v_lshrrev_b32_e32 v10, 20, v10
; %bb.122:                              ;   in Loop: Header=BB78_63 Depth=1
	s_and_not1_saveexec_b32 s15, s15
; %bb.123:                              ;   in Loop: Header=BB78_63 Depth=1
	v_add_f32_e64 v10, 0x46800000, |v14|
; %bb.124:                              ;   in Loop: Header=BB78_63 Depth=1
	s_or_b32 exec_lo, exec_lo, s15
.LBB78_125:                             ;   in Loop: Header=BB78_63 Depth=1
	s_delay_alu instid0(SALU_CYCLE_1) | instskip(SKIP_3) | instid1(VALU_DEP_2)
	s_or_b32 exec_lo, exec_lo, s13
	v_mul_f32_e32 v15, v28, v15
	v_alignbit_b32 v5, v6, v5, 16
	s_mov_b32 s13, exec_lo
	v_bfe_u32 v16, v15, 16, 1
	s_delay_alu instid0(VALU_DEP_2) | instskip(NEXT) | instid1(VALU_DEP_2)
	v_and_b32_e32 v5, 0xffff0000, v5
	v_add3_u32 v16, v15, v16, 0x7fff
	s_delay_alu instid0(VALU_DEP_1) | instskip(SKIP_1) | instid1(VALU_DEP_2)
	v_and_b32_e32 v16, 0xffff0000, v16
	v_cmp_o_f32_e32 vcc_lo, v15, v15
	v_cndmask_b32_e32 v15, 0x7fc00000, v16, vcc_lo
	s_delay_alu instid0(VALU_DEP_1) | instskip(NEXT) | instid1(VALU_DEP_1)
	v_mul_f32_e32 v5, v15, v5
	v_bfe_u32 v15, v5, 16, 1
	v_cmp_o_f32_e32 vcc_lo, v5, v5
	s_delay_alu instid0(VALU_DEP_2) | instskip(NEXT) | instid1(VALU_DEP_1)
	v_add3_u32 v15, v5, v15, 0x7fff
	v_and_b32_e32 v15, 0xffff0000, v15
	s_delay_alu instid0(VALU_DEP_1) | instskip(NEXT) | instid1(VALU_DEP_1)
	v_cndmask_b32_e32 v5, 0x7fc00000, v15, vcc_lo
	v_div_scale_f32 v15, null, v9, v9, v5
	v_div_scale_f32 v18, vcc_lo, v5, v9, v5
	s_delay_alu instid0(VALU_DEP_2) | instskip(SKIP_2) | instid1(VALU_DEP_1)
	v_rcp_f32_e32 v16, v15
	s_waitcnt_depctr 0xfff
	v_fma_f32 v17, -v15, v16, 1.0
	v_fmac_f32_e32 v16, v17, v16
	s_delay_alu instid0(VALU_DEP_1) | instskip(NEXT) | instid1(VALU_DEP_1)
	v_mul_f32_e32 v17, v18, v16
	v_fma_f32 v19, -v15, v17, v18
	s_delay_alu instid0(VALU_DEP_1) | instskip(NEXT) | instid1(VALU_DEP_1)
	v_fmac_f32_e32 v17, v19, v16
	v_fma_f32 v15, -v15, v17, v18
	s_delay_alu instid0(VALU_DEP_1) | instskip(NEXT) | instid1(VALU_DEP_1)
	v_div_fmas_f32 v15, v15, v16, v17
	v_div_fixup_f32 v5, v15, v9, v5
	v_mov_b32_e32 v15, 0x7f
	s_delay_alu instid0(VALU_DEP_2) | instskip(SKIP_1) | instid1(VALU_DEP_2)
	v_minmax_f32 v16, v5, s7, 0xc3e00000
	v_mov_b32_e32 v5, 0x7f
	v_and_b32_e32 v17, 0x7fffffff, v16
	s_delay_alu instid0(VALU_DEP_1)
	v_cmpx_gt_u32_e32 0x43f00000, v17
	s_cbranch_execz .LBB78_131
; %bb.126:                              ;   in Loop: Header=BB78_63 Depth=1
	s_mov_b32 s15, exec_lo
                                        ; implicit-def: $vgpr15
	v_cmpx_lt_u32_e32 0x3c7fffff, v17
	s_xor_b32 s15, exec_lo, s15
; %bb.127:                              ;   in Loop: Header=BB78_63 Depth=1
	v_bfe_u32 v15, v16, 20, 1
	s_delay_alu instid0(VALU_DEP_1) | instskip(NEXT) | instid1(VALU_DEP_1)
	v_add3_u32 v15, v16, v15, 0x407ffff
	v_lshrrev_b32_e32 v15, 20, v15
; %bb.128:                              ;   in Loop: Header=BB78_63 Depth=1
	s_and_not1_saveexec_b32 s15, s15
; %bb.129:                              ;   in Loop: Header=BB78_63 Depth=1
	v_add_f32_e64 v15, 0x46800000, |v16|
; %bb.130:                              ;   in Loop: Header=BB78_63 Depth=1
	s_or_b32 exec_lo, exec_lo, s15
.LBB78_131:                             ;   in Loop: Header=BB78_63 Depth=1
	s_delay_alu instid0(SALU_CYCLE_1) | instskip(SKIP_2) | instid1(VALU_DEP_1)
	s_or_b32 exec_lo, exec_lo, s13
	v_dual_mul_f32 v13, v28, v13 :: v_dual_and_b32 v6, 0xffff0000, v6
	s_mov_b32 s13, exec_lo
	v_bfe_u32 v17, v13, 16, 1
	v_cmp_o_f32_e32 vcc_lo, v13, v13
	s_delay_alu instid0(VALU_DEP_2) | instskip(NEXT) | instid1(VALU_DEP_1)
	v_add3_u32 v17, v13, v17, 0x7fff
	v_and_b32_e32 v17, 0xffff0000, v17
	s_delay_alu instid0(VALU_DEP_1) | instskip(NEXT) | instid1(VALU_DEP_1)
	v_cndmask_b32_e32 v13, 0x7fc00000, v17, vcc_lo
	v_mul_f32_e32 v6, v13, v6
	s_delay_alu instid0(VALU_DEP_1) | instskip(SKIP_1) | instid1(VALU_DEP_2)
	v_bfe_u32 v13, v6, 16, 1
	v_cmp_o_f32_e32 vcc_lo, v6, v6
	v_add3_u32 v13, v6, v13, 0x7fff
	s_delay_alu instid0(VALU_DEP_1) | instskip(NEXT) | instid1(VALU_DEP_1)
	v_and_b32_e32 v13, 0xffff0000, v13
	v_cndmask_b32_e32 v6, 0x7fc00000, v13, vcc_lo
	s_delay_alu instid0(VALU_DEP_1) | instskip(NEXT) | instid1(VALU_DEP_1)
	v_div_scale_f32 v13, null, v9, v9, v6
	v_rcp_f32_e32 v17, v13
	s_waitcnt_depctr 0xfff
	v_fma_f32 v18, -v13, v17, 1.0
	s_delay_alu instid0(VALU_DEP_1) | instskip(SKIP_1) | instid1(VALU_DEP_1)
	v_fmac_f32_e32 v17, v18, v17
	v_div_scale_f32 v18, vcc_lo, v6, v9, v6
	v_mul_f32_e32 v19, v18, v17
	s_delay_alu instid0(VALU_DEP_1) | instskip(NEXT) | instid1(VALU_DEP_1)
	v_fma_f32 v20, -v13, v19, v18
	v_fmac_f32_e32 v19, v20, v17
	s_delay_alu instid0(VALU_DEP_1) | instskip(NEXT) | instid1(VALU_DEP_1)
	v_fma_f32 v13, -v13, v19, v18
	v_div_fmas_f32 v13, v13, v17, v19
	s_delay_alu instid0(VALU_DEP_1) | instskip(NEXT) | instid1(VALU_DEP_1)
	v_div_fixup_f32 v6, v13, v9, v6
	v_minmax_f32 v6, v6, s7, 0xc3e00000
	s_delay_alu instid0(VALU_DEP_1) | instskip(NEXT) | instid1(VALU_DEP_1)
	v_and_b32_e32 v9, 0x7fffffff, v6
	v_cmpx_gt_u32_e32 0x43f00000, v9
	s_cbranch_execz .LBB78_137
; %bb.132:                              ;   in Loop: Header=BB78_63 Depth=1
	s_mov_b32 s15, exec_lo
                                        ; implicit-def: $vgpr5
	v_cmpx_lt_u32_e32 0x3c7fffff, v9
	s_xor_b32 s15, exec_lo, s15
; %bb.133:                              ;   in Loop: Header=BB78_63 Depth=1
	v_bfe_u32 v5, v6, 20, 1
	s_delay_alu instid0(VALU_DEP_1) | instskip(NEXT) | instid1(VALU_DEP_1)
	v_add3_u32 v5, v6, v5, 0x407ffff
	v_lshrrev_b32_e32 v5, 20, v5
; %bb.134:                              ;   in Loop: Header=BB78_63 Depth=1
	s_and_not1_saveexec_b32 s15, s15
; %bb.135:                              ;   in Loop: Header=BB78_63 Depth=1
	v_add_f32_e64 v5, 0x46800000, |v6|
; %bb.136:                              ;   in Loop: Header=BB78_63 Depth=1
	s_or_b32 exec_lo, exec_lo, s15
.LBB78_137:                             ;   in Loop: Header=BB78_63 Depth=1
	s_delay_alu instid0(SALU_CYCLE_1)
	s_or_b32 exec_lo, exec_lo, s13
	v_lshrrev_b32_e32 v9, 24, v16
	v_lshrrev_b32_e32 v13, 24, v14
	;; [unrolled: 1-line block ×3, first 2 shown]
	v_lshlrev_b32_e32 v5, 24, v5
	v_and_b32_e32 v6, 0x80000000, v6
	v_and_b32_e32 v9, 0x80, v9
	;; [unrolled: 1-line block ×4, first 2 shown]
	v_lshlrev_b64 v[3:4], 2, v[3:4]
	v_add_nc_u32_e32 v0, s2, v0
	v_and_or_b32 v9, 0xff, v15, v9
	v_and_or_b32 v10, 0xff, v10, v13
	;; [unrolled: 1-line block ×3, first 2 shown]
	s_mov_b32 s15, -1
	v_add_co_u32 v3, vcc_lo, s0, v3
	v_lshlrev_b32_e32 v9, 16, v9
	v_lshlrev_b32_e32 v10, 8, v10
	v_add_co_ci_u32_e32 v4, vcc_lo, s1, v4, vcc_lo
	s_mov_b32 s13, exec_lo
	s_delay_alu instid0(VALU_DEP_3) | instskip(NEXT) | instid1(VALU_DEP_1)
	v_or3_b32 v5, v6, v5, v9
	v_or3_b32 v5, v5, v10, v11
	global_store_b32 v[3:4], v5, off
	v_cmpx_gt_u32_e64 s14, v0
	s_cbranch_execz .LBB78_60
; %bb.138:                              ;   in Loop: Header=BB78_63 Depth=1
	v_lshlrev_b64 v[3:4], 3, v[0:1]
	v_bfe_u32 v17, v0, 4, 26
	s_mov_b32 s15, exec_lo
	s_delay_alu instid0(VALU_DEP_2) | instskip(NEXT) | instid1(VALU_DEP_3)
	v_add_co_u32 v5, vcc_lo, s30, v3
	v_add_co_ci_u32_e32 v6, vcc_lo, s31, v4, vcc_lo
	v_add_co_u32 v15, vcc_lo, s33, v3
	v_add_co_ci_u32_e32 v16, vcc_lo, s34, v4, vcc_lo
	v_add_co_u32 v3, vcc_lo, s10, v3
	global_load_b64 v[9:10], v[5:6], off
	global_load_b64 v[11:12], v[15:16], off
	v_add_co_ci_u32_e32 v4, vcc_lo, s11, v4, vcc_lo
	v_mad_u64_u32 v[5:6], null, v7, v17, 0
	global_load_b64 v[3:4], v[3:4], off
	v_mad_u64_u32 v[13:14], null, v8, v17, v[6:7]
	s_waitcnt vmcnt(2)
	s_delay_alu instid0(VALU_DEP_1) | instskip(SKIP_2) | instid1(VALU_DEP_2)
	v_dual_mov_b32 v6, v13 :: v_dual_and_b32 v19, 0xffff0000, v9
	s_waitcnt vmcnt(1)
	v_lshlrev_b32_e32 v13, 16, v11
	v_lshlrev_b64 v[5:6], 2, v[5:6]
	v_and_b32_e32 v21, 0xffff0000, v12
	s_waitcnt vmcnt(0)
	v_lshlrev_b32_e32 v17, 16, v3
	s_delay_alu instid0(VALU_DEP_3) | instskip(NEXT) | instid1(VALU_DEP_4)
	v_add_co_u32 v5, vcc_lo, s4, v5
	v_add_co_ci_u32_e32 v6, vcc_lo, s5, v6, vcc_lo
	global_load_b32 v5, v[5:6], off
	v_lshlrev_b32_e32 v6, 16, v9
	v_alignbit_b32 v9, v10, v9, 16
	v_and_b32_e32 v10, 0xffff0000, v10
	s_delay_alu instid0(VALU_DEP_3) | instskip(NEXT) | instid1(VALU_DEP_3)
	v_add_f32_e32 v6, v6, v13
	v_and_b32_e32 v9, 0xffff0000, v9
	s_delay_alu instid0(VALU_DEP_2) | instskip(NEXT) | instid1(VALU_DEP_1)
	v_mul_f32_e32 v13, v28, v6
	v_bfe_u32 v14, v13, 16, 1
	v_cmp_o_f32_e32 vcc_lo, v13, v13
	s_delay_alu instid0(VALU_DEP_2) | instskip(NEXT) | instid1(VALU_DEP_1)
	v_add3_u32 v14, v13, v14, 0x7fff
	v_and_b32_e32 v14, 0xffff0000, v14
	s_delay_alu instid0(VALU_DEP_1) | instskip(NEXT) | instid1(VALU_DEP_1)
	v_cndmask_b32_e32 v13, 0x7fc00000, v14, vcc_lo
	v_mul_f32_e32 v13, v13, v17
	s_delay_alu instid0(VALU_DEP_1) | instskip(SKIP_1) | instid1(VALU_DEP_2)
	v_bfe_u32 v14, v13, 16, 1
	v_cmp_o_f32_e32 vcc_lo, v13, v13
	v_add3_u32 v14, v13, v14, 0x7fff
	s_delay_alu instid0(VALU_DEP_1) | instskip(NEXT) | instid1(VALU_DEP_1)
	v_and_b32_e32 v14, 0xffff0000, v14
	v_cndmask_b32_e32 v14, 0x7fc00000, v14, vcc_lo
	s_waitcnt vmcnt(0)
	s_delay_alu instid0(VALU_DEP_1) | instskip(NEXT) | instid1(VALU_DEP_1)
	v_div_scale_f32 v17, null, v5, v5, v14
	v_rcp_f32_e32 v18, v17
	s_waitcnt_depctr 0xfff
	v_fma_f32 v13, -v17, v18, 1.0
	s_delay_alu instid0(VALU_DEP_1) | instskip(SKIP_1) | instid1(VALU_DEP_1)
	v_fmac_f32_e32 v18, v13, v18
	v_alignbit_b32 v13, v12, v11, 16
	v_and_b32_e32 v13, 0xffff0000, v13
	s_delay_alu instid0(VALU_DEP_1) | instskip(SKIP_3) | instid1(VALU_DEP_3)
	v_add_f32_e32 v13, v9, v13
	v_div_scale_f32 v20, vcc_lo, v14, v5, v14
	v_and_b32_e32 v11, 0xffff0000, v11
	v_bfe_u32 v9, v6, 16, 1
	v_mul_f32_e32 v22, v20, v18
	s_delay_alu instid0(VALU_DEP_3) | instskip(NEXT) | instid1(VALU_DEP_3)
	v_add_f32_e32 v12, v19, v11
	v_add3_u32 v9, v6, v9, 0x7fff
	s_delay_alu instid0(VALU_DEP_3) | instskip(NEXT) | instid1(VALU_DEP_2)
	v_fma_f32 v19, -v17, v22, v20
	v_lshrrev_b32_e32 v9, 16, v9
	s_delay_alu instid0(VALU_DEP_2) | instskip(SKIP_2) | instid1(VALU_DEP_3)
	v_dual_fmac_f32 v22, v19, v18 :: v_dual_add_f32 v11, v10, v21
	v_bfe_u32 v10, v12, 16, 1
	v_bfe_u32 v21, v13, 16, 1
	v_fma_f32 v17, -v17, v22, v20
	s_delay_alu instid0(VALU_DEP_4) | instskip(NEXT) | instid1(VALU_DEP_4)
	v_bfe_u32 v19, v11, 16, 1
	v_add3_u32 v10, v12, v10, 0x7fff
	s_delay_alu instid0(VALU_DEP_4) | instskip(NEXT) | instid1(VALU_DEP_4)
	v_add3_u32 v20, v13, v21, 0x7fff
	v_div_fmas_f32 v17, v17, v18, v22
	v_cmp_o_f32_e32 vcc_lo, v12, v12
	s_delay_alu instid0(VALU_DEP_4) | instskip(SKIP_1) | instid1(VALU_DEP_4)
	v_and_b32_e32 v10, 0xffff0000, v10
	v_add3_u32 v19, v11, v19, 0x7fff
	v_div_fixup_f32 v14, v17, v5, v14
	s_delay_alu instid0(VALU_DEP_3) | instskip(SKIP_1) | instid1(VALU_DEP_4)
	v_cndmask_b32_e32 v10, 0x7fc00000, v10, vcc_lo
	v_cmp_o_f32_e32 vcc_lo, v6, v6
	v_and_b32_e32 v18, 0xffff0000, v19
	v_lshrrev_b32_e32 v19, 16, v20
	v_cndmask_b32_e32 v6, 0x7fc0, v9, vcc_lo
	v_cmp_o_f32_e32 vcc_lo, v11, v11
	v_minmax_f32 v9, v14, s7, 0xc3e00000
	s_delay_alu instid0(VALU_DEP_3) | instskip(SKIP_2) | instid1(VALU_DEP_4)
	v_or_b32_e32 v10, v6, v10
	v_cndmask_b32_e32 v17, 0x7fc00000, v18, vcc_lo
	v_cmp_o_f32_e32 vcc_lo, v13, v13
	v_and_b32_e32 v14, 0x7fffffff, v9
	v_mov_b32_e32 v6, 0x7f
	v_cndmask_b32_e32 v18, 0x7fc0, v19, vcc_lo
	s_delay_alu instid0(VALU_DEP_1)
	v_or3_b32 v18, 0, v18, v17
	v_or3_b32 v17, v10, 0, 0
	v_mov_b32_e32 v10, 0x7f
	global_store_b64 v[15:16], v[17:18], off
	v_cmpx_gt_u32_e32 0x43f00000, v14
	s_cbranch_execz .LBB78_144
; %bb.139:                              ;   in Loop: Header=BB78_63 Depth=1
	s_mov_b32 s16, exec_lo
                                        ; implicit-def: $vgpr10
	v_cmpx_lt_u32_e32 0x3c7fffff, v14
	s_xor_b32 s16, exec_lo, s16
; %bb.140:                              ;   in Loop: Header=BB78_63 Depth=1
	v_bfe_u32 v10, v9, 20, 1
	s_delay_alu instid0(VALU_DEP_1) | instskip(NEXT) | instid1(VALU_DEP_1)
	v_add3_u32 v10, v9, v10, 0x407ffff
	v_lshrrev_b32_e32 v10, 20, v10
; %bb.141:                              ;   in Loop: Header=BB78_63 Depth=1
	s_and_not1_saveexec_b32 s16, s16
; %bb.142:                              ;   in Loop: Header=BB78_63 Depth=1
	v_add_f32_e64 v10, 0x46800000, |v9|
; %bb.143:                              ;   in Loop: Header=BB78_63 Depth=1
	s_or_b32 exec_lo, exec_lo, s16
.LBB78_144:                             ;   in Loop: Header=BB78_63 Depth=1
	s_delay_alu instid0(SALU_CYCLE_1) | instskip(SKIP_2) | instid1(VALU_DEP_1)
	s_or_b32 exec_lo, exec_lo, s15
	v_dual_mul_f32 v12, v28, v12 :: v_dual_and_b32 v15, 0xffff0000, v3
	s_mov_b32 s15, exec_lo
	v_bfe_u32 v14, v12, 16, 1
	v_cmp_o_f32_e32 vcc_lo, v12, v12
	s_delay_alu instid0(VALU_DEP_2) | instskip(NEXT) | instid1(VALU_DEP_1)
	v_add3_u32 v14, v12, v14, 0x7fff
	v_and_b32_e32 v14, 0xffff0000, v14
	s_delay_alu instid0(VALU_DEP_1) | instskip(NEXT) | instid1(VALU_DEP_1)
	v_cndmask_b32_e32 v12, 0x7fc00000, v14, vcc_lo
	v_mul_f32_e32 v12, v12, v15
	s_delay_alu instid0(VALU_DEP_1) | instskip(SKIP_1) | instid1(VALU_DEP_2)
	v_bfe_u32 v14, v12, 16, 1
	v_cmp_o_f32_e32 vcc_lo, v12, v12
	v_add3_u32 v14, v12, v14, 0x7fff
	s_delay_alu instid0(VALU_DEP_1) | instskip(NEXT) | instid1(VALU_DEP_1)
	v_and_b32_e32 v14, 0xffff0000, v14
	v_cndmask_b32_e32 v12, 0x7fc00000, v14, vcc_lo
	s_delay_alu instid0(VALU_DEP_1) | instskip(NEXT) | instid1(VALU_DEP_1)
	v_div_scale_f32 v14, null, v5, v5, v12
	v_rcp_f32_e32 v15, v14
	s_waitcnt_depctr 0xfff
	v_fma_f32 v16, -v14, v15, 1.0
	s_delay_alu instid0(VALU_DEP_1) | instskip(SKIP_1) | instid1(VALU_DEP_1)
	v_fmac_f32_e32 v15, v16, v15
	v_div_scale_f32 v16, vcc_lo, v12, v5, v12
	v_mul_f32_e32 v17, v16, v15
	s_delay_alu instid0(VALU_DEP_1) | instskip(NEXT) | instid1(VALU_DEP_1)
	v_fma_f32 v18, -v14, v17, v16
	v_fmac_f32_e32 v17, v18, v15
	s_delay_alu instid0(VALU_DEP_1) | instskip(NEXT) | instid1(VALU_DEP_1)
	v_fma_f32 v14, -v14, v17, v16
	v_div_fmas_f32 v14, v14, v15, v17
	s_delay_alu instid0(VALU_DEP_1) | instskip(NEXT) | instid1(VALU_DEP_1)
	v_div_fixup_f32 v12, v14, v5, v12
	v_minmax_f32 v12, v12, s7, 0xc3e00000
	s_delay_alu instid0(VALU_DEP_1) | instskip(NEXT) | instid1(VALU_DEP_1)
	v_and_b32_e32 v14, 0x7fffffff, v12
	v_cmpx_gt_u32_e32 0x43f00000, v14
	s_cbranch_execz .LBB78_150
; %bb.145:                              ;   in Loop: Header=BB78_63 Depth=1
	s_mov_b32 s16, exec_lo
                                        ; implicit-def: $vgpr6
	v_cmpx_lt_u32_e32 0x3c7fffff, v14
	s_xor_b32 s16, exec_lo, s16
; %bb.146:                              ;   in Loop: Header=BB78_63 Depth=1
	v_bfe_u32 v6, v12, 20, 1
	s_delay_alu instid0(VALU_DEP_1) | instskip(NEXT) | instid1(VALU_DEP_1)
	v_add3_u32 v6, v12, v6, 0x407ffff
	v_lshrrev_b32_e32 v6, 20, v6
; %bb.147:                              ;   in Loop: Header=BB78_63 Depth=1
	s_and_not1_saveexec_b32 s16, s16
; %bb.148:                              ;   in Loop: Header=BB78_63 Depth=1
	v_add_f32_e64 v6, 0x46800000, |v12|
; %bb.149:                              ;   in Loop: Header=BB78_63 Depth=1
	s_or_b32 exec_lo, exec_lo, s16
.LBB78_150:                             ;   in Loop: Header=BB78_63 Depth=1
	s_delay_alu instid0(SALU_CYCLE_1) | instskip(SKIP_3) | instid1(VALU_DEP_2)
	s_or_b32 exec_lo, exec_lo, s15
	v_mul_f32_e32 v13, v28, v13
	v_alignbit_b32 v3, v4, v3, 16
	s_mov_b32 s15, exec_lo
	v_bfe_u32 v14, v13, 16, 1
	s_delay_alu instid0(VALU_DEP_2) | instskip(NEXT) | instid1(VALU_DEP_2)
	v_and_b32_e32 v3, 0xffff0000, v3
	v_add3_u32 v14, v13, v14, 0x7fff
	s_delay_alu instid0(VALU_DEP_1) | instskip(SKIP_1) | instid1(VALU_DEP_2)
	v_and_b32_e32 v14, 0xffff0000, v14
	v_cmp_o_f32_e32 vcc_lo, v13, v13
	v_cndmask_b32_e32 v13, 0x7fc00000, v14, vcc_lo
	s_delay_alu instid0(VALU_DEP_1) | instskip(NEXT) | instid1(VALU_DEP_1)
	v_mul_f32_e32 v3, v13, v3
	v_bfe_u32 v13, v3, 16, 1
	v_cmp_o_f32_e32 vcc_lo, v3, v3
	s_delay_alu instid0(VALU_DEP_2) | instskip(NEXT) | instid1(VALU_DEP_1)
	v_add3_u32 v13, v3, v13, 0x7fff
	v_and_b32_e32 v13, 0xffff0000, v13
	s_delay_alu instid0(VALU_DEP_1) | instskip(NEXT) | instid1(VALU_DEP_1)
	v_cndmask_b32_e32 v3, 0x7fc00000, v13, vcc_lo
	v_div_scale_f32 v13, null, v5, v5, v3
	v_div_scale_f32 v16, vcc_lo, v3, v5, v3
	s_delay_alu instid0(VALU_DEP_2) | instskip(SKIP_2) | instid1(VALU_DEP_1)
	v_rcp_f32_e32 v14, v13
	s_waitcnt_depctr 0xfff
	v_fma_f32 v15, -v13, v14, 1.0
	v_fmac_f32_e32 v14, v15, v14
	s_delay_alu instid0(VALU_DEP_1) | instskip(NEXT) | instid1(VALU_DEP_1)
	v_mul_f32_e32 v15, v16, v14
	v_fma_f32 v17, -v13, v15, v16
	s_delay_alu instid0(VALU_DEP_1) | instskip(NEXT) | instid1(VALU_DEP_1)
	v_fmac_f32_e32 v15, v17, v14
	v_fma_f32 v13, -v13, v15, v16
	s_delay_alu instid0(VALU_DEP_1) | instskip(NEXT) | instid1(VALU_DEP_1)
	v_div_fmas_f32 v13, v13, v14, v15
	v_div_fixup_f32 v3, v13, v5, v3
	v_mov_b32_e32 v13, 0x7f
	s_delay_alu instid0(VALU_DEP_2) | instskip(SKIP_1) | instid1(VALU_DEP_2)
	v_minmax_f32 v14, v3, s7, 0xc3e00000
	v_mov_b32_e32 v3, 0x7f
	v_and_b32_e32 v15, 0x7fffffff, v14
	s_delay_alu instid0(VALU_DEP_1)
	v_cmpx_gt_u32_e32 0x43f00000, v15
	s_cbranch_execz .LBB78_156
; %bb.151:                              ;   in Loop: Header=BB78_63 Depth=1
	s_mov_b32 s16, exec_lo
                                        ; implicit-def: $vgpr13
	v_cmpx_lt_u32_e32 0x3c7fffff, v15
	s_xor_b32 s16, exec_lo, s16
; %bb.152:                              ;   in Loop: Header=BB78_63 Depth=1
	v_bfe_u32 v13, v14, 20, 1
	s_delay_alu instid0(VALU_DEP_1) | instskip(NEXT) | instid1(VALU_DEP_1)
	v_add3_u32 v13, v14, v13, 0x407ffff
	v_lshrrev_b32_e32 v13, 20, v13
; %bb.153:                              ;   in Loop: Header=BB78_63 Depth=1
	s_and_not1_saveexec_b32 s16, s16
; %bb.154:                              ;   in Loop: Header=BB78_63 Depth=1
	v_add_f32_e64 v13, 0x46800000, |v14|
; %bb.155:                              ;   in Loop: Header=BB78_63 Depth=1
	s_or_b32 exec_lo, exec_lo, s16
.LBB78_156:                             ;   in Loop: Header=BB78_63 Depth=1
	s_delay_alu instid0(SALU_CYCLE_1) | instskip(SKIP_2) | instid1(VALU_DEP_1)
	s_or_b32 exec_lo, exec_lo, s15
	v_dual_mul_f32 v11, v28, v11 :: v_dual_and_b32 v4, 0xffff0000, v4
	s_mov_b32 s15, exec_lo
	v_bfe_u32 v15, v11, 16, 1
	v_cmp_o_f32_e32 vcc_lo, v11, v11
	s_delay_alu instid0(VALU_DEP_2) | instskip(NEXT) | instid1(VALU_DEP_1)
	v_add3_u32 v15, v11, v15, 0x7fff
	v_and_b32_e32 v15, 0xffff0000, v15
	s_delay_alu instid0(VALU_DEP_1) | instskip(NEXT) | instid1(VALU_DEP_1)
	v_cndmask_b32_e32 v11, 0x7fc00000, v15, vcc_lo
	v_mul_f32_e32 v4, v11, v4
	s_delay_alu instid0(VALU_DEP_1) | instskip(SKIP_1) | instid1(VALU_DEP_2)
	v_bfe_u32 v11, v4, 16, 1
	v_cmp_o_f32_e32 vcc_lo, v4, v4
	v_add3_u32 v11, v4, v11, 0x7fff
	s_delay_alu instid0(VALU_DEP_1) | instskip(NEXT) | instid1(VALU_DEP_1)
	v_and_b32_e32 v11, 0xffff0000, v11
	v_cndmask_b32_e32 v4, 0x7fc00000, v11, vcc_lo
	s_delay_alu instid0(VALU_DEP_1) | instskip(NEXT) | instid1(VALU_DEP_1)
	v_div_scale_f32 v11, null, v5, v5, v4
	v_rcp_f32_e32 v15, v11
	s_waitcnt_depctr 0xfff
	v_fma_f32 v16, -v11, v15, 1.0
	s_delay_alu instid0(VALU_DEP_1) | instskip(SKIP_1) | instid1(VALU_DEP_1)
	v_fmac_f32_e32 v15, v16, v15
	v_div_scale_f32 v16, vcc_lo, v4, v5, v4
	v_mul_f32_e32 v17, v16, v15
	s_delay_alu instid0(VALU_DEP_1) | instskip(NEXT) | instid1(VALU_DEP_1)
	v_fma_f32 v18, -v11, v17, v16
	v_fmac_f32_e32 v17, v18, v15
	s_delay_alu instid0(VALU_DEP_1) | instskip(NEXT) | instid1(VALU_DEP_1)
	v_fma_f32 v11, -v11, v17, v16
	v_div_fmas_f32 v11, v11, v15, v17
	s_delay_alu instid0(VALU_DEP_1) | instskip(NEXT) | instid1(VALU_DEP_1)
	v_div_fixup_f32 v4, v11, v5, v4
	v_minmax_f32 v4, v4, s7, 0xc3e00000
	s_delay_alu instid0(VALU_DEP_1) | instskip(NEXT) | instid1(VALU_DEP_1)
	v_and_b32_e32 v5, 0x7fffffff, v4
	v_cmpx_gt_u32_e32 0x43f00000, v5
	s_cbranch_execz .LBB78_59
; %bb.157:                              ;   in Loop: Header=BB78_63 Depth=1
	s_mov_b32 s16, exec_lo
                                        ; implicit-def: $vgpr3
	v_cmpx_lt_u32_e32 0x3c7fffff, v5
	s_xor_b32 s16, exec_lo, s16
; %bb.158:                              ;   in Loop: Header=BB78_63 Depth=1
	v_bfe_u32 v3, v4, 20, 1
	s_delay_alu instid0(VALU_DEP_1) | instskip(NEXT) | instid1(VALU_DEP_1)
	v_add3_u32 v3, v4, v3, 0x407ffff
	v_lshrrev_b32_e32 v3, 20, v3
; %bb.159:                              ;   in Loop: Header=BB78_63 Depth=1
	s_and_not1_saveexec_b32 s16, s16
	s_cbranch_execz .LBB78_58
; %bb.160:                              ;   in Loop: Header=BB78_63 Depth=1
	v_add_f32_e64 v3, 0x46800000, |v4|
	s_branch .LBB78_58
.LBB78_161:
	s_nop 0
	s_sendmsg sendmsg(MSG_DEALLOC_VGPRS)
	s_endpgm
.LBB78_162:
                                        ; implicit-def: $vgpr3_vgpr4
	s_branch .LBB78_51
.LBB78_163:
                                        ; implicit-def: $vgpr1_vgpr2
	s_branch .LBB78_56
	.section	.rodata,"a",@progbits
	.p2align	6, 0x0
	.amdhsa_kernel _ZN4vllm31rms_norm_per_block_quant_kernelIN3c108BFloat16ENS1_13Float8_e4m3fnELb1ELb1ELi64EEEvPT0_PfPKT_S9_PKffiiPS7_l
		.amdhsa_group_segment_fixed_size 4228
		.amdhsa_private_segment_fixed_size 0
		.amdhsa_kernarg_size 328
		.amdhsa_user_sgpr_count 15
		.amdhsa_user_sgpr_dispatch_ptr 0
		.amdhsa_user_sgpr_queue_ptr 0
		.amdhsa_user_sgpr_kernarg_segment_ptr 1
		.amdhsa_user_sgpr_dispatch_id 0
		.amdhsa_user_sgpr_private_segment_size 0
		.amdhsa_wavefront_size32 1
		.amdhsa_uses_dynamic_stack 0
		.amdhsa_enable_private_segment 0
		.amdhsa_system_sgpr_workgroup_id_x 1
		.amdhsa_system_sgpr_workgroup_id_y 0
		.amdhsa_system_sgpr_workgroup_id_z 0
		.amdhsa_system_sgpr_workgroup_info 0
		.amdhsa_system_vgpr_workitem_id 0
		.amdhsa_next_free_vgpr 54
		.amdhsa_next_free_sgpr 43
		.amdhsa_reserve_vcc 1
		.amdhsa_float_round_mode_32 0
		.amdhsa_float_round_mode_16_64 0
		.amdhsa_float_denorm_mode_32 3
		.amdhsa_float_denorm_mode_16_64 3
		.amdhsa_dx10_clamp 1
		.amdhsa_ieee_mode 1
		.amdhsa_fp16_overflow 0
		.amdhsa_workgroup_processor_mode 1
		.amdhsa_memory_ordered 1
		.amdhsa_forward_progress 0
		.amdhsa_shared_vgpr_count 0
		.amdhsa_exception_fp_ieee_invalid_op 0
		.amdhsa_exception_fp_denorm_src 0
		.amdhsa_exception_fp_ieee_div_zero 0
		.amdhsa_exception_fp_ieee_overflow 0
		.amdhsa_exception_fp_ieee_underflow 0
		.amdhsa_exception_fp_ieee_inexact 0
		.amdhsa_exception_int_div_zero 0
	.end_amdhsa_kernel
	.section	.text._ZN4vllm31rms_norm_per_block_quant_kernelIN3c108BFloat16ENS1_13Float8_e4m3fnELb1ELb1ELi64EEEvPT0_PfPKT_S9_PKffiiPS7_l,"axG",@progbits,_ZN4vllm31rms_norm_per_block_quant_kernelIN3c108BFloat16ENS1_13Float8_e4m3fnELb1ELb1ELi64EEEvPT0_PfPKT_S9_PKffiiPS7_l,comdat
.Lfunc_end78:
	.size	_ZN4vllm31rms_norm_per_block_quant_kernelIN3c108BFloat16ENS1_13Float8_e4m3fnELb1ELb1ELi64EEEvPT0_PfPKT_S9_PKffiiPS7_l, .Lfunc_end78-_ZN4vllm31rms_norm_per_block_quant_kernelIN3c108BFloat16ENS1_13Float8_e4m3fnELb1ELb1ELi64EEEvPT0_PfPKT_S9_PKffiiPS7_l
                                        ; -- End function
	.section	.AMDGPU.csdata,"",@progbits
; Kernel info:
; codeLenInByte = 16584
; NumSgprs: 45
; NumVgprs: 54
; ScratchSize: 0
; MemoryBound: 0
; FloatMode: 240
; IeeeMode: 1
; LDSByteSize: 4228 bytes/workgroup (compile time only)
; SGPRBlocks: 5
; VGPRBlocks: 6
; NumSGPRsForWavesPerEU: 45
; NumVGPRsForWavesPerEU: 54
; Occupancy: 16
; WaveLimiterHint : 0
; COMPUTE_PGM_RSRC2:SCRATCH_EN: 0
; COMPUTE_PGM_RSRC2:USER_SGPR: 15
; COMPUTE_PGM_RSRC2:TRAP_HANDLER: 0
; COMPUTE_PGM_RSRC2:TGID_X_EN: 1
; COMPUTE_PGM_RSRC2:TGID_Y_EN: 0
; COMPUTE_PGM_RSRC2:TGID_Z_EN: 0
; COMPUTE_PGM_RSRC2:TIDIG_COMP_CNT: 0
	.section	.text._ZN4vllm31rms_norm_per_block_quant_kernelIN3c108BFloat16ENS1_15Float8_e4m3fnuzELb1ELb1ELi64EEEvPT0_PfPKT_S9_PKffiiPS7_l,"axG",@progbits,_ZN4vllm31rms_norm_per_block_quant_kernelIN3c108BFloat16ENS1_15Float8_e4m3fnuzELb1ELb1ELi64EEEvPT0_PfPKT_S9_PKffiiPS7_l,comdat
	.protected	_ZN4vllm31rms_norm_per_block_quant_kernelIN3c108BFloat16ENS1_15Float8_e4m3fnuzELb1ELb1ELi64EEEvPT0_PfPKT_S9_PKffiiPS7_l ; -- Begin function _ZN4vllm31rms_norm_per_block_quant_kernelIN3c108BFloat16ENS1_15Float8_e4m3fnuzELb1ELb1ELi64EEEvPT0_PfPKT_S9_PKffiiPS7_l
	.globl	_ZN4vllm31rms_norm_per_block_quant_kernelIN3c108BFloat16ENS1_15Float8_e4m3fnuzELb1ELb1ELi64EEEvPT0_PfPKT_S9_PKffiiPS7_l
	.p2align	8
	.type	_ZN4vllm31rms_norm_per_block_quant_kernelIN3c108BFloat16ENS1_15Float8_e4m3fnuzELb1ELb1ELi64EEEvPT0_PfPKT_S9_PKffiiPS7_l,@function
_ZN4vllm31rms_norm_per_block_quant_kernelIN3c108BFloat16ENS1_15Float8_e4m3fnuzELb1ELb1ELi64EEEvPT0_PfPKT_S9_PKffiiPS7_l: ; @_ZN4vllm31rms_norm_per_block_quant_kernelIN3c108BFloat16ENS1_15Float8_e4m3fnuzELb1ELb1ELi64EEEvPT0_PfPKT_S9_PKffiiPS7_l
; %bb.0:
	s_mov_b32 s16, s15
	s_clause 0x3
	s_load_b128 s[12:15], s[0:1], 0x28
	s_load_b256 s[4:11], s[0:1], 0x0
	s_load_b64 s[26:27], s[0:1], 0x38
	s_load_b32 s36, s[0:1], 0x48
	v_mov_b32_e32 v6, 0
	s_mov_b32 s17, 0
	s_waitcnt lgkmcnt(0)
	s_ashr_i32 s3, s14, 31
	s_mul_hi_u32 s15, s14, s16
	s_mul_i32 s3, s3, s16
	s_ashr_i32 s21, s13, 31
	s_mul_i32 s2, s14, s16
	s_add_i32 s3, s15, s3
	s_mul_hi_u32 s14, s13, s16
	s_mul_i32 s15, s21, s16
	s_lshl_b64 s[24:25], s[2:3], 1
	s_mul_i32 s18, s13, s16
	s_add_i32 s19, s14, s15
	s_add_u32 s30, s8, s24
	s_addc_u32 s31, s9, s25
	s_lshl_b64 s[28:29], s[18:19], 1
	s_mov_b32 s20, s13
	s_add_u32 s33, s26, s28
	s_addc_u32 s34, s27, s29
	s_ashr_i32 s14, s13, 2
	s_add_u32 s22, s0, 0x48
	v_cmp_gt_u32_e64 s2, s14, v0
	s_addc_u32 s23, s1, 0
	s_delay_alu instid0(VALU_DEP_1)
	s_and_saveexec_b32 s3, s2
	s_cbranch_execz .LBB79_10
; %bb.1:
	s_cmp_lt_u32 s16, s36
	v_mov_b32_e32 v2, 0
	s_cselect_b32 s13, 12, 18
                                        ; implicit-def: $sgpr15
	v_mov_b32_e32 v1, v0
	s_add_u32 s38, s22, s13
	s_addc_u32 s39, s23, 0
	s_mov_b32 s13, s17
	global_load_u16 v7, v2, s[38:39]
	s_waitcnt vmcnt(0)
	v_lshlrev_b32_e32 v9, 1, v7
	v_mul_lo_u32 v8, v7, 3
	v_add_nc_u32_e32 v10, v7, v7
	v_mov_b32_e32 v6, v2
	s_branch .LBB79_5
.LBB79_2:                               ;   in Loop: Header=BB79_5 Depth=1
	s_or_b32 exec_lo, exec_lo, s38
	s_delay_alu instid0(SALU_CYCLE_1)
	s_or_not1_b32 s38, s39, exec_lo
.LBB79_3:                               ;   in Loop: Header=BB79_5 Depth=1
	s_or_b32 exec_lo, exec_lo, s37
	s_delay_alu instid0(SALU_CYCLE_1) | instskip(SKIP_1) | instid1(SALU_CYCLE_1)
	s_and_not1_b32 s15, s15, exec_lo
	s_and_b32 s37, s38, exec_lo
	s_or_b32 s15, s15, s37
.LBB79_4:                               ;   in Loop: Header=BB79_5 Depth=1
	s_or_b32 exec_lo, exec_lo, s35
	s_delay_alu instid0(SALU_CYCLE_1) | instskip(NEXT) | instid1(SALU_CYCLE_1)
	s_and_b32 s35, exec_lo, s15
	s_or_b32 s13, s35, s13
	s_delay_alu instid0(SALU_CYCLE_1)
	s_and_not1_b32 exec_lo, exec_lo, s13
	s_cbranch_execz .LBB79_9
.LBB79_5:                               ; =>This Inner Loop Header: Depth=1
	v_lshlrev_b64 v[3:4], 3, v[1:2]
	s_or_b32 s15, s15, exec_lo
	s_mov_b32 s35, exec_lo
	s_delay_alu instid0(VALU_DEP_1) | instskip(NEXT) | instid1(VALU_DEP_2)
	v_add_co_u32 v11, vcc_lo, s30, v3
	v_add_co_ci_u32_e32 v12, vcc_lo, s31, v4, vcc_lo
	v_add_co_u32 v3, vcc_lo, s33, v3
	v_add_co_ci_u32_e32 v4, vcc_lo, s34, v4, vcc_lo
	global_load_b64 v[11:12], v[11:12], off
	global_load_b64 v[3:4], v[3:4], off
	s_waitcnt vmcnt(1)
	v_lshlrev_b32_e32 v5, 16, v11
	s_waitcnt vmcnt(0)
	v_lshlrev_b32_e32 v13, 16, v3
	v_and_b32_e32 v14, 0xffff0000, v11
	v_alignbit_b32 v11, v12, v11, 16
	s_delay_alu instid0(VALU_DEP_3) | instskip(NEXT) | instid1(VALU_DEP_1)
	v_add_f32_e32 v5, v5, v13
	v_dual_fmac_f32 v6, v5, v5 :: v_dual_and_b32 v5, 0xffff0000, v12
	v_and_b32_e32 v15, 0xffff0000, v3
	v_alignbit_b32 v3, v4, v3, 16
	s_delay_alu instid0(VALU_DEP_1) | instskip(SKIP_1) | instid1(VALU_DEP_1)
	v_and_b32_e32 v3, 0xffff0000, v3
	v_and_b32_e32 v4, 0xffff0000, v4
	v_dual_add_f32 v4, v5, v4 :: v_dual_and_b32 v11, 0xffff0000, v11
	v_add_f32_e32 v13, v14, v15
	s_delay_alu instid0(VALU_DEP_1) | instskip(NEXT) | instid1(VALU_DEP_1)
	v_dual_add_f32 v3, v11, v3 :: v_dual_fmac_f32 v6, v13, v13
	v_fmac_f32_e32 v6, v3, v3
	s_delay_alu instid0(VALU_DEP_1) | instskip(NEXT) | instid1(VALU_DEP_1)
	v_dual_fmac_f32 v6, v4, v4 :: v_dual_add_nc_u32 v3, v1, v7
	v_cmpx_gt_u32_e64 s14, v3
	s_cbranch_execz .LBB79_4
; %bb.6:                                ;   in Loop: Header=BB79_5 Depth=1
	v_mov_b32_e32 v4, v2
	s_mov_b32 s38, -1
	s_mov_b32 s37, exec_lo
	s_delay_alu instid0(VALU_DEP_1) | instskip(NEXT) | instid1(VALU_DEP_1)
	v_lshlrev_b64 v[4:5], 3, v[3:4]
	v_add_co_u32 v11, vcc_lo, s30, v4
	s_delay_alu instid0(VALU_DEP_2)
	v_add_co_ci_u32_e32 v12, vcc_lo, s31, v5, vcc_lo
	v_add_co_u32 v4, vcc_lo, s33, v4
	v_add_co_ci_u32_e32 v5, vcc_lo, s34, v5, vcc_lo
	global_load_b64 v[11:12], v[11:12], off
	global_load_b64 v[4:5], v[4:5], off
	s_waitcnt vmcnt(1)
	v_lshlrev_b32_e32 v13, 16, v11
	v_and_b32_e32 v15, 0xffff0000, v11
	v_alignbit_b32 v11, v12, v11, 16
	v_and_b32_e32 v12, 0xffff0000, v12
	s_waitcnt vmcnt(0)
	v_lshlrev_b32_e32 v14, 16, v4
	v_and_b32_e32 v16, 0xffff0000, v4
	v_alignbit_b32 v4, v5, v4, 16
	s_delay_alu instid0(VALU_DEP_1) | instskip(SKIP_1) | instid1(VALU_DEP_1)
	v_and_b32_e32 v4, 0xffff0000, v4
	v_and_b32_e32 v5, 0xffff0000, v5
	v_add_f32_e32 v5, v12, v5
	v_add_f32_e32 v13, v13, v14
	s_delay_alu instid0(VALU_DEP_1) | instskip(SKIP_1) | instid1(VALU_DEP_2)
	v_dual_fmac_f32 v6, v13, v13 :: v_dual_and_b32 v11, 0xffff0000, v11
	v_add_f32_e32 v14, v15, v16
	v_add_f32_e32 v4, v11, v4
	s_delay_alu instid0(VALU_DEP_2) | instskip(NEXT) | instid1(VALU_DEP_1)
	v_fmac_f32_e32 v6, v14, v14
	v_fmac_f32_e32 v6, v4, v4
	v_add_nc_u32_e32 v4, v9, v1
	s_delay_alu instid0(VALU_DEP_2) | instskip(NEXT) | instid1(VALU_DEP_2)
	v_fmac_f32_e32 v6, v5, v5
	v_cmpx_gt_u32_e64 s14, v4
	s_cbranch_execz .LBB79_3
; %bb.7:                                ;   in Loop: Header=BB79_5 Depth=1
	v_mov_b32_e32 v5, v2
	v_add_nc_u32_e32 v1, v8, v1
	s_mov_b32 s39, -1
	s_mov_b32 s38, exec_lo
	s_delay_alu instid0(VALU_DEP_2) | instskip(NEXT) | instid1(VALU_DEP_1)
	v_lshlrev_b64 v[4:5], 3, v[4:5]
	v_add_co_u32 v11, vcc_lo, s30, v4
	s_delay_alu instid0(VALU_DEP_2)
	v_add_co_ci_u32_e32 v12, vcc_lo, s31, v5, vcc_lo
	v_add_co_u32 v4, vcc_lo, s33, v4
	v_add_co_ci_u32_e32 v5, vcc_lo, s34, v5, vcc_lo
	global_load_b64 v[11:12], v[11:12], off
	global_load_b64 v[4:5], v[4:5], off
	s_waitcnt vmcnt(1)
	v_and_b32_e32 v15, 0xffff0000, v11
	s_waitcnt vmcnt(0)
	v_lshlrev_b32_e32 v14, 16, v4
	v_and_b32_e32 v16, 0xffff0000, v4
	v_lshlrev_b32_e32 v13, 16, v11
	v_alignbit_b32 v11, v12, v11, 16
	v_alignbit_b32 v4, v5, v4, 16
	s_delay_alu instid0(VALU_DEP_3) | instskip(NEXT) | instid1(VALU_DEP_1)
	v_dual_add_f32 v13, v13, v14 :: v_dual_and_b32 v12, 0xffff0000, v12
	v_fmac_f32_e32 v6, v13, v13
	s_delay_alu instid0(VALU_DEP_4) | instskip(NEXT) | instid1(VALU_DEP_1)
	v_dual_add_f32 v14, v15, v16 :: v_dual_and_b32 v11, 0xffff0000, v11
	v_dual_fmac_f32 v6, v14, v14 :: v_dual_and_b32 v5, 0xffff0000, v5
	s_delay_alu instid0(VALU_DEP_1) | instskip(NEXT) | instid1(VALU_DEP_1)
	v_dual_add_f32 v5, v12, v5 :: v_dual_and_b32 v4, 0xffff0000, v4
	v_add_f32_e32 v4, v11, v4
	s_delay_alu instid0(VALU_DEP_1) | instskip(NEXT) | instid1(VALU_DEP_1)
	v_fmac_f32_e32 v6, v4, v4
	v_fmac_f32_e32 v6, v5, v5
	v_cmpx_gt_u32_e64 s14, v1
	s_xor_b32 s38, exec_lo, s38
	s_cbranch_execz .LBB79_2
; %bb.8:                                ;   in Loop: Header=BB79_5 Depth=1
	v_lshlrev_b64 v[4:5], 3, v[1:2]
	s_delay_alu instid0(VALU_DEP_1) | instskip(NEXT) | instid1(VALU_DEP_2)
	v_add_co_u32 v11, vcc_lo, s30, v4
	v_add_co_ci_u32_e32 v12, vcc_lo, s31, v5, vcc_lo
	v_add_co_u32 v4, vcc_lo, s33, v4
	v_add_co_ci_u32_e32 v5, vcc_lo, s34, v5, vcc_lo
	global_load_b64 v[11:12], v[11:12], off
	global_load_b64 v[4:5], v[4:5], off
	s_waitcnt vmcnt(0)
	v_lshlrev_b32_e32 v13, 16, v4
	v_and_b32_e32 v14, 0xffff0000, v11
	v_alignbit_b32 v15, v5, v4, 16
	v_and_b32_e32 v4, 0xffff0000, v4
	v_lshlrev_b32_e32 v1, 16, v11
	v_alignbit_b32 v11, v12, v11, 16
	v_and_b32_e32 v12, 0xffff0000, v12
	s_delay_alu instid0(VALU_DEP_3) | instskip(NEXT) | instid1(VALU_DEP_1)
	v_dual_add_f32 v4, v14, v4 :: v_dual_add_f32 v1, v1, v13
	v_dual_fmac_f32 v6, v1, v1 :: v_dual_and_b32 v13, 0xffff0000, v15
	s_delay_alu instid0(VALU_DEP_4) | instskip(SKIP_1) | instid1(VALU_DEP_2)
	v_and_b32_e32 v11, 0xffff0000, v11
	v_add3_u32 v1, v10, v7, v3
	v_dual_fmac_f32 v6, v4, v4 :: v_dual_add_f32 v11, v11, v13
	v_and_b32_e32 v5, 0xffff0000, v5
	s_delay_alu instid0(VALU_DEP_3) | instskip(NEXT) | instid1(VALU_DEP_2)
	v_cmp_le_u32_e32 vcc_lo, s14, v1
	v_dual_fmac_f32 v6, v11, v11 :: v_dual_add_f32 v3, v12, v5
	s_or_not1_b32 s39, vcc_lo, exec_lo
	s_delay_alu instid0(VALU_DEP_1)
	v_fmac_f32_e32 v6, v3, v3
	s_branch .LBB79_2
.LBB79_9:
	s_or_b32 exec_lo, exec_lo, s13
.LBB79_10:
	s_delay_alu instid0(SALU_CYCLE_1) | instskip(SKIP_4) | instid1(VALU_DEP_2)
	s_or_b32 exec_lo, exec_lo, s3
	v_mbcnt_lo_u32_b32 v1, -1, 0
	s_load_b32 s3, s[22:23], 0xc
	v_and_b32_e32 v7, 0x3e0, v0
	s_mov_b32 s13, exec_lo
	v_cmp_ne_u32_e32 vcc_lo, 31, v1
	v_add_nc_u32_e32 v3, 1, v1
	v_add_co_ci_u32_e32 v2, vcc_lo, 0, v1, vcc_lo
	v_cmp_gt_u32_e32 vcc_lo, 30, v1
	s_delay_alu instid0(VALU_DEP_2)
	v_lshlrev_b32_e32 v2, 2, v2
	v_cndmask_b32_e64 v5, 0, 1, vcc_lo
	ds_bpermute_b32 v4, v2, v6
	s_waitcnt lgkmcnt(0)
	s_and_b32 s3, s3, 0xffff
	v_lshlrev_b32_e32 v5, 1, v5
	v_sub_nc_u32_e64 v12, s3, v7 clamp
	s_delay_alu instid0(VALU_DEP_1) | instskip(SKIP_1) | instid1(VALU_DEP_4)
	v_cmp_lt_u32_e32 vcc_lo, v3, v12
	v_add_f32_e32 v7, v6, v4
	v_add_lshl_u32 v4, v5, v1, 2
	s_delay_alu instid0(VALU_DEP_2) | instskip(SKIP_2) | instid1(VALU_DEP_1)
	v_cndmask_b32_e32 v7, v6, v7, vcc_lo
	v_cmp_gt_u32_e32 vcc_lo, 28, v1
	v_cndmask_b32_e64 v5, 0, 1, vcc_lo
	v_lshlrev_b32_e32 v8, 2, v5
	ds_bpermute_b32 v6, v4, v7
	v_add_nc_u32_e32 v5, 2, v1
	s_delay_alu instid0(VALU_DEP_1) | instskip(SKIP_3) | instid1(VALU_DEP_2)
	v_cmp_lt_u32_e32 vcc_lo, v5, v12
	s_waitcnt lgkmcnt(0)
	v_add_f32_e32 v9, v7, v6
	v_add_lshl_u32 v6, v8, v1, 2
	v_cndmask_b32_e32 v9, v7, v9, vcc_lo
	v_cmp_gt_u32_e32 vcc_lo, 24, v1
	ds_bpermute_b32 v8, v6, v9
	v_cndmask_b32_e64 v7, 0, 1, vcc_lo
	s_delay_alu instid0(VALU_DEP_1) | instskip(SKIP_1) | instid1(VALU_DEP_1)
	v_lshlrev_b32_e32 v10, 3, v7
	v_add_nc_u32_e32 v7, 4, v1
	v_cmp_lt_u32_e32 vcc_lo, v7, v12
	s_waitcnt lgkmcnt(0)
	v_add_f32_e32 v11, v9, v8
	v_add_lshl_u32 v8, v10, v1, 2
	s_delay_alu instid0(VALU_DEP_2) | instskip(SKIP_3) | instid1(VALU_DEP_1)
	v_cndmask_b32_e32 v11, v9, v11, vcc_lo
	v_cmp_gt_u32_e32 vcc_lo, 16, v1
	ds_bpermute_b32 v10, v8, v11
	v_cndmask_b32_e64 v9, 0, 1, vcc_lo
	v_lshlrev_b32_e32 v13, 4, v9
	v_add_nc_u32_e32 v9, 8, v1
	s_delay_alu instid0(VALU_DEP_1) | instskip(SKIP_3) | instid1(VALU_DEP_2)
	v_cmp_lt_u32_e32 vcc_lo, v9, v12
	s_waitcnt lgkmcnt(0)
	v_add_f32_e32 v14, v11, v10
	v_add_lshl_u32 v10, v13, v1, 2
	v_cndmask_b32_e32 v13, v11, v14, vcc_lo
	v_add_nc_u32_e32 v11, 16, v1
	ds_bpermute_b32 v14, v10, v13
	v_cmp_lt_u32_e32 vcc_lo, v11, v12
	s_waitcnt lgkmcnt(0)
	v_add_f32_e32 v14, v13, v14
	s_delay_alu instid0(VALU_DEP_1)
	v_cndmask_b32_e32 v12, v13, v14, vcc_lo
	v_cmpx_eq_u32_e32 0, v1
	s_cbranch_execz .LBB79_12
; %bb.11:
	v_lshrrev_b32_e32 v13, 3, v0
	s_delay_alu instid0(VALU_DEP_1)
	v_and_b32_e32 v13, 0x7c, v13
	ds_store_b32 v13, v12 offset:4096
.LBB79_12:
	s_or_b32 exec_lo, exec_lo, s13
	s_delay_alu instid0(SALU_CYCLE_1)
	s_mov_b32 s13, exec_lo
	s_waitcnt lgkmcnt(0)
	s_barrier
	buffer_gl0_inv
	v_cmpx_gt_u32_e32 32, v0
	s_cbranch_execz .LBB79_14
; %bb.13:
	v_lshlrev_b32_e32 v1, 2, v1
	s_add_i32 s3, s3, 31
	s_delay_alu instid0(SALU_CYCLE_1) | instskip(NEXT) | instid1(SALU_CYCLE_1)
	s_lshr_b32 s3, s3, 5
	v_cmp_gt_u32_e32 vcc_lo, s3, v3
	ds_load_b32 v1, v1 offset:4096
	s_waitcnt lgkmcnt(0)
	ds_bpermute_b32 v2, v2, v1
	s_waitcnt lgkmcnt(0)
	v_add_f32_e32 v2, v1, v2
	s_delay_alu instid0(VALU_DEP_1) | instskip(SKIP_4) | instid1(VALU_DEP_1)
	v_cndmask_b32_e32 v1, v1, v2, vcc_lo
	v_cmp_gt_u32_e32 vcc_lo, s3, v5
	ds_bpermute_b32 v2, v4, v1
	s_waitcnt lgkmcnt(0)
	v_add_f32_e32 v2, v1, v2
	v_cndmask_b32_e32 v1, v1, v2, vcc_lo
	v_cmp_gt_u32_e32 vcc_lo, s3, v7
	ds_bpermute_b32 v2, v6, v1
	s_waitcnt lgkmcnt(0)
	v_add_f32_e32 v2, v1, v2
	s_delay_alu instid0(VALU_DEP_1) | instskip(SKIP_4) | instid1(VALU_DEP_1)
	v_cndmask_b32_e32 v1, v1, v2, vcc_lo
	v_cmp_gt_u32_e32 vcc_lo, s3, v9
	ds_bpermute_b32 v2, v8, v1
	s_waitcnt lgkmcnt(0)
	v_add_f32_e32 v2, v1, v2
	v_cndmask_b32_e32 v1, v1, v2, vcc_lo
	v_cmp_gt_u32_e32 vcc_lo, s3, v11
	ds_bpermute_b32 v2, v10, v1
	s_waitcnt lgkmcnt(0)
	v_add_f32_e32 v2, v1, v2
	s_delay_alu instid0(VALU_DEP_1)
	v_cndmask_b32_e32 v12, v1, v2, vcc_lo
.LBB79_14:
	s_or_b32 exec_lo, exec_lo, s13
	s_delay_alu instid0(SALU_CYCLE_1)
	s_mov_b32 s3, exec_lo
	v_cmpx_eq_u32_e32 0, v0
	s_cbranch_execz .LBB79_16
; %bb.15:
	v_cvt_f32_i32_e32 v1, s20
	s_delay_alu instid0(VALU_DEP_1) | instskip(SKIP_1) | instid1(VALU_DEP_2)
	v_div_scale_f32 v2, null, v1, v1, v12
	v_div_scale_f32 v5, vcc_lo, v12, v1, v12
	v_rcp_f32_e32 v3, v2
	s_waitcnt_depctr 0xfff
	v_fma_f32 v4, -v2, v3, 1.0
	s_delay_alu instid0(VALU_DEP_1) | instskip(NEXT) | instid1(VALU_DEP_1)
	v_fmac_f32_e32 v3, v4, v3
	v_mul_f32_e32 v4, v5, v3
	s_delay_alu instid0(VALU_DEP_1) | instskip(NEXT) | instid1(VALU_DEP_1)
	v_fma_f32 v6, -v2, v4, v5
	v_fmac_f32_e32 v4, v6, v3
	s_delay_alu instid0(VALU_DEP_1) | instskip(NEXT) | instid1(VALU_DEP_1)
	v_fma_f32 v2, -v2, v4, v5
	v_div_fmas_f32 v2, v2, v3, v4
	s_delay_alu instid0(VALU_DEP_1) | instskip(NEXT) | instid1(VALU_DEP_1)
	v_div_fixup_f32 v1, v2, v1, v12
	v_add_f32_e32 v1, s12, v1
	s_delay_alu instid0(VALU_DEP_1) | instskip(SKIP_1) | instid1(VALU_DEP_2)
	v_mul_f32_e32 v2, 0x4b800000, v1
	v_cmp_gt_f32_e32 vcc_lo, 0x800000, v1
	v_cndmask_b32_e32 v1, v1, v2, vcc_lo
	s_delay_alu instid0(VALU_DEP_1) | instskip(SKIP_2) | instid1(VALU_DEP_1)
	v_rsq_f32_e32 v1, v1
	s_waitcnt_depctr 0xfff
	v_mul_f32_e32 v2, 0x45800000, v1
	v_dual_cndmask_b32 v1, v1, v2 :: v_dual_mov_b32 v2, 0
	ds_store_b32 v2, v1 offset:4224
.LBB79_16:
	s_or_b32 exec_lo, exec_lo, s3
	s_ashr_i32 s3, s20, 31
	v_mov_b32_e32 v4, 0
	s_lshr_b32 s3, s3, 26
	s_waitcnt lgkmcnt(0)
	s_add_i32 s3, s20, s3
	s_barrier
	s_ashr_i32 s12, s3, 6
	s_cmp_lt_u32 s16, s36
	buffer_gl0_inv
	s_cselect_b32 s13, 12, 18
	ds_load_b32 v28, v4 offset:4224
	s_add_u32 s22, s22, s13
	s_addc_u32 s23, s23, 0
	s_abs_i32 s13, s12
	global_load_u16 v1, v4, s[22:23]
	v_cvt_f32_u32_e32 v2, s13
	s_sub_i32 s22, 0, s13
	s_ashr_i32 s3, s3, 31
	s_delay_alu instid0(VALU_DEP_1) | instskip(SKIP_2) | instid1(VALU_DEP_1)
	v_rcp_iflag_f32_e32 v2, v2
	s_waitcnt_depctr 0xfff
	v_mul_f32_e32 v2, 0x4f7ffffe, v2
	v_cvt_u32_f32_e32 v2, v2
	s_delay_alu instid0(VALU_DEP_1) | instskip(NEXT) | instid1(VALU_DEP_1)
	v_readfirstlane_b32 s15, v2
	s_mul_i32 s22, s22, s15
	s_delay_alu instid0(SALU_CYCLE_1) | instskip(NEXT) | instid1(SALU_CYCLE_1)
	s_mul_hi_u32 s22, s15, s22
	s_add_i32 s15, s15, s22
	s_waitcnt vmcnt(0)
	v_readfirstlane_b32 s35, v1
	s_delay_alu instid0(VALU_DEP_1) | instskip(NEXT) | instid1(SALU_CYCLE_1)
	s_mul_hi_u32 s15, s35, s15
	s_mul_i32 s22, s15, s13
	s_add_i32 s23, s15, 1
	s_sub_i32 s22, s35, s22
	s_delay_alu instid0(SALU_CYCLE_1)
	s_sub_i32 s37, s22, s13
	s_cmp_ge_u32 s22, s13
	s_cselect_b32 s15, s23, s15
	s_cselect_b32 s22, s37, s22
	s_add_i32 s23, s15, 1
	s_cmp_ge_u32 s22, s13
	s_cselect_b32 s13, s23, s15
	s_ashr_i32 s15, s14, 31
	s_xor_b32 s13, s13, s3
	s_delay_alu instid0(SALU_CYCLE_1) | instskip(NEXT) | instid1(SALU_CYCLE_1)
	s_sub_i32 s22, s13, s3
	s_abs_i32 s3, s22
	s_ashr_i32 s23, s22, 31
	v_cvt_f32_u32_e32 v1, s3
	s_sub_i32 s13, 0, s3
	s_delay_alu instid0(VALU_DEP_1) | instskip(SKIP_2) | instid1(VALU_DEP_1)
	v_rcp_iflag_f32_e32 v1, v1
	s_waitcnt_depctr 0xfff
	v_mul_f32_e32 v1, 0x4f7ffffe, v1
	v_cvt_u32_f32_e32 v1, v1
	s_delay_alu instid0(VALU_DEP_1) | instskip(SKIP_1) | instid1(VALU_DEP_1)
	v_mul_lo_u32 v2, s13, v1
	s_mov_b32 s13, exec_lo
	v_mul_hi_u32 v2, v1, v2
	s_delay_alu instid0(VALU_DEP_1) | instskip(NEXT) | instid1(VALU_DEP_1)
	v_add_nc_u32_e32 v1, v1, v2
	v_mul_hi_u32 v1, v0, v1
	s_delay_alu instid0(VALU_DEP_1) | instskip(SKIP_1) | instid1(VALU_DEP_2)
	v_mul_lo_u32 v2, v1, s3
	v_add_nc_u32_e32 v3, 1, v1
	v_sub_nc_u32_e32 v2, v0, v2
	s_delay_alu instid0(VALU_DEP_1) | instskip(SKIP_1) | instid1(VALU_DEP_2)
	v_subrev_nc_u32_e32 v5, s3, v2
	v_cmp_le_u32_e32 vcc_lo, s3, v2
	v_dual_cndmask_b32 v2, v2, v5 :: v_dual_cndmask_b32 v1, v1, v3
	s_delay_alu instid0(VALU_DEP_1) | instskip(NEXT) | instid1(VALU_DEP_2)
	v_cmp_le_u32_e32 vcc_lo, s3, v2
	v_add_nc_u32_e32 v3, 1, v1
	s_delay_alu instid0(VALU_DEP_1) | instskip(NEXT) | instid1(VALU_DEP_1)
	v_cndmask_b32_e32 v1, v1, v3, vcc_lo
	v_xor_b32_e32 v1, s23, v1
	s_delay_alu instid0(VALU_DEP_1) | instskip(NEXT) | instid1(VALU_DEP_1)
	v_subrev_nc_u32_e32 v1, s23, v1
	v_ashrrev_i32_e32 v2, 31, v1
	v_mul_lo_u32 v3, v1, s22
	s_delay_alu instid0(VALU_DEP_2) | instskip(NEXT) | instid1(VALU_DEP_2)
	v_lshlrev_b64 v[7:8], 4, v[1:2]
	v_sub_nc_u32_e32 v3, v0, v3
	s_delay_alu instid0(VALU_DEP_2) | instskip(NEXT) | instid1(VALU_DEP_3)
	v_add_co_u32 v5, vcc_lo, v7, 16
	v_add_co_ci_u32_e32 v6, vcc_lo, 0, v8, vcc_lo
	s_delay_alu instid0(VALU_DEP_1) | instskip(SKIP_4) | instid1(VALU_DEP_3)
	v_cmp_gt_i64_e32 vcc_lo, s[14:15], v[5:6]
	v_cndmask_b32_e32 v6, s15, v6, vcc_lo
	v_cndmask_b32_e32 v5, s14, v5, vcc_lo
	v_add_co_u32 v7, vcc_lo, v7, v3
	v_add_co_ci_u32_e32 v8, vcc_lo, 0, v8, vcc_lo
	v_ashrrev_i32_e32 v10, 31, v5
	v_mov_b32_e32 v9, v5
	s_delay_alu instid0(VALU_DEP_1)
	v_cmpx_lt_i64_e64 v[7:8], v[9:10]
	s_cbranch_execz .LBB79_26
; %bb.17:
	v_lshlrev_b64 v[13:14], 7, v[1:2]
	v_lshlrev_b64 v[11:12], 3, v[3:4]
	s_mul_i32 s3, s22, 24
	s_mul_hi_i32 s15, s22, 24
	s_add_u32 s37, s8, s3
	s_delay_alu instid0(VALU_DEP_2) | instskip(SKIP_2) | instid1(VALU_DEP_2)
	v_add_co_u32 v4, vcc_lo, s24, v13
	v_add_co_ci_u32_e32 v15, vcc_lo, s25, v14, vcc_lo
	s_addc_u32 s24, s9, s15
	v_add_co_u32 v17, vcc_lo, s37, v4
	s_lshl_b64 s[38:39], s[22:23], 4
	s_delay_alu instid0(VALU_DEP_2)
	v_add_co_ci_u32_e32 v18, vcc_lo, s24, v15, vcc_lo
	s_lshl_b64 s[24:25], s[22:23], 5
	s_add_u32 s37, s8, s38
	s_addc_u32 s42, s9, s39
	s_lshl_b64 s[40:41], s[22:23], 3
	v_add_co_u32 v19, vcc_lo, s37, v4
	s_add_u32 s37, s8, s40
	v_add_co_ci_u32_e32 v20, vcc_lo, s42, v15, vcc_lo
	s_addc_u32 s42, s9, s41
	v_add_co_u32 v21, vcc_lo, s37, v4
	v_add_co_ci_u32_e32 v22, vcc_lo, s42, v15, vcc_lo
	v_add_co_u32 v23, vcc_lo, s8, v4
	s_add_u32 s8, s10, s3
	v_add_co_ci_u32_e32 v24, vcc_lo, s9, v15, vcc_lo
	s_addc_u32 s9, s11, s15
	v_add_co_u32 v25, vcc_lo, s8, v13
	s_add_u32 s8, s10, s38
	v_add_co_ci_u32_e32 v26, vcc_lo, s9, v14, vcc_lo
	s_addc_u32 s9, s11, s39
	;; [unrolled: 4-line block ×3, first 2 shown]
	v_add_co_u32 v30, vcc_lo, s8, v13
	v_add_co_ci_u32_e32 v31, vcc_lo, s9, v14, vcc_lo
	v_add_co_u32 v32, vcc_lo, s10, v13
	v_add_co_ci_u32_e32 v33, vcc_lo, s11, v14, vcc_lo
	;; [unrolled: 2-line block ×3, first 2 shown]
	s_add_u32 s3, s26, s3
	s_addc_u32 s8, s27, s15
	s_delay_alu instid0(VALU_DEP_2)
	v_add_co_u32 v34, vcc_lo, s3, v4
	s_add_u32 s3, s26, s38
	v_add_co_ci_u32_e32 v35, vcc_lo, s8, v13, vcc_lo
	s_addc_u32 s8, s27, s39
	v_add_co_u32 v36, vcc_lo, s3, v4
	s_add_u32 s3, s26, s40
	v_add_co_ci_u32_e32 v37, vcc_lo, s8, v13, vcc_lo
	s_addc_u32 s8, s27, s41
	v_add_co_u32 v38, vcc_lo, s3, v4
	v_add_co_ci_u32_e32 v39, vcc_lo, s8, v13, vcc_lo
	v_add_co_u32 v40, vcc_lo, s26, v4
	v_add_co_ci_u32_e32 v41, vcc_lo, s27, v13, vcc_lo
	v_mov_b32_e32 v14, v8
	v_dual_mov_b32 v4, 0 :: v_dual_mov_b32 v13, v7
	s_mul_hi_i32 s15, s22, 3
	s_mul_i32 s26, s22, 3
	s_lshl_b64 s[8:9], s[22:23], 1
	s_mov_b32 s27, 0
                                        ; implicit-def: $sgpr28
	s_branch .LBB79_21
.LBB79_18:                              ;   in Loop: Header=BB79_21 Depth=1
	s_or_b32 exec_lo, exec_lo, s38
	s_delay_alu instid0(SALU_CYCLE_1)
	s_or_not1_b32 s3, s3, exec_lo
.LBB79_19:                              ;   in Loop: Header=BB79_21 Depth=1
	s_or_b32 exec_lo, exec_lo, s37
	s_delay_alu instid0(SALU_CYCLE_1) | instskip(SKIP_1) | instid1(SALU_CYCLE_1)
	s_and_not1_b32 s28, s28, exec_lo
	s_and_b32 s3, s3, exec_lo
	s_or_b32 s28, s28, s3
.LBB79_20:                              ;   in Loop: Header=BB79_21 Depth=1
	s_or_b32 exec_lo, exec_lo, s29
	s_delay_alu instid0(SALU_CYCLE_1) | instskip(NEXT) | instid1(SALU_CYCLE_1)
	s_and_b32 s3, exec_lo, s28
	s_or_b32 s27, s3, s27
	s_delay_alu instid0(SALU_CYCLE_1)
	s_and_not1_b32 exec_lo, exec_lo, s27
	s_cbranch_execz .LBB79_25
.LBB79_21:                              ; =>This Inner Loop Header: Depth=1
	v_add_co_u32 v15, vcc_lo, v23, v11
	v_add_co_ci_u32_e32 v16, vcc_lo, v24, v12, vcc_lo
	v_add_co_u32 v42, vcc_lo, v32, v11
	v_add_co_ci_u32_e32 v43, vcc_lo, v33, v12, vcc_lo
	;; [unrolled: 2-line block ×3, first 2 shown]
	global_load_b64 v[15:16], v[15:16], off
	global_load_b64 v[42:43], v[42:43], off
	;; [unrolled: 1-line block ×3, first 2 shown]
	s_or_b32 s28, s28, exec_lo
	s_mov_b32 s29, exec_lo
	s_waitcnt vmcnt(2)
	v_lshlrev_b32_e32 v48, 16, v15
	s_waitcnt vmcnt(0)
	v_and_b32_e32 v50, 0xffff0000, v44
	v_lshlrev_b32_e32 v49, 16, v44
	v_alignbit_b32 v44, v45, v44, 16
	s_delay_alu instid0(VALU_DEP_1) | instskip(SKIP_2) | instid1(VALU_DEP_1)
	v_and_b32_e32 v44, 0xffff0000, v44
	v_and_b32_e32 v46, 0xffff0000, v15
	v_alignbit_b32 v15, v16, v15, 16
	v_and_b32_e32 v15, 0xffff0000, v15
	s_delay_alu instid0(VALU_DEP_1) | instskip(SKIP_2) | instid1(VALU_DEP_2)
	v_dual_add_f32 v15, v15, v44 :: v_dual_add_f32 v46, v46, v50
	v_dual_add_f32 v48, v48, v49 :: v_dual_and_b32 v47, 0xffff0000, v42
	s_waitcnt lgkmcnt(0)
	v_dual_mul_f32 v15, v28, v15 :: v_dual_and_b32 v16, 0xffff0000, v16
	s_delay_alu instid0(VALU_DEP_3) | instskip(NEXT) | instid1(VALU_DEP_3)
	v_dual_mul_f32 v46, v28, v46 :: v_dual_and_b32 v45, 0xffff0000, v45
	v_mul_f32_e32 v48, v28, v48
	s_delay_alu instid0(VALU_DEP_3) | instskip(NEXT) | instid1(VALU_DEP_3)
	v_bfe_u32 v51, v15, 16, 1
	v_dual_add_f32 v16, v16, v45 :: v_dual_lshlrev_b32 v45, 16, v42
	s_delay_alu instid0(VALU_DEP_3) | instskip(SKIP_1) | instid1(VALU_DEP_3)
	v_bfe_u32 v44, v48, 16, 1
	v_alignbit_b32 v42, v43, v42, 16
	v_dual_mul_f32 v16, v28, v16 :: v_dual_and_b32 v43, 0xffff0000, v43
	v_bfe_u32 v49, v46, 16, 1
	s_delay_alu instid0(VALU_DEP_4)
	v_add3_u32 v44, v48, v44, 0x7fff
	v_cmp_o_f32_e32 vcc_lo, v48, v48
	v_and_b32_e32 v42, 0xffff0000, v42
	v_bfe_u32 v50, v16, 16, 1
	v_add3_u32 v49, v46, v49, 0x7fff
	v_and_b32_e32 v44, 0xffff0000, v44
	v_add3_u32 v51, v15, v51, 0x7fff
	s_delay_alu instid0(VALU_DEP_4) | instskip(NEXT) | instid1(VALU_DEP_4)
	v_add3_u32 v50, v16, v50, 0x7fff
	v_and_b32_e32 v49, 0xffff0000, v49
	s_delay_alu instid0(VALU_DEP_4)
	v_cndmask_b32_e32 v44, 0x7fc00000, v44, vcc_lo
	v_cmp_o_f32_e32 vcc_lo, v46, v46
	v_and_b32_e32 v48, 0xffff0000, v51
	v_and_b32_e32 v50, 0xffff0000, v50
	v_cndmask_b32_e32 v46, 0x7fc00000, v49, vcc_lo
	v_cmp_o_f32_e32 vcc_lo, v16, v16
	s_delay_alu instid0(VALU_DEP_3) | instskip(SKIP_1) | instid1(VALU_DEP_4)
	v_cndmask_b32_e32 v16, 0x7fc00000, v50, vcc_lo
	v_cmp_o_f32_e32 vcc_lo, v15, v15
	v_dual_mul_f32 v44, v44, v45 :: v_dual_mul_f32 v45, v46, v47
	s_delay_alu instid0(VALU_DEP_3) | instskip(SKIP_1) | instid1(VALU_DEP_3)
	v_mul_f32_e32 v43, v16, v43
	v_cndmask_b32_e32 v15, 0x7fc00000, v48, vcc_lo
	v_bfe_u32 v46, v44, 16, 1
	s_delay_alu instid0(VALU_DEP_4) | instskip(SKIP_1) | instid1(VALU_DEP_4)
	v_bfe_u32 v16, v45, 16, 1
	v_cmp_o_f32_e32 vcc_lo, v44, v44
	v_mul_f32_e32 v42, v15, v42
	s_delay_alu instid0(VALU_DEP_4) | instskip(NEXT) | instid1(VALU_DEP_4)
	v_add3_u32 v15, v44, v46, 0x7fff
	v_add3_u32 v16, v45, v16, 0x7fff
	v_bfe_u32 v46, v43, 16, 1
	s_delay_alu instid0(VALU_DEP_4) | instskip(NEXT) | instid1(VALU_DEP_4)
	v_bfe_u32 v47, v42, 16, 1
	v_and_b32_e32 v15, 0xffff0000, v15
	s_delay_alu instid0(VALU_DEP_4) | instskip(NEXT) | instid1(VALU_DEP_4)
	v_and_b32_e32 v16, 0xffff0000, v16
	v_add3_u32 v46, v43, v46, 0x7fff
	s_delay_alu instid0(VALU_DEP_4) | instskip(NEXT) | instid1(VALU_DEP_4)
	v_add3_u32 v47, v42, v47, 0x7fff
	v_cndmask_b32_e64 v44, 0x7fc00000, |v15|, vcc_lo
	v_cmp_o_f32_e32 vcc_lo, v45, v45
	s_delay_alu instid0(VALU_DEP_4) | instskip(NEXT) | instid1(VALU_DEP_4)
	v_and_b32_e32 v46, 0xffff0000, v46
	v_and_b32_e32 v47, 0xffff0000, v47
	v_cndmask_b32_e64 v45, 0x7fc00000, |v16|, vcc_lo
	v_add_co_u32 v15, vcc_lo, v13, s22
	v_add_co_ci_u32_e32 v16, vcc_lo, s23, v14, vcc_lo
	v_cmp_o_f32_e32 vcc_lo, v42, v42
	s_delay_alu instid0(VALU_DEP_4) | instskip(SKIP_3) | instid1(VALU_DEP_1)
	v_max3_f32 v4, v4, v44, v45
	v_cndmask_b32_e64 v42, 0x7fc00000, |v47|, vcc_lo
	v_cmp_o_f32_e32 vcc_lo, v43, v43
	v_cndmask_b32_e64 v43, 0x7fc00000, |v46|, vcc_lo
	v_max3_f32 v4, v4, v42, v43
	v_cmpx_lt_i64_e64 v[15:16], v[9:10]
	s_cbranch_execz .LBB79_20
; %bb.22:                               ;   in Loop: Header=BB79_21 Depth=1
	v_add_co_u32 v42, vcc_lo, v21, v11
	v_add_co_ci_u32_e32 v43, vcc_lo, v22, v12, vcc_lo
	v_add_co_u32 v44, vcc_lo, v30, v11
	v_add_co_ci_u32_e32 v45, vcc_lo, v31, v12, vcc_lo
	;; [unrolled: 2-line block ×3, first 2 shown]
	global_load_b64 v[42:43], v[42:43], off
	global_load_b64 v[44:45], v[44:45], off
	;; [unrolled: 1-line block ×3, first 2 shown]
	s_mov_b32 s3, -1
	s_mov_b32 s37, exec_lo
	s_waitcnt vmcnt(2)
	v_lshlrev_b32_e32 v50, 16, v42
	s_waitcnt vmcnt(0)
	v_lshlrev_b32_e32 v51, 16, v46
	v_and_b32_e32 v52, 0xffff0000, v46
	v_alignbit_b32 v46, v47, v46, 16
	v_and_b32_e32 v47, 0xffff0000, v47
	v_and_b32_e32 v48, 0xffff0000, v42
	v_alignbit_b32 v42, v43, v42, 16
	v_and_b32_e32 v43, 0xffff0000, v43
	s_delay_alu instid0(VALU_DEP_1) | instskip(NEXT) | instid1(VALU_DEP_4)
	v_dual_add_f32 v43, v43, v47 :: v_dual_and_b32 v46, 0xffff0000, v46
	v_add_f32_e32 v48, v48, v52
	v_lshlrev_b32_e32 v47, 16, v44
	s_delay_alu instid0(VALU_DEP_3) | instskip(NEXT) | instid1(VALU_DEP_3)
	v_mul_f32_e32 v43, v28, v43
	v_mul_f32_e32 v48, v28, v48
	v_dual_add_f32 v50, v50, v51 :: v_dual_and_b32 v49, 0xffff0000, v44
	v_alignbit_b32 v44, v45, v44, 16
	v_and_b32_e32 v45, 0xffff0000, v45
	v_and_b32_e32 v42, 0xffff0000, v42
	v_bfe_u32 v51, v48, 16, 1
	v_mul_f32_e32 v50, v28, v50
	v_bfe_u32 v52, v43, 16, 1
	v_and_b32_e32 v44, 0xffff0000, v44
	v_add_f32_e32 v42, v42, v46
	v_add3_u32 v51, v48, v51, 0x7fff
	v_bfe_u32 v46, v50, 16, 1
	v_cmp_o_f32_e32 vcc_lo, v50, v50
	v_add3_u32 v52, v43, v52, 0x7fff
	s_delay_alu instid0(VALU_DEP_4) | instskip(NEXT) | instid1(VALU_DEP_4)
	v_dual_mul_f32 v42, v28, v42 :: v_dual_and_b32 v51, 0xffff0000, v51
	v_add3_u32 v46, v50, v46, 0x7fff
	s_delay_alu instid0(VALU_DEP_3) | instskip(NEXT) | instid1(VALU_DEP_3)
	v_and_b32_e32 v52, 0xffff0000, v52
	v_bfe_u32 v53, v42, 16, 1
	s_delay_alu instid0(VALU_DEP_3) | instskip(NEXT) | instid1(VALU_DEP_2)
	v_and_b32_e32 v46, 0xffff0000, v46
	v_add3_u32 v53, v42, v53, 0x7fff
	s_delay_alu instid0(VALU_DEP_2) | instskip(SKIP_1) | instid1(VALU_DEP_3)
	v_cndmask_b32_e32 v46, 0x7fc00000, v46, vcc_lo
	v_cmp_o_f32_e32 vcc_lo, v48, v48
	v_and_b32_e32 v50, 0xffff0000, v53
	s_delay_alu instid0(VALU_DEP_3) | instskip(SKIP_2) | instid1(VALU_DEP_2)
	v_mul_f32_e32 v46, v46, v47
	v_cndmask_b32_e32 v48, 0x7fc00000, v51, vcc_lo
	v_cmp_o_f32_e32 vcc_lo, v43, v43
	v_mul_f32_e32 v47, v48, v49
	v_cndmask_b32_e32 v43, 0x7fc00000, v52, vcc_lo
	v_cmp_o_f32_e32 vcc_lo, v42, v42
	v_bfe_u32 v48, v46, 16, 1
	s_delay_alu instid0(VALU_DEP_3) | instskip(SKIP_2) | instid1(VALU_DEP_2)
	v_dual_mul_f32 v45, v43, v45 :: v_dual_cndmask_b32 v42, 0x7fc00000, v50
	v_bfe_u32 v43, v47, 16, 1
	v_cmp_o_f32_e32 vcc_lo, v46, v46
	v_add3_u32 v43, v47, v43, 0x7fff
	s_delay_alu instid0(VALU_DEP_4) | instskip(SKIP_2) | instid1(VALU_DEP_4)
	v_mul_f32_e32 v44, v42, v44
	v_add3_u32 v42, v46, v48, 0x7fff
	v_bfe_u32 v48, v45, 16, 1
	v_and_b32_e32 v43, 0xffff0000, v43
	s_delay_alu instid0(VALU_DEP_4) | instskip(NEXT) | instid1(VALU_DEP_4)
	v_bfe_u32 v49, v44, 16, 1
	v_and_b32_e32 v42, 0xffff0000, v42
	s_delay_alu instid0(VALU_DEP_4) | instskip(NEXT) | instid1(VALU_DEP_3)
	v_add3_u32 v48, v45, v48, 0x7fff
	v_add3_u32 v49, v44, v49, 0x7fff
	s_delay_alu instid0(VALU_DEP_3) | instskip(SKIP_1) | instid1(VALU_DEP_4)
	v_cndmask_b32_e64 v46, 0x7fc00000, |v42|, vcc_lo
	v_cmp_o_f32_e32 vcc_lo, v47, v47
	v_and_b32_e32 v48, 0xffff0000, v48
	s_delay_alu instid0(VALU_DEP_4) | instskip(SKIP_4) | instid1(VALU_DEP_4)
	v_and_b32_e32 v49, 0xffff0000, v49
	v_cndmask_b32_e64 v47, 0x7fc00000, |v43|, vcc_lo
	v_add_co_u32 v42, vcc_lo, s8, v13
	v_add_co_ci_u32_e32 v43, vcc_lo, s9, v14, vcc_lo
	v_cmp_o_f32_e32 vcc_lo, v44, v44
	v_max3_f32 v4, v4, v46, v47
	v_cndmask_b32_e64 v44, 0x7fc00000, |v49|, vcc_lo
	v_cmp_o_f32_e32 vcc_lo, v45, v45
	v_cndmask_b32_e64 v45, 0x7fc00000, |v48|, vcc_lo
	s_delay_alu instid0(VALU_DEP_1)
	v_max3_f32 v4, v4, v44, v45
	v_cmpx_lt_i64_e64 v[42:43], v[9:10]
	s_cbranch_execz .LBB79_19
; %bb.23:                               ;   in Loop: Header=BB79_21 Depth=1
	v_add_co_u32 v42, vcc_lo, v19, v11
	v_add_co_ci_u32_e32 v43, vcc_lo, v20, v12, vcc_lo
	v_add_co_u32 v44, vcc_lo, v27, v11
	v_add_co_ci_u32_e32 v45, vcc_lo, v29, v12, vcc_lo
	;; [unrolled: 2-line block ×3, first 2 shown]
	global_load_b64 v[42:43], v[42:43], off
	global_load_b64 v[44:45], v[44:45], off
	;; [unrolled: 1-line block ×3, first 2 shown]
	s_waitcnt vmcnt(2)
	v_lshlrev_b32_e32 v50, 16, v42
	s_waitcnt vmcnt(0)
	v_lshlrev_b32_e32 v51, 16, v46
	v_and_b32_e32 v52, 0xffff0000, v46
	v_alignbit_b32 v46, v47, v46, 16
	v_and_b32_e32 v47, 0xffff0000, v47
	v_and_b32_e32 v48, 0xffff0000, v42
	v_alignbit_b32 v42, v43, v42, 16
	v_and_b32_e32 v43, 0xffff0000, v43
	s_delay_alu instid0(VALU_DEP_1) | instskip(NEXT) | instid1(VALU_DEP_4)
	v_dual_add_f32 v43, v43, v47 :: v_dual_and_b32 v46, 0xffff0000, v46
	v_add_f32_e32 v48, v48, v52
	v_lshlrev_b32_e32 v47, 16, v44
	s_delay_alu instid0(VALU_DEP_3) | instskip(NEXT) | instid1(VALU_DEP_3)
	v_mul_f32_e32 v43, v28, v43
	v_mul_f32_e32 v48, v28, v48
	v_dual_add_f32 v50, v50, v51 :: v_dual_and_b32 v49, 0xffff0000, v44
	v_alignbit_b32 v44, v45, v44, 16
	v_and_b32_e32 v45, 0xffff0000, v45
	v_and_b32_e32 v42, 0xffff0000, v42
	v_bfe_u32 v51, v48, 16, 1
	v_mul_f32_e32 v50, v28, v50
	v_bfe_u32 v52, v43, 16, 1
	v_and_b32_e32 v44, 0xffff0000, v44
	v_add_f32_e32 v42, v42, v46
	v_add3_u32 v51, v48, v51, 0x7fff
	v_bfe_u32 v46, v50, 16, 1
	v_cmp_o_f32_e32 vcc_lo, v50, v50
	v_add3_u32 v52, v43, v52, 0x7fff
	s_delay_alu instid0(VALU_DEP_4) | instskip(NEXT) | instid1(VALU_DEP_4)
	v_dual_mul_f32 v42, v28, v42 :: v_dual_and_b32 v51, 0xffff0000, v51
	v_add3_u32 v46, v50, v46, 0x7fff
	s_delay_alu instid0(VALU_DEP_3) | instskip(NEXT) | instid1(VALU_DEP_3)
	v_and_b32_e32 v52, 0xffff0000, v52
	v_bfe_u32 v53, v42, 16, 1
	s_delay_alu instid0(VALU_DEP_3) | instskip(NEXT) | instid1(VALU_DEP_2)
	v_and_b32_e32 v46, 0xffff0000, v46
	v_add3_u32 v53, v42, v53, 0x7fff
	s_delay_alu instid0(VALU_DEP_2) | instskip(SKIP_1) | instid1(VALU_DEP_3)
	v_cndmask_b32_e32 v46, 0x7fc00000, v46, vcc_lo
	v_cmp_o_f32_e32 vcc_lo, v48, v48
	v_and_b32_e32 v50, 0xffff0000, v53
	s_delay_alu instid0(VALU_DEP_3) | instskip(SKIP_2) | instid1(VALU_DEP_2)
	v_mul_f32_e32 v46, v46, v47
	v_cndmask_b32_e32 v48, 0x7fc00000, v51, vcc_lo
	v_cmp_o_f32_e32 vcc_lo, v43, v43
	v_mul_f32_e32 v47, v48, v49
	v_cndmask_b32_e32 v43, 0x7fc00000, v52, vcc_lo
	v_cmp_o_f32_e32 vcc_lo, v42, v42
	v_bfe_u32 v48, v46, 16, 1
	s_delay_alu instid0(VALU_DEP_3) | instskip(SKIP_2) | instid1(VALU_DEP_2)
	v_dual_mul_f32 v43, v43, v45 :: v_dual_cndmask_b32 v42, 0x7fc00000, v50
	v_bfe_u32 v45, v47, 16, 1
	v_cmp_o_f32_e32 vcc_lo, v46, v46
	v_add3_u32 v45, v47, v45, 0x7fff
	s_delay_alu instid0(VALU_DEP_4) | instskip(SKIP_2) | instid1(VALU_DEP_4)
	v_mul_f32_e32 v42, v42, v44
	v_add3_u32 v44, v46, v48, 0x7fff
	v_bfe_u32 v48, v43, 16, 1
	v_and_b32_e32 v45, 0xffff0000, v45
	s_delay_alu instid0(VALU_DEP_4) | instskip(NEXT) | instid1(VALU_DEP_4)
	v_bfe_u32 v49, v42, 16, 1
	v_and_b32_e32 v44, 0xffff0000, v44
	s_delay_alu instid0(VALU_DEP_4) | instskip(NEXT) | instid1(VALU_DEP_3)
	v_add3_u32 v48, v43, v48, 0x7fff
	v_add3_u32 v49, v42, v49, 0x7fff
	s_delay_alu instid0(VALU_DEP_3) | instskip(SKIP_1) | instid1(VALU_DEP_4)
	v_cndmask_b32_e64 v44, 0x7fc00000, |v44|, vcc_lo
	v_cmp_o_f32_e32 vcc_lo, v47, v47
	v_and_b32_e32 v47, 0xffff0000, v48
	s_delay_alu instid0(VALU_DEP_4) | instskip(SKIP_4) | instid1(VALU_DEP_4)
	v_and_b32_e32 v46, 0xffff0000, v49
	v_cndmask_b32_e64 v45, 0x7fc00000, |v45|, vcc_lo
	v_add_co_u32 v13, vcc_lo, s26, v13
	v_add_co_ci_u32_e32 v14, vcc_lo, s15, v14, vcc_lo
	v_cmp_o_f32_e32 vcc_lo, v42, v42
	v_max3_f32 v4, v4, v44, v45
	v_cndmask_b32_e64 v42, 0x7fc00000, |v46|, vcc_lo
	v_cmp_o_f32_e32 vcc_lo, v43, v43
	v_cndmask_b32_e64 v43, 0x7fc00000, |v47|, vcc_lo
	v_cmp_lt_i64_e32 vcc_lo, v[13:14], v[9:10]
                                        ; implicit-def: $vgpr13_vgpr14
	s_delay_alu instid0(VALU_DEP_2) | instskip(SKIP_1) | instid1(SALU_CYCLE_1)
	v_max3_f32 v4, v4, v42, v43
	s_and_saveexec_b32 s38, vcc_lo
	s_xor_b32 s38, exec_lo, s38
	s_cbranch_execz .LBB79_18
; %bb.24:                               ;   in Loop: Header=BB79_21 Depth=1
	v_add_co_u32 v13, vcc_lo, v17, v11
	v_add_co_ci_u32_e32 v14, vcc_lo, v18, v12, vcc_lo
	v_add_co_u32 v42, vcc_lo, v25, v11
	v_add_co_ci_u32_e32 v43, vcc_lo, v26, v12, vcc_lo
	;; [unrolled: 2-line block ×3, first 2 shown]
	global_load_b64 v[13:14], v[13:14], off
	global_load_b64 v[42:43], v[42:43], off
	global_load_b64 v[44:45], v[44:45], off
	v_add_co_u32 v17, vcc_lo, v17, s24
	v_add_co_ci_u32_e32 v18, vcc_lo, s25, v18, vcc_lo
	v_add_co_u32 v19, vcc_lo, v19, s24
	v_add_co_ci_u32_e32 v20, vcc_lo, s25, v20, vcc_lo
	;; [unrolled: 2-line block ×10, first 2 shown]
	s_add_u32 s3, s22, s22
	s_addc_u32 s39, s23, s23
	s_add_u32 s3, s3, s22
	s_addc_u32 s39, s39, s23
	s_waitcnt vmcnt(2)
	v_lshlrev_b32_e32 v48, 16, v13
	s_waitcnt vmcnt(0)
	v_and_b32_e32 v50, 0xffff0000, v44
	v_lshlrev_b32_e32 v49, 16, v44
	v_alignbit_b32 v44, v45, v44, 16
	s_delay_alu instid0(VALU_DEP_1) | instskip(SKIP_2) | instid1(VALU_DEP_1)
	v_and_b32_e32 v44, 0xffff0000, v44
	v_and_b32_e32 v46, 0xffff0000, v13
	v_alignbit_b32 v13, v14, v13, 16
	v_and_b32_e32 v13, 0xffff0000, v13
	s_delay_alu instid0(VALU_DEP_1) | instskip(SKIP_1) | instid1(VALU_DEP_2)
	v_dual_add_f32 v13, v13, v44 :: v_dual_add_f32 v46, v46, v50
	v_dual_add_f32 v48, v48, v49 :: v_dual_and_b32 v47, 0xffff0000, v42
	v_dual_mul_f32 v13, v28, v13 :: v_dual_and_b32 v14, 0xffff0000, v14
	s_delay_alu instid0(VALU_DEP_3) | instskip(NEXT) | instid1(VALU_DEP_3)
	v_dual_mul_f32 v46, v28, v46 :: v_dual_and_b32 v45, 0xffff0000, v45
	v_mul_f32_e32 v48, v28, v48
	s_delay_alu instid0(VALU_DEP_3) | instskip(NEXT) | instid1(VALU_DEP_3)
	v_bfe_u32 v51, v13, 16, 1
	v_dual_add_f32 v14, v14, v45 :: v_dual_lshlrev_b32 v45, 16, v42
	s_delay_alu instid0(VALU_DEP_3) | instskip(SKIP_2) | instid1(VALU_DEP_4)
	v_bfe_u32 v44, v48, 16, 1
	v_bfe_u32 v49, v46, 16, 1
	v_alignbit_b32 v42, v43, v42, 16
	v_dual_mul_f32 v14, v28, v14 :: v_dual_and_b32 v43, 0xffff0000, v43
	s_delay_alu instid0(VALU_DEP_4) | instskip(NEXT) | instid1(VALU_DEP_4)
	v_add3_u32 v44, v48, v44, 0x7fff
	v_add3_u32 v49, v46, v49, 0x7fff
	v_cmp_o_f32_e32 vcc_lo, v48, v48
	s_delay_alu instid0(VALU_DEP_4)
	v_bfe_u32 v50, v14, 16, 1
	v_and_b32_e32 v42, 0xffff0000, v42
	v_and_b32_e32 v44, 0xffff0000, v44
	v_and_b32_e32 v49, 0xffff0000, v49
	v_add3_u32 v51, v13, v51, 0x7fff
	v_add3_u32 v50, v14, v50, 0x7fff
	s_delay_alu instid0(VALU_DEP_4) | instskip(SKIP_1) | instid1(VALU_DEP_4)
	v_cndmask_b32_e32 v44, 0x7fc00000, v44, vcc_lo
	v_cmp_o_f32_e32 vcc_lo, v46, v46
	v_and_b32_e32 v48, 0xffff0000, v51
	s_delay_alu instid0(VALU_DEP_4) | instskip(SKIP_2) | instid1(VALU_DEP_3)
	v_and_b32_e32 v50, 0xffff0000, v50
	v_cndmask_b32_e32 v46, 0x7fc00000, v49, vcc_lo
	v_cmp_o_f32_e32 vcc_lo, v14, v14
	v_cndmask_b32_e32 v14, 0x7fc00000, v50, vcc_lo
	v_cmp_o_f32_e32 vcc_lo, v13, v13
	s_delay_alu instid0(VALU_DEP_4) | instskip(NEXT) | instid1(VALU_DEP_3)
	v_dual_mul_f32 v44, v44, v45 :: v_dual_mul_f32 v45, v46, v47
	v_mul_f32_e32 v43, v14, v43
	v_cndmask_b32_e32 v13, 0x7fc00000, v48, vcc_lo
	s_delay_alu instid0(VALU_DEP_3) | instskip(NEXT) | instid1(VALU_DEP_4)
	v_bfe_u32 v14, v44, 16, 1
	v_bfe_u32 v46, v45, 16, 1
	v_cmp_o_f32_e32 vcc_lo, v44, v44
	s_delay_alu instid0(VALU_DEP_4) | instskip(NEXT) | instid1(VALU_DEP_4)
	v_mul_f32_e32 v42, v13, v42
	v_add3_u32 v14, v44, v14, 0x7fff
	v_bfe_u32 v13, v43, 16, 1
	v_add3_u32 v46, v45, v46, 0x7fff
	s_delay_alu instid0(VALU_DEP_4) | instskip(NEXT) | instid1(VALU_DEP_4)
	v_bfe_u32 v47, v42, 16, 1
	v_and_b32_e32 v14, 0xffff0000, v14
	s_delay_alu instid0(VALU_DEP_4) | instskip(NEXT) | instid1(VALU_DEP_4)
	v_add3_u32 v13, v43, v13, 0x7fff
	v_and_b32_e32 v46, 0xffff0000, v46
	s_delay_alu instid0(VALU_DEP_4) | instskip(NEXT) | instid1(VALU_DEP_4)
	v_add3_u32 v47, v42, v47, 0x7fff
	v_cndmask_b32_e64 v44, 0x7fc00000, |v14|, vcc_lo
	v_cmp_o_f32_e32 vcc_lo, v45, v45
	v_and_b32_e32 v48, 0xffff0000, v13
	v_cndmask_b32_e64 v45, 0x7fc00000, |v46|, vcc_lo
	v_add_co_u32 v13, vcc_lo, s3, v15
	v_add_co_ci_u32_e32 v14, vcc_lo, s39, v16, vcc_lo
	v_cmp_o_f32_e32 vcc_lo, v43, v43
	v_and_b32_e32 v15, 0xffff0000, v47
	v_max3_f32 v4, v4, v44, v45
	v_add_co_u32 v40, s3, v40, s24
	v_cndmask_b32_e64 v16, 0x7fc00000, |v48|, vcc_lo
	v_cmp_o_f32_e32 vcc_lo, v42, v42
	v_add_co_ci_u32_e64 v41, s3, s25, v41, s3
	v_cndmask_b32_e64 v15, 0x7fc00000, |v15|, vcc_lo
	v_add_co_u32 v38, vcc_lo, v38, s24
	v_add_co_ci_u32_e32 v39, vcc_lo, s25, v39, vcc_lo
	v_cmp_ge_i64_e32 vcc_lo, v[13:14], v[9:10]
	s_delay_alu instid0(VALU_DEP_4)
	v_max3_f32 v4, v4, v15, v16
	s_or_not1_b32 s3, vcc_lo, exec_lo
	s_branch .LBB79_18
.LBB79_25:
	s_or_b32 exec_lo, exec_lo, s27
.LBB79_26:
	s_delay_alu instid0(SALU_CYCLE_1)
	s_or_b32 exec_lo, exec_lo, s13
	s_lshr_b32 s15, s35, 5
	v_lshlrev_b32_e32 v29, 2, v0
	v_cvt_f32_u32_e32 v9, s15
	s_sub_i32 s8, 0, s15
	s_add_i32 s9, s12, s15
	s_delay_alu instid0(SALU_CYCLE_1) | instskip(NEXT) | instid1(VALU_DEP_1)
	s_add_i32 s9, s9, -1
	v_rcp_iflag_f32_e32 v9, v9
	s_abs_i32 s13, s9
	s_ashr_i32 s9, s9, 31
	ds_store_b32 v29, v4
	s_waitcnt lgkmcnt(0)
	s_barrier
	buffer_gl0_inv
	v_mul_f32_e32 v9, 0x4f7ffffe, v9
	s_delay_alu instid0(VALU_DEP_1) | instskip(NEXT) | instid1(VALU_DEP_1)
	v_cvt_u32_f32_e32 v9, v9
	v_readfirstlane_b32 s3, v9
	s_delay_alu instid0(VALU_DEP_1) | instskip(NEXT) | instid1(SALU_CYCLE_1)
	s_mul_i32 s8, s8, s3
	s_mul_hi_u32 s8, s3, s8
	s_delay_alu instid0(SALU_CYCLE_1) | instskip(NEXT) | instid1(SALU_CYCLE_1)
	s_add_i32 s3, s3, s8
	s_mul_hi_u32 s3, s13, s3
	s_delay_alu instid0(SALU_CYCLE_1) | instskip(NEXT) | instid1(SALU_CYCLE_1)
	s_mul_i32 s8, s3, s15
	s_sub_i32 s8, s13, s8
	s_add_i32 s13, s3, 1
	s_sub_i32 s24, s8, s15
	s_cmp_ge_u32 s8, s15
	s_cselect_b32 s3, s13, s3
	s_cselect_b32 s8, s24, s8
	s_add_i32 s13, s3, 1
	s_cmp_ge_u32 s8, s15
	s_cselect_b32 s3, s13, s3
	s_delay_alu instid0(SALU_CYCLE_1) | instskip(NEXT) | instid1(SALU_CYCLE_1)
	s_xor_b32 s3, s3, s9
	s_sub_i32 s8, s3, s9
	s_delay_alu instid0(SALU_CYCLE_1) | instskip(NEXT) | instid1(SALU_CYCLE_1)
	s_ashr_i32 s9, s8, 31
	v_cmp_lt_i64_e64 s3, s[8:9], 1
	s_delay_alu instid0(VALU_DEP_1)
	s_and_b32 vcc_lo, exec_lo, s3
	s_cbranch_vccnz .LBB79_46
; %bb.27:
	v_lshrrev_b32_e32 v9, 5, v0
	v_and_b32_e32 v4, 31, v0
	s_ashr_i32 s13, s12, 31
	s_mov_b64 s[24:25], 0
	s_mov_b64 s[26:27], src_shared_base
	v_mul_lo_u32 v19, s22, v9
	v_add_co_u32 v11, s3, v4, 16
	s_delay_alu instid0(VALU_DEP_1) | instskip(SKIP_1) | instid1(VALU_DEP_1)
	v_add_co_ci_u32_e64 v12, null, 0, 0, s3
	v_add_co_u32 v13, s3, v4, 8
	v_add_co_ci_u32_e64 v14, null, 0, 0, s3
	v_add_co_u32 v15, s3, v4, 4
	v_dual_mov_b32 v10, 0 :: v_dual_lshlrev_b32 v21, 2, v19
	v_lshlrev_b32_e32 v22, 2, v4
	v_add_co_ci_u32_e64 v16, null, 0, 0, s3
	v_add_co_u32 v17, s3, v4, 2
	s_delay_alu instid0(VALU_DEP_1) | instskip(SKIP_1) | instid1(VALU_DEP_1)
	v_add_co_ci_u32_e64 v18, null, 0, 0, s3
	v_add_co_u32 v19, s3, v4, 1
	v_add_co_ci_u32_e64 v20, null, 0, 0, s3
	v_add3_u32 v30, v21, v22, 0x80
	s_mul_i32 s3, s22, s15
	s_delay_alu instid0(SALU_CYCLE_1)
	s_lshl_b32 s28, s3, 2
	s_branch .LBB79_30
.LBB79_28:                              ;   in Loop: Header=BB79_30 Depth=1
	s_or_b32 exec_lo, exec_lo, s3
	v_mov_b32_e32 v22, s27
	flat_load_b32 v21, v[21:22] glc dlc
	s_waitcnt vmcnt(0)
.LBB79_29:                              ;   in Loop: Header=BB79_30 Depth=1
	s_or_b32 exec_lo, exec_lo, s26
	s_add_u32 s24, s24, 1
	v_add_nc_u32_e32 v30, s28, v30
	s_addc_u32 s25, s25, 0
	s_delay_alu instid0(SALU_CYCLE_1)
	s_cmp_eq_u64 s[24:25], s[8:9]
	s_cbranch_scc1 .LBB79_46
.LBB79_30:                              ; =>This Loop Header: Depth=1
                                        ;     Child Loop BB79_33 Depth 2
	s_waitcnt lgkmcnt(0)
	v_mad_u64_u32 v[21:22], null, s24, s15, v[9:10]
	s_mov_b32 s26, exec_lo
	s_delay_alu instid0(VALU_DEP_1) | instskip(NEXT) | instid1(VALU_DEP_1)
	v_mad_u64_u32 v[23:24], null, s25, s15, v[22:23]
	v_mov_b32_e32 v22, v23
	s_delay_alu instid0(VALU_DEP_1)
	v_cmpx_gt_i64_e64 s[12:13], v[21:22]
	s_cbranch_execz .LBB79_29
; %bb.31:                               ;   in Loop: Header=BB79_30 Depth=1
	v_mul_lo_u32 v24, v22, s22
	v_mul_lo_u32 v25, v21, s23
	v_mad_u64_u32 v[22:23], null, v21, s22, 0
	s_delay_alu instid0(VALU_DEP_1) | instskip(NEXT) | instid1(VALU_DEP_2)
	v_add3_u32 v23, v23, v25, v24
	v_add_co_u32 v24, vcc_lo, v22, s22
	v_add_co_u32 v31, s3, v22, v4
	s_delay_alu instid0(VALU_DEP_3) | instskip(SKIP_2) | instid1(VALU_DEP_2)
	v_add_co_ci_u32_e32 v25, vcc_lo, s23, v23, vcc_lo
	v_add_co_ci_u32_e64 v21, s3, 0, v23, s3
	s_mov_b32 s3, exec_lo
	v_cmp_gt_i64_e32 vcc_lo, s[20:21], v[24:25]
	v_cndmask_b32_e32 v25, s21, v25, vcc_lo
	v_cndmask_b32_e32 v24, s20, v24, vcc_lo
	v_add_co_u32 v26, vcc_lo, v31, 32
	v_add_co_ci_u32_e32 v27, vcc_lo, 0, v21, vcc_lo
	v_lshlrev_b32_e32 v21, 2, v31
	s_delay_alu instid0(VALU_DEP_2)
	v_cmpx_lt_i64_e64 v[26:27], v[24:25]
	s_cbranch_execz .LBB79_34
; %bb.32:                               ;   in Loop: Header=BB79_30 Depth=1
	ds_load_b32 v33, v21
	v_mov_b32_e32 v32, v30
	s_mov_b32 s29, 0
.LBB79_33:                              ;   Parent Loop BB79_30 Depth=1
                                        ; =>  This Inner Loop Header: Depth=2
	ds_load_b32 v34, v32
	v_add_co_u32 v26, vcc_lo, v26, 32
	v_add_co_ci_u32_e32 v27, vcc_lo, 0, v27, vcc_lo
	s_waitcnt lgkmcnt(1)
	v_dual_max_f32 v33, v33, v33 :: v_dual_add_nc_u32 v32, 0x80, v32
	s_delay_alu instid0(VALU_DEP_2) | instskip(SKIP_3) | instid1(VALU_DEP_1)
	v_cmp_ge_i64_e32 vcc_lo, v[26:27], v[24:25]
	s_or_b32 s29, vcc_lo, s29
	s_waitcnt lgkmcnt(0)
	v_max_f32_e32 v34, v34, v34
	v_max_f32_e32 v33, v33, v34
	ds_store_b32 v21, v33
	s_and_not1_b32 exec_lo, exec_lo, s29
	s_cbranch_execnz .LBB79_33
.LBB79_34:                              ;   in Loop: Header=BB79_30 Depth=1
	s_or_b32 exec_lo, exec_lo, s3
	v_sub_co_u32 v22, vcc_lo, v24, v22
	v_sub_co_ci_u32_e32 v23, vcc_lo, v25, v23, vcc_lo
	s_mov_b32 s3, exec_lo
	s_delay_alu instid0(VALU_DEP_1) | instskip(SKIP_1) | instid1(VALU_DEP_1)
	v_cmp_gt_i64_e32 vcc_lo, 32, v[22:23]
	v_dual_cndmask_b32 v24, 0, v23 :: v_dual_cndmask_b32 v23, 32, v22
	v_cmpx_lt_i64_e64 v[11:12], v[23:24]
	s_cbranch_execz .LBB79_36
; %bb.35:                               ;   in Loop: Header=BB79_30 Depth=1
	v_dual_mov_b32 v22, s27 :: v_dual_add_nc_u32 v25, 64, v21
	v_mov_b32_e32 v26, s27
	flat_load_b32 v27, v[21:22] glc dlc
	s_waitcnt vmcnt(0)
	flat_load_b32 v25, v[25:26] glc dlc
	s_waitcnt vmcnt(0) lgkmcnt(0)
	v_dual_max_f32 v26, v27, v27 :: v_dual_max_f32 v25, v25, v25
	s_delay_alu instid0(VALU_DEP_1)
	v_max_f32_e32 v25, v26, v25
	flat_store_b32 v[21:22], v25 dlc
	s_waitcnt_vscnt null, 0x0
.LBB79_36:                              ;   in Loop: Header=BB79_30 Depth=1
	s_or_b32 exec_lo, exec_lo, s3
	s_delay_alu instid0(SALU_CYCLE_1)
	s_mov_b32 s3, exec_lo
	v_cmpx_lt_i64_e64 v[13:14], v[23:24]
	s_cbranch_execz .LBB79_38
; %bb.37:                               ;   in Loop: Header=BB79_30 Depth=1
	v_dual_mov_b32 v22, s27 :: v_dual_add_nc_u32 v25, 32, v21
	v_mov_b32_e32 v26, s27
	flat_load_b32 v27, v[21:22] glc dlc
	s_waitcnt vmcnt(0)
	flat_load_b32 v25, v[25:26] glc dlc
	s_waitcnt vmcnt(0) lgkmcnt(0)
	v_dual_max_f32 v26, v27, v27 :: v_dual_max_f32 v25, v25, v25
	s_delay_alu instid0(VALU_DEP_1)
	v_max_f32_e32 v25, v26, v25
	flat_store_b32 v[21:22], v25 dlc
	s_waitcnt_vscnt null, 0x0
.LBB79_38:                              ;   in Loop: Header=BB79_30 Depth=1
	s_or_b32 exec_lo, exec_lo, s3
	s_delay_alu instid0(SALU_CYCLE_1)
	s_mov_b32 s3, exec_lo
	v_cmpx_ge_i64_e64 v[15:16], v[23:24]
	s_xor_b32 s3, exec_lo, s3
; %bb.39:                               ;   in Loop: Header=BB79_30 Depth=1
                                        ; implicit-def: $vgpr21
; %bb.40:                               ;   in Loop: Header=BB79_30 Depth=1
	s_delay_alu instid0(SALU_CYCLE_1)
	s_and_not1_saveexec_b32 s3, s3
	s_cbranch_execz .LBB79_42
; %bb.41:                               ;   in Loop: Header=BB79_30 Depth=1
	v_dual_mov_b32 v22, s27 :: v_dual_add_nc_u32 v25, 16, v21
	v_mov_b32_e32 v26, s27
	flat_load_b32 v27, v[21:22] glc dlc
	s_waitcnt vmcnt(0)
	flat_load_b32 v25, v[25:26] glc dlc
	s_waitcnt vmcnt(0) lgkmcnt(0)
	v_dual_max_f32 v26, v27, v27 :: v_dual_max_f32 v25, v25, v25
	s_delay_alu instid0(VALU_DEP_1)
	v_max_f32_e32 v25, v26, v25
	flat_store_b32 v[21:22], v25 dlc
	s_waitcnt_vscnt null, 0x0
.LBB79_42:                              ;   in Loop: Header=BB79_30 Depth=1
	s_or_b32 exec_lo, exec_lo, s3
	v_lshlrev_b32_e32 v21, 2, v31
	s_mov_b32 s3, exec_lo
	v_cmpx_lt_i64_e64 v[17:18], v[23:24]
	s_cbranch_execz .LBB79_44
; %bb.43:                               ;   in Loop: Header=BB79_30 Depth=1
	s_delay_alu instid0(VALU_DEP_2)
	v_dual_mov_b32 v22, s27 :: v_dual_add_nc_u32 v25, 8, v21
	v_mov_b32_e32 v26, s27
	flat_load_b32 v27, v[21:22] glc dlc
	s_waitcnt vmcnt(0)
	flat_load_b32 v25, v[25:26] glc dlc
	s_waitcnt vmcnt(0) lgkmcnt(0)
	v_dual_max_f32 v26, v27, v27 :: v_dual_max_f32 v25, v25, v25
	s_delay_alu instid0(VALU_DEP_1)
	v_max_f32_e32 v25, v26, v25
	flat_store_b32 v[21:22], v25 dlc
	s_waitcnt_vscnt null, 0x0
.LBB79_44:                              ;   in Loop: Header=BB79_30 Depth=1
	s_or_b32 exec_lo, exec_lo, s3
	s_delay_alu instid0(SALU_CYCLE_1)
	s_mov_b32 s3, exec_lo
	v_cmpx_lt_i64_e64 v[19:20], v[23:24]
	s_cbranch_execz .LBB79_28
; %bb.45:                               ;   in Loop: Header=BB79_30 Depth=1
	v_dual_mov_b32 v22, s27 :: v_dual_add_nc_u32 v23, 4, v21
	v_mov_b32_e32 v24, s27
	flat_load_b32 v25, v[21:22] glc dlc
	s_waitcnt vmcnt(0)
	flat_load_b32 v23, v[23:24] glc dlc
	s_waitcnt vmcnt(0) lgkmcnt(0)
	v_dual_max_f32 v24, v25, v25 :: v_dual_max_f32 v23, v23, v23
	s_delay_alu instid0(VALU_DEP_1)
	v_max_f32_e32 v23, v24, v23
	flat_store_b32 v[21:22], v23 dlc
	s_waitcnt_vscnt null, 0x0
	s_branch .LBB79_28
.LBB79_46:
	s_load_b64 s[8:9], s[0:1], 0x40
	v_cmp_lt_i64_e32 vcc_lo, v[7:8], v[5:6]
	v_cmp_eq_u32_e64 s3, 0, v3
	s_waitcnt lgkmcnt(0)
	s_barrier
	buffer_gl0_inv
	s_and_b32 s12, s3, vcc_lo
	s_delay_alu instid0(SALU_CYCLE_1)
	s_and_saveexec_b32 s3, s12
	s_cbranch_execz .LBB79_53
; %bb.47:
	s_load_b64 s[0:1], s[0:1], 0x20
	ds_load_b32 v5, v29
	s_waitcnt lgkmcnt(0)
	s_cmp_eq_u64 s[0:1], 0
	s_cbranch_scc1 .LBB79_49
; %bb.48:
	s_load_b32 s0, s[0:1], 0x0
	v_max_f32_e32 v3, v5, v5
	s_waitcnt lgkmcnt(0)
	v_max_f32_e64 v4, s0, s0
	s_delay_alu instid0(VALU_DEP_1)
	v_min_f32_e32 v5, v3, v4
.LBB79_49:
	s_add_u32 s0, s8, s36
	s_addc_u32 s1, s9, 0
	s_add_u32 s12, s0, -1
	s_addc_u32 s13, s1, -1
	s_delay_alu instid0(SALU_CYCLE_1) | instskip(SKIP_1) | instid1(SALU_CYCLE_1)
	s_or_b64 s[20:21], s[12:13], s[8:9]
	s_mov_b32 s20, 0
	s_cmp_lg_u64 s[20:21], 0
	s_cbranch_scc0 .LBB79_194
; %bb.50:
	s_ashr_i32 s0, s9, 31
	s_delay_alu instid0(SALU_CYCLE_1) | instskip(SKIP_2) | instid1(SALU_CYCLE_1)
	s_add_u32 s22, s8, s0
	s_mov_b32 s1, s0
	s_addc_u32 s23, s9, s0
	s_xor_b64 s[0:1], s[22:23], s[0:1]
	s_delay_alu instid0(SALU_CYCLE_1) | instskip(SKIP_3) | instid1(VALU_DEP_1)
	v_cvt_f32_u32_e32 v3, s0
	v_cvt_f32_u32_e32 v4, s1
	s_sub_u32 s22, 0, s0
	s_subb_u32 s23, 0, s1
	v_fmamk_f32 v3, v4, 0x4f800000, v3
	s_delay_alu instid0(VALU_DEP_1) | instskip(SKIP_2) | instid1(VALU_DEP_1)
	v_rcp_f32_e32 v3, v3
	s_waitcnt_depctr 0xfff
	v_mul_f32_e32 v3, 0x5f7ffffc, v3
	v_mul_f32_e32 v4, 0x2f800000, v3
	s_delay_alu instid0(VALU_DEP_1) | instskip(NEXT) | instid1(VALU_DEP_1)
	v_trunc_f32_e32 v4, v4
	v_fmamk_f32 v3, v4, 0xcf800000, v3
	v_cvt_u32_f32_e32 v4, v4
	s_delay_alu instid0(VALU_DEP_2) | instskip(NEXT) | instid1(VALU_DEP_2)
	v_cvt_u32_f32_e32 v3, v3
	v_readfirstlane_b32 s15, v4
	s_delay_alu instid0(VALU_DEP_2) | instskip(NEXT) | instid1(VALU_DEP_2)
	v_readfirstlane_b32 s21, v3
	s_mul_i32 s24, s22, s15
	s_delay_alu instid0(VALU_DEP_1)
	s_mul_hi_u32 s26, s22, s21
	s_mul_i32 s25, s23, s21
	s_add_i32 s24, s26, s24
	s_mul_i32 s27, s22, s21
	s_add_i32 s24, s24, s25
	s_mul_hi_u32 s26, s21, s27
	s_mul_hi_u32 s28, s15, s27
	s_mul_i32 s25, s15, s27
	s_mul_hi_u32 s27, s21, s24
	s_mul_i32 s21, s21, s24
	s_mul_hi_u32 s29, s15, s24
	s_add_u32 s21, s26, s21
	s_addc_u32 s26, 0, s27
	s_add_u32 s21, s21, s25
	s_mul_i32 s24, s15, s24
	s_addc_u32 s21, s26, s28
	s_addc_u32 s25, s29, 0
	s_add_u32 s21, s21, s24
	s_addc_u32 s24, 0, s25
	v_add_co_u32 v3, s21, v3, s21
	s_delay_alu instid0(VALU_DEP_1) | instskip(SKIP_1) | instid1(VALU_DEP_1)
	s_cmp_lg_u32 s21, 0
	s_addc_u32 s15, s15, s24
	v_readfirstlane_b32 s21, v3
	s_mul_i32 s24, s22, s15
	s_delay_alu instid0(VALU_DEP_1)
	s_mul_hi_u32 s25, s22, s21
	s_mul_i32 s23, s23, s21
	s_add_i32 s24, s25, s24
	s_mul_i32 s22, s22, s21
	s_add_i32 s24, s24, s23
	s_mul_hi_u32 s25, s15, s22
	s_mul_i32 s26, s15, s22
	s_mul_hi_u32 s22, s21, s22
	s_mul_hi_u32 s27, s21, s24
	s_mul_i32 s21, s21, s24
	s_mul_hi_u32 s23, s15, s24
	s_add_u32 s21, s22, s21
	s_addc_u32 s22, 0, s27
	s_add_u32 s21, s21, s26
	s_mul_i32 s24, s15, s24
	s_addc_u32 s21, s22, s25
	s_addc_u32 s22, s23, 0
	s_add_u32 s21, s21, s24
	s_addc_u32 s22, 0, s22
	v_add_co_u32 v3, s21, v3, s21
	s_delay_alu instid0(VALU_DEP_1) | instskip(SKIP_2) | instid1(VALU_DEP_1)
	s_cmp_lg_u32 s21, 0
	s_addc_u32 s15, s15, s22
	s_ashr_i32 s22, s13, 31
	v_readfirstlane_b32 s21, v3
	s_add_u32 s24, s12, s22
	s_mov_b32 s23, s22
	s_addc_u32 s25, s13, s22
	s_delay_alu instid0(SALU_CYCLE_1) | instskip(NEXT) | instid1(SALU_CYCLE_1)
	s_xor_b64 s[24:25], s[24:25], s[22:23]
	s_mul_i32 s26, s24, s15
	s_mul_hi_u32 s27, s24, s21
	s_mul_hi_u32 s23, s24, s15
	s_mul_hi_u32 s29, s25, s21
	s_mul_i32 s21, s25, s21
	s_add_u32 s26, s27, s26
	s_addc_u32 s23, 0, s23
	s_mul_hi_u32 s28, s25, s15
	s_add_u32 s21, s26, s21
	s_mul_i32 s15, s25, s15
	s_addc_u32 s21, s23, s29
	s_addc_u32 s23, s28, 0
	s_add_u32 s15, s21, s15
	s_addc_u32 s21, 0, s23
	s_mul_hi_u32 s23, s0, s15
	s_mul_i32 s21, s0, s21
	s_mul_i32 s26, s1, s15
	s_mul_i32 s15, s0, s15
	s_add_i32 s21, s23, s21
	v_sub_co_u32 v3, s15, s24, s15
	s_add_i32 s21, s21, s26
	s_delay_alu instid0(SALU_CYCLE_1) | instskip(SKIP_1) | instid1(VALU_DEP_1)
	s_sub_i32 s23, s25, s21
	s_cmp_lg_u32 s15, 0
	v_sub_co_u32 v4, s24, v3, s0
	s_subb_u32 s23, s23, s1
	s_cmp_lg_u32 s24, 0
	s_subb_u32 s26, s23, 0
	s_delay_alu instid0(VALU_DEP_1)
	v_cmp_le_u32_e32 vcc_lo, s0, v4
	s_cmp_ge_u32 s26, s1
	s_cselect_b32 s27, -1, 0
	s_cmp_eq_u32 s26, s1
	v_cndmask_b32_e64 v6, 0, -1, vcc_lo
	s_cselect_b32 vcc_lo, -1, 0
	s_cmp_lg_u32 s24, 0
	v_sub_co_u32 v7, s24, v4, s0
	s_subb_u32 s23, s23, s1
	s_cmp_lg_u32 s24, 0
	v_cndmask_b32_e32 v6, s27, v6, vcc_lo
	s_subb_u32 s23, s23, 0
	s_cmp_lg_u32 s15, 0
	v_cmp_le_u32_e32 vcc_lo, s0, v3
	s_subb_u32 s15, s25, s21
	s_delay_alu instid0(SALU_CYCLE_1)
	s_cmp_ge_u32 s15, s1
	v_cndmask_b32_e64 v8, 0, -1, vcc_lo
	s_cselect_b32 s21, -1, 0
	s_cmp_eq_u32 s15, s1
	v_cmp_ne_u32_e32 vcc_lo, 0, v6
	v_mov_b32_e32 v6, s23
	s_cselect_b32 s0, -1, 0
	s_delay_alu instid0(SALU_CYCLE_1) | instskip(SKIP_1) | instid1(VALU_DEP_3)
	v_cndmask_b32_e64 v8, s21, v8, s0
	v_cndmask_b32_e32 v4, v4, v7, vcc_lo
	v_cndmask_b32_e32 v6, s26, v6, vcc_lo
	s_delay_alu instid0(VALU_DEP_3) | instskip(NEXT) | instid1(VALU_DEP_3)
	v_cmp_ne_u32_e32 vcc_lo, 0, v8
	v_cndmask_b32_e32 v3, v3, v4, vcc_lo
	s_delay_alu instid0(VALU_DEP_3) | instskip(NEXT) | instid1(VALU_DEP_2)
	v_cndmask_b32_e32 v6, s15, v6, vcc_lo
	v_xor_b32_e32 v3, s22, v3
	s_delay_alu instid0(VALU_DEP_2) | instskip(NEXT) | instid1(VALU_DEP_2)
	v_xor_b32_e32 v4, s22, v6
	v_sub_co_u32 v3, vcc_lo, v3, s22
	s_delay_alu instid0(VALU_DEP_2)
	v_subrev_co_ci_u32_e32 v4, vcc_lo, s22, v4, vcc_lo
	s_and_not1_b32 vcc_lo, exec_lo, s20
	s_cbranch_vccnz .LBB79_52
.LBB79_51:
	v_cvt_f32_u32_e32 v3, s8
	s_sub_i32 s0, 0, s8
	s_delay_alu instid0(VALU_DEP_1) | instskip(SKIP_2) | instid1(VALU_DEP_1)
	v_rcp_iflag_f32_e32 v3, v3
	s_waitcnt_depctr 0xfff
	v_mul_f32_e32 v3, 0x4f7ffffe, v3
	v_cvt_u32_f32_e32 v3, v3
	s_delay_alu instid0(VALU_DEP_1) | instskip(NEXT) | instid1(VALU_DEP_1)
	v_mul_lo_u32 v4, s0, v3
	v_mul_hi_u32 v4, v3, v4
	s_delay_alu instid0(VALU_DEP_1) | instskip(NEXT) | instid1(VALU_DEP_1)
	v_add_nc_u32_e32 v3, v3, v4
	v_mul_hi_u32 v3, s12, v3
	s_delay_alu instid0(VALU_DEP_1) | instskip(NEXT) | instid1(VALU_DEP_1)
	v_mul_lo_u32 v3, v3, s8
	v_sub_nc_u32_e32 v3, s12, v3
	s_delay_alu instid0(VALU_DEP_1) | instskip(SKIP_1) | instid1(VALU_DEP_2)
	v_subrev_nc_u32_e32 v4, s8, v3
	v_cmp_le_u32_e32 vcc_lo, s8, v3
	v_cndmask_b32_e32 v3, v3, v4, vcc_lo
	s_delay_alu instid0(VALU_DEP_1) | instskip(SKIP_1) | instid1(VALU_DEP_2)
	v_subrev_nc_u32_e32 v4, s8, v3
	v_cmp_le_u32_e32 vcc_lo, s8, v3
	v_dual_cndmask_b32 v3, v3, v4 :: v_dual_mov_b32 v4, 0
.LBB79_52:
	v_div_scale_f32 v6, null, 0x43600000, 0x43600000, v5
	v_div_scale_f32 v9, vcc_lo, v5, 0x43600000, v5
	s_delay_alu instid0(VALU_DEP_3) | instskip(NEXT) | instid1(VALU_DEP_3)
	v_sub_co_u32 v10, s0, s12, v3
	v_rcp_f32_e32 v7, v6
	v_sub_co_ci_u32_e64 v3, s0, s13, v4, s0
	s_lshl_b64 s[0:1], s[16:17], 2
	s_delay_alu instid0(SALU_CYCLE_1) | instskip(NEXT) | instid1(VALU_DEP_1)
	s_add_u32 s0, s0, s6
	v_mul_lo_u32 v11, v3, v1
	s_addc_u32 s1, s1, s7
	s_waitcnt_depctr 0xfff
	v_fma_f32 v8, -v6, v7, 1.0
	s_delay_alu instid0(VALU_DEP_1) | instskip(NEXT) | instid1(VALU_DEP_1)
	v_fmac_f32_e32 v7, v8, v7
	v_mul_f32_e32 v8, v9, v7
	s_delay_alu instid0(VALU_DEP_1) | instskip(NEXT) | instid1(VALU_DEP_1)
	v_fma_f32 v4, -v6, v8, v9
	v_fmac_f32_e32 v8, v4, v7
	v_mul_lo_u32 v4, v10, v2
	v_mad_u64_u32 v[2:3], null, v10, v1, 0
	s_delay_alu instid0(VALU_DEP_3) | instskip(NEXT) | instid1(VALU_DEP_2)
	v_fma_f32 v1, -v6, v8, v9
	v_add3_u32 v3, v3, v4, v11
	s_delay_alu instid0(VALU_DEP_2) | instskip(NEXT) | instid1(VALU_DEP_1)
	v_div_fmas_f32 v1, v1, v7, v8
	v_div_fixup_f32 v4, v1, 0x43600000, v5
	s_delay_alu instid0(VALU_DEP_3) | instskip(NEXT) | instid1(VALU_DEP_2)
	v_lshlrev_b64 v[1:2], 2, v[2:3]
	v_max_f32_e32 v3, 0x37124925, v4
	s_delay_alu instid0(VALU_DEP_2) | instskip(NEXT) | instid1(VALU_DEP_3)
	v_add_co_u32 v1, vcc_lo, s0, v1
	v_add_co_ci_u32_e32 v2, vcc_lo, s1, v2, vcc_lo
	global_store_b32 v[1:2], v3, off
.LBB79_53:
	s_or_b32 exec_lo, exec_lo, s3
	s_waitcnt_vscnt null, 0x0
	s_barrier
	buffer_gl0_inv
	s_and_saveexec_b32 s0, s2
	s_cbranch_execz .LBB79_193
; %bb.54:
	s_add_u32 s0, s8, s36
	s_addc_u32 s1, s9, 0
	s_add_u32 s2, s0, -1
	s_addc_u32 s3, s1, -1
	s_delay_alu instid0(SALU_CYCLE_1) | instskip(SKIP_1) | instid1(SALU_CYCLE_1)
	s_or_b64 s[12:13], s[2:3], s[8:9]
	s_mov_b32 s12, 0
	s_cmp_lg_u64 s[12:13], 0
	s_cbranch_scc0 .LBB79_195
; %bb.55:
	s_ashr_i32 s0, s9, 31
	s_delay_alu instid0(SALU_CYCLE_1) | instskip(SKIP_2) | instid1(SALU_CYCLE_1)
	s_add_u32 s20, s8, s0
	s_mov_b32 s1, s0
	s_addc_u32 s21, s9, s0
	s_xor_b64 s[0:1], s[20:21], s[0:1]
	s_delay_alu instid0(SALU_CYCLE_1) | instskip(SKIP_3) | instid1(VALU_DEP_1)
	v_cvt_f32_u32_e32 v1, s0
	v_cvt_f32_u32_e32 v2, s1
	s_sub_u32 s15, 0, s0
	s_subb_u32 s20, 0, s1
	v_fmamk_f32 v1, v2, 0x4f800000, v1
	s_delay_alu instid0(VALU_DEP_1) | instskip(SKIP_2) | instid1(VALU_DEP_1)
	v_rcp_f32_e32 v1, v1
	s_waitcnt_depctr 0xfff
	v_mul_f32_e32 v1, 0x5f7ffffc, v1
	v_mul_f32_e32 v2, 0x2f800000, v1
	s_delay_alu instid0(VALU_DEP_1) | instskip(NEXT) | instid1(VALU_DEP_1)
	v_trunc_f32_e32 v2, v2
	v_fmamk_f32 v1, v2, 0xcf800000, v1
	v_cvt_u32_f32_e32 v2, v2
	s_delay_alu instid0(VALU_DEP_2) | instskip(NEXT) | instid1(VALU_DEP_2)
	v_cvt_u32_f32_e32 v1, v1
	v_readfirstlane_b32 s9, v2
	s_delay_alu instid0(VALU_DEP_2) | instskip(NEXT) | instid1(VALU_DEP_2)
	v_readfirstlane_b32 s13, v1
	s_mul_i32 s21, s15, s9
	s_delay_alu instid0(VALU_DEP_1)
	s_mul_hi_u32 s23, s15, s13
	s_mul_i32 s22, s20, s13
	s_add_i32 s21, s23, s21
	s_mul_i32 s24, s15, s13
	s_add_i32 s21, s21, s22
	s_mul_hi_u32 s23, s13, s24
	s_mul_hi_u32 s25, s9, s24
	s_mul_i32 s22, s9, s24
	s_mul_hi_u32 s24, s13, s21
	s_mul_i32 s13, s13, s21
	s_mul_hi_u32 s26, s9, s21
	s_add_u32 s13, s23, s13
	s_addc_u32 s23, 0, s24
	s_add_u32 s13, s13, s22
	s_mul_i32 s21, s9, s21
	s_addc_u32 s13, s23, s25
	s_addc_u32 s22, s26, 0
	s_add_u32 s13, s13, s21
	s_addc_u32 s21, 0, s22
	v_add_co_u32 v1, s13, v1, s13
	s_delay_alu instid0(VALU_DEP_1) | instskip(SKIP_1) | instid1(VALU_DEP_1)
	s_cmp_lg_u32 s13, 0
	s_addc_u32 s9, s9, s21
	v_readfirstlane_b32 s13, v1
	s_mul_i32 s21, s15, s9
	s_delay_alu instid0(VALU_DEP_1)
	s_mul_hi_u32 s22, s15, s13
	s_mul_i32 s20, s20, s13
	s_add_i32 s21, s22, s21
	s_mul_i32 s15, s15, s13
	s_add_i32 s21, s21, s20
	s_mul_hi_u32 s22, s9, s15
	s_mul_i32 s23, s9, s15
	s_mul_hi_u32 s15, s13, s15
	s_mul_hi_u32 s24, s13, s21
	s_mul_i32 s13, s13, s21
	s_mul_hi_u32 s20, s9, s21
	s_add_u32 s13, s15, s13
	s_addc_u32 s15, 0, s24
	s_add_u32 s13, s13, s23
	s_mul_i32 s21, s9, s21
	s_addc_u32 s13, s15, s22
	s_addc_u32 s15, s20, 0
	s_add_u32 s13, s13, s21
	s_addc_u32 s15, 0, s15
	v_add_co_u32 v1, s13, v1, s13
	s_delay_alu instid0(VALU_DEP_1) | instskip(SKIP_2) | instid1(VALU_DEP_1)
	s_cmp_lg_u32 s13, 0
	s_addc_u32 s9, s9, s15
	s_ashr_i32 s20, s3, 31
	v_readfirstlane_b32 s13, v1
	s_add_u32 s22, s2, s20
	s_mov_b32 s21, s20
	s_addc_u32 s23, s3, s20
	s_delay_alu instid0(SALU_CYCLE_1) | instskip(NEXT) | instid1(SALU_CYCLE_1)
	s_xor_b64 s[22:23], s[22:23], s[20:21]
	s_mul_i32 s21, s22, s9
	s_mul_hi_u32 s24, s22, s13
	s_mul_hi_u32 s15, s22, s9
	s_mul_hi_u32 s26, s23, s13
	s_mul_i32 s13, s23, s13
	s_add_u32 s21, s24, s21
	s_addc_u32 s15, 0, s15
	s_mul_hi_u32 s25, s23, s9
	s_add_u32 s13, s21, s13
	s_mul_i32 s9, s23, s9
	s_addc_u32 s13, s15, s26
	s_addc_u32 s15, s25, 0
	s_add_u32 s9, s13, s9
	s_addc_u32 s13, 0, s15
	s_mul_hi_u32 s15, s0, s9
	s_mul_i32 s13, s0, s13
	s_mul_i32 s21, s1, s9
	;; [unrolled: 1-line block ×3, first 2 shown]
	s_add_i32 s13, s15, s13
	v_sub_co_u32 v1, s9, s22, s9
	s_add_i32 s13, s13, s21
	s_delay_alu instid0(SALU_CYCLE_1) | instskip(SKIP_1) | instid1(VALU_DEP_1)
	s_sub_i32 s15, s23, s13
	s_cmp_lg_u32 s9, 0
	v_sub_co_u32 v2, s21, v1, s0
	s_subb_u32 s15, s15, s1
	s_cmp_lg_u32 s21, 0
	s_subb_u32 s22, s15, 0
	s_delay_alu instid0(VALU_DEP_1)
	v_cmp_le_u32_e32 vcc_lo, s0, v2
	s_cmp_ge_u32 s22, s1
	s_cselect_b32 s24, -1, 0
	s_cmp_eq_u32 s22, s1
	v_cndmask_b32_e64 v3, 0, -1, vcc_lo
	s_cselect_b32 vcc_lo, -1, 0
	s_cmp_lg_u32 s21, 0
	v_sub_co_u32 v4, s21, v2, s0
	s_subb_u32 s15, s15, s1
	s_cmp_lg_u32 s21, 0
	v_cndmask_b32_e32 v3, s24, v3, vcc_lo
	s_subb_u32 s15, s15, 0
	s_cmp_lg_u32 s9, 0
	v_cmp_le_u32_e32 vcc_lo, s0, v1
	s_subb_u32 s9, s23, s13
	s_delay_alu instid0(SALU_CYCLE_1)
	s_cmp_ge_u32 s9, s1
	v_cndmask_b32_e64 v5, 0, -1, vcc_lo
	s_cselect_b32 s13, -1, 0
	s_cmp_eq_u32 s9, s1
	v_cmp_ne_u32_e32 vcc_lo, 0, v3
	v_mov_b32_e32 v3, s15
	s_cselect_b32 s0, -1, 0
	s_delay_alu instid0(SALU_CYCLE_1) | instskip(SKIP_1) | instid1(VALU_DEP_3)
	v_cndmask_b32_e64 v5, s13, v5, s0
	v_cndmask_b32_e32 v2, v2, v4, vcc_lo
	v_cndmask_b32_e32 v3, s22, v3, vcc_lo
	s_delay_alu instid0(VALU_DEP_3) | instskip(NEXT) | instid1(VALU_DEP_3)
	v_cmp_ne_u32_e32 vcc_lo, 0, v5
	v_cndmask_b32_e32 v1, v1, v2, vcc_lo
	s_delay_alu instid0(VALU_DEP_3) | instskip(NEXT) | instid1(VALU_DEP_2)
	v_cndmask_b32_e32 v3, s9, v3, vcc_lo
	v_xor_b32_e32 v1, s20, v1
	s_delay_alu instid0(VALU_DEP_2) | instskip(NEXT) | instid1(VALU_DEP_2)
	v_xor_b32_e32 v2, s20, v3
	v_sub_co_u32 v1, vcc_lo, v1, s20
	s_delay_alu instid0(VALU_DEP_2)
	v_subrev_co_ci_u32_e32 v2, vcc_lo, s20, v2, vcc_lo
	s_and_not1_b32 vcc_lo, exec_lo, s12
	s_cbranch_vccnz .LBB79_57
.LBB79_56:
	v_cvt_f32_u32_e32 v1, s8
	s_sub_i32 s0, 0, s8
	s_delay_alu instid0(VALU_DEP_1) | instskip(SKIP_2) | instid1(VALU_DEP_1)
	v_rcp_iflag_f32_e32 v1, v1
	s_waitcnt_depctr 0xfff
	v_mul_f32_e32 v1, 0x4f7ffffe, v1
	v_cvt_u32_f32_e32 v1, v1
	s_delay_alu instid0(VALU_DEP_1) | instskip(NEXT) | instid1(VALU_DEP_1)
	v_mul_lo_u32 v2, s0, v1
	v_mul_hi_u32 v2, v1, v2
	s_delay_alu instid0(VALU_DEP_1) | instskip(NEXT) | instid1(VALU_DEP_1)
	v_add_nc_u32_e32 v1, v1, v2
	v_mul_hi_u32 v1, s2, v1
	s_delay_alu instid0(VALU_DEP_1) | instskip(NEXT) | instid1(VALU_DEP_1)
	v_mul_lo_u32 v1, v1, s8
	v_sub_nc_u32_e32 v1, s2, v1
	s_delay_alu instid0(VALU_DEP_1) | instskip(SKIP_1) | instid1(VALU_DEP_2)
	v_subrev_nc_u32_e32 v2, s8, v1
	v_cmp_le_u32_e32 vcc_lo, s8, v1
	v_cndmask_b32_e32 v1, v1, v2, vcc_lo
	s_delay_alu instid0(VALU_DEP_1) | instskip(SKIP_1) | instid1(VALU_DEP_2)
	v_subrev_nc_u32_e32 v2, s8, v1
	v_cmp_le_u32_e32 vcc_lo, s8, v1
	v_dual_cndmask_b32 v1, v1, v2 :: v_dual_mov_b32 v2, 0
.LBB79_57:
	s_delay_alu instid0(VALU_DEP_1)
	v_sub_co_u32 v7, vcc_lo, s2, v1
	s_add_u32 s0, s4, s18
	s_addc_u32 s1, s5, s19
	s_lshl_b64 s[4:5], s[16:17], 2
	v_sub_co_ci_u32_e32 v8, vcc_lo, s3, v2, vcc_lo
	v_mov_b32_e32 v1, 0
	s_add_u32 s4, s6, s4
	s_addc_u32 s5, s7, s5
	s_mul_i32 s2, s35, 3
	s_lshl_b32 s3, s35, 1
	s_mov_b32 s6, 0
	s_mov_b32 s7, 0x43600000
	s_branch .LBB79_63
.LBB79_58:                              ;   in Loop: Header=BB79_63 Depth=1
	s_or_b32 exec_lo, exec_lo, s16
.LBB79_59:                              ;   in Loop: Header=BB79_63 Depth=1
	s_delay_alu instid0(SALU_CYCLE_1)
	s_or_b32 exec_lo, exec_lo, s13
	v_lshlrev_b64 v[4:5], 2, v[0:1]
	v_lshlrev_b32_e32 v10, 16, v11
	v_lshlrev_b32_e32 v9, 8, v9
	s_add_i32 s13, s35, s35
	v_and_b32_e32 v6, 0xff, v6
	v_add3_u32 v0, s13, s35, v2
	v_perm_b32 v10, v3, v10, 0x4020c0c
	v_and_b32_e32 v9, 0xff00, v9
	v_add_co_u32 v2, vcc_lo, s0, v4
	v_add_co_ci_u32_e32 v3, vcc_lo, s1, v5, vcc_lo
	v_cmp_le_u32_e32 vcc_lo, s14, v0
	s_delay_alu instid0(VALU_DEP_4)
	v_or3_b32 v4, v10, v9, v6
	s_or_not1_b32 s13, vcc_lo, exec_lo
	global_store_b32 v[2:3], v4, off
.LBB79_60:                              ;   in Loop: Header=BB79_63 Depth=1
	s_or_b32 exec_lo, exec_lo, s12
	s_delay_alu instid0(SALU_CYCLE_1)
	s_or_not1_b32 s12, s13, exec_lo
.LBB79_61:                              ;   in Loop: Header=BB79_63 Depth=1
	s_or_b32 exec_lo, exec_lo, s9
	s_delay_alu instid0(SALU_CYCLE_1)
	s_or_not1_b32 s9, s12, exec_lo
.LBB79_62:                              ;   in Loop: Header=BB79_63 Depth=1
	s_or_b32 exec_lo, exec_lo, s8
	s_delay_alu instid0(SALU_CYCLE_1) | instskip(NEXT) | instid1(SALU_CYCLE_1)
	s_and_b32 s8, exec_lo, s9
	s_or_b32 s6, s8, s6
	s_delay_alu instid0(SALU_CYCLE_1)
	s_and_not1_b32 exec_lo, exec_lo, s6
	s_cbranch_execz .LBB79_193
.LBB79_63:                              ; =>This Inner Loop Header: Depth=1
	v_lshlrev_b64 v[2:3], 3, v[0:1]
	v_bfe_u32 v16, v0, 4, 26
	s_mov_b32 s8, exec_lo
	s_delay_alu instid0(VALU_DEP_1) | instskip(NEXT) | instid1(VALU_DEP_3)
	v_mad_u64_u32 v[11:12], null, v7, v16, 0
	v_add_co_u32 v4, vcc_lo, s30, v2
	s_delay_alu instid0(VALU_DEP_4)
	v_add_co_ci_u32_e32 v5, vcc_lo, s31, v3, vcc_lo
	v_add_co_u32 v14, vcc_lo, s33, v2
	v_add_co_ci_u32_e32 v15, vcc_lo, s34, v3, vcc_lo
	global_load_b64 v[5:6], v[4:5], off
	global_load_b64 v[9:10], v[14:15], off
	v_add_co_u32 v2, vcc_lo, s10, v2
	v_add_co_ci_u32_e32 v3, vcc_lo, s11, v3, vcc_lo
	v_mov_b32_e32 v4, v12
	global_load_b64 v[2:3], v[2:3], off
	s_waitcnt vmcnt(2)
	v_mad_u64_u32 v[12:13], null, v8, v16, v[4:5]
	v_and_b32_e32 v18, 0xffff0000, v5
	s_delay_alu instid0(VALU_DEP_2) | instskip(SKIP_2) | instid1(VALU_DEP_2)
	v_lshlrev_b64 v[11:12], 2, v[11:12]
	s_waitcnt vmcnt(0)
	v_lshlrev_b32_e32 v16, 16, v2
	v_add_co_u32 v11, vcc_lo, s4, v11
	s_delay_alu instid0(VALU_DEP_3)
	v_add_co_ci_u32_e32 v12, vcc_lo, s5, v12, vcc_lo
	global_load_b32 v4, v[11:12], off
	v_lshlrev_b32_e32 v11, 16, v5
	v_lshlrev_b32_e32 v12, 16, v9
	v_alignbit_b32 v5, v6, v5, 16
	v_and_b32_e32 v6, 0xffff0000, v6
	s_delay_alu instid0(VALU_DEP_2) | instskip(NEXT) | instid1(VALU_DEP_1)
	v_dual_add_f32 v12, v11, v12 :: v_dual_and_b32 v5, 0xffff0000, v5
	v_mul_f32_e32 v11, v28, v12
	s_delay_alu instid0(VALU_DEP_1) | instskip(SKIP_1) | instid1(VALU_DEP_2)
	v_bfe_u32 v13, v11, 16, 1
	v_cmp_o_f32_e32 vcc_lo, v11, v11
	v_add3_u32 v13, v11, v13, 0x7fff
	s_delay_alu instid0(VALU_DEP_1) | instskip(NEXT) | instid1(VALU_DEP_1)
	v_and_b32_e32 v13, 0xffff0000, v13
	v_cndmask_b32_e32 v11, 0x7fc00000, v13, vcc_lo
	s_delay_alu instid0(VALU_DEP_1) | instskip(NEXT) | instid1(VALU_DEP_1)
	v_mul_f32_e32 v11, v11, v16
	v_bfe_u32 v13, v11, 16, 1
	v_cmp_o_f32_e32 vcc_lo, v11, v11
	s_delay_alu instid0(VALU_DEP_2) | instskip(NEXT) | instid1(VALU_DEP_1)
	v_add3_u32 v13, v11, v13, 0x7fff
	v_and_b32_e32 v13, 0xffff0000, v13
	s_delay_alu instid0(VALU_DEP_1) | instskip(SKIP_1) | instid1(VALU_DEP_1)
	v_cndmask_b32_e32 v13, 0x7fc00000, v13, vcc_lo
	s_waitcnt vmcnt(0)
	v_div_scale_f32 v16, null, v4, v4, v13
	v_div_scale_f32 v19, vcc_lo, v13, v4, v13
	s_delay_alu instid0(VALU_DEP_2) | instskip(SKIP_2) | instid1(VALU_DEP_1)
	v_rcp_f32_e32 v17, v16
	s_waitcnt_depctr 0xfff
	v_fma_f32 v11, -v16, v17, 1.0
	v_fmac_f32_e32 v17, v11, v17
	v_alignbit_b32 v11, v10, v9, 16
	v_and_b32_e32 v9, 0xffff0000, v9
	v_and_b32_e32 v10, 0xffff0000, v10
	s_delay_alu instid0(VALU_DEP_3) | instskip(NEXT) | instid1(VALU_DEP_3)
	v_dual_mul_f32 v20, v19, v17 :: v_dual_and_b32 v21, 0xffff0000, v11
	v_add_f32_e32 v11, v18, v9
	s_delay_alu instid0(VALU_DEP_3) | instskip(NEXT) | instid1(VALU_DEP_3)
	v_add_f32_e32 v9, v6, v10
	v_fma_f32 v18, -v16, v20, v19
	s_delay_alu instid0(VALU_DEP_4) | instskip(NEXT) | instid1(VALU_DEP_4)
	v_add_f32_e32 v10, v5, v21
	v_bfe_u32 v6, v11, 16, 1
	v_bfe_u32 v5, v12, 16, 1
	s_delay_alu instid0(VALU_DEP_4) | instskip(SKIP_1) | instid1(VALU_DEP_4)
	v_fmac_f32_e32 v20, v18, v17
	v_bfe_u32 v18, v9, 16, 1
	v_add3_u32 v6, v11, v6, 0x7fff
	s_delay_alu instid0(VALU_DEP_4)
	v_add3_u32 v5, v12, v5, 0x7fff
	v_bfe_u32 v21, v10, 16, 1
	v_fma_f32 v16, -v16, v20, v19
	v_add3_u32 v18, v9, v18, 0x7fff
	v_and_b32_e32 v6, 0xffff0000, v6
	v_lshrrev_b32_e32 v5, 16, v5
	v_add3_u32 v19, v10, v21, 0x7fff
	v_div_fmas_f32 v16, v16, v17, v20
	v_and_b32_e32 v17, 0xffff0000, v18
	v_cmp_o_f32_e32 vcc_lo, v11, v11
	s_delay_alu instid0(VALU_DEP_4) | instskip(NEXT) | instid1(VALU_DEP_4)
	v_lshrrev_b32_e32 v18, 16, v19
	v_div_fixup_f32 v13, v16, v4, v13
	v_cndmask_b32_e32 v6, 0x7fc00000, v6, vcc_lo
	v_cmp_o_f32_e32 vcc_lo, v12, v12
	s_delay_alu instid0(VALU_DEP_3) | instskip(SKIP_2) | instid1(VALU_DEP_3)
	v_minmax_f32 v12, v13, s7, 0xc3600000
	v_cndmask_b32_e32 v5, 0x7fc0, v5, vcc_lo
	v_cmp_o_f32_e32 vcc_lo, v9, v9
	v_and_b32_e32 v13, 0x7fffffff, v12
	s_delay_alu instid0(VALU_DEP_3) | instskip(SKIP_4) | instid1(VALU_DEP_1)
	v_or_b32_e32 v6, v5, v6
	v_cndmask_b32_e32 v16, 0x7fc00000, v17, vcc_lo
	v_cmp_o_f32_e32 vcc_lo, v10, v10
	v_mov_b32_e32 v5, 0x80
	v_cndmask_b32_e32 v17, 0x7fc0, v18, vcc_lo
	v_or3_b32 v17, 0, v17, v16
	v_or3_b32 v16, v6, 0, 0
	v_mov_b32_e32 v6, 0x80
	global_store_b64 v[14:15], v[16:17], off
	v_cmpx_gt_u32_e32 0x43800000, v13
	s_cbranch_execz .LBB79_69
; %bb.64:                               ;   in Loop: Header=BB79_63 Depth=1
	v_cmp_lt_u32_e32 vcc_lo, 0x3bffffff, v13
	s_mov_b32 s9, 0
                                        ; implicit-def: $vgpr13
	s_and_saveexec_b32 s12, vcc_lo
	s_delay_alu instid0(SALU_CYCLE_1)
	s_xor_b32 s12, exec_lo, s12
	s_cbranch_execnz .LBB79_160
; %bb.65:                               ;   in Loop: Header=BB79_63 Depth=1
	s_or_saveexec_b32 s12, s12
                                        ; implicit-def: $sgpr13
	s_delay_alu instid0(SALU_CYCLE_1)
	s_xor_b32 exec_lo, exec_lo, s12
	s_cbranch_execnz .LBB79_161
.LBB79_66:                              ;   in Loop: Header=BB79_63 Depth=1
	s_or_b32 exec_lo, exec_lo, s12
	v_mov_b32_e32 v6, s13
	s_and_saveexec_b32 s12, s9
.LBB79_67:                              ;   in Loop: Header=BB79_63 Depth=1
	v_lshrrev_b32_e32 v6, 24, v12
	s_delay_alu instid0(VALU_DEP_1)
	v_and_or_b32 v6, 0x80, v6, v13
.LBB79_68:                              ;   in Loop: Header=BB79_63 Depth=1
	s_or_b32 exec_lo, exec_lo, s12
.LBB79_69:                              ;   in Loop: Header=BB79_63 Depth=1
	s_delay_alu instid0(SALU_CYCLE_1) | instskip(SKIP_3) | instid1(VALU_DEP_2)
	s_or_b32 exec_lo, exec_lo, s8
	v_mul_f32_e32 v11, v28, v11
	v_and_b32_e32 v13, 0xffff0000, v2
	s_mov_b32 s8, exec_lo
	v_bfe_u32 v12, v11, 16, 1
	s_delay_alu instid0(VALU_DEP_1) | instskip(NEXT) | instid1(VALU_DEP_1)
	v_add3_u32 v12, v11, v12, 0x7fff
	v_and_b32_e32 v12, 0xffff0000, v12
	v_cmp_o_f32_e32 vcc_lo, v11, v11
	s_delay_alu instid0(VALU_DEP_2) | instskip(NEXT) | instid1(VALU_DEP_1)
	v_cndmask_b32_e32 v11, 0x7fc00000, v12, vcc_lo
	v_mul_f32_e32 v11, v11, v13
	s_delay_alu instid0(VALU_DEP_1) | instskip(NEXT) | instid1(VALU_DEP_1)
	v_bfe_u32 v12, v11, 16, 1
	v_add3_u32 v12, v11, v12, 0x7fff
	s_delay_alu instid0(VALU_DEP_1) | instskip(SKIP_1) | instid1(VALU_DEP_2)
	v_and_b32_e32 v12, 0xffff0000, v12
	v_cmp_o_f32_e32 vcc_lo, v11, v11
	v_cndmask_b32_e32 v11, 0x7fc00000, v12, vcc_lo
	s_delay_alu instid0(VALU_DEP_1) | instskip(NEXT) | instid1(VALU_DEP_1)
	v_div_scale_f32 v12, null, v4, v4, v11
	v_rcp_f32_e32 v13, v12
	s_waitcnt_depctr 0xfff
	v_fma_f32 v14, -v12, v13, 1.0
	s_delay_alu instid0(VALU_DEP_1) | instskip(SKIP_1) | instid1(VALU_DEP_1)
	v_fmac_f32_e32 v13, v14, v13
	v_div_scale_f32 v14, vcc_lo, v11, v4, v11
	v_mul_f32_e32 v15, v14, v13
	s_delay_alu instid0(VALU_DEP_1) | instskip(NEXT) | instid1(VALU_DEP_1)
	v_fma_f32 v16, -v12, v15, v14
	v_fmac_f32_e32 v15, v16, v13
	s_delay_alu instid0(VALU_DEP_1) | instskip(NEXT) | instid1(VALU_DEP_1)
	v_fma_f32 v12, -v12, v15, v14
	v_div_fmas_f32 v12, v12, v13, v15
	s_delay_alu instid0(VALU_DEP_1) | instskip(NEXT) | instid1(VALU_DEP_1)
	v_div_fixup_f32 v11, v12, v4, v11
	v_minmax_f32 v11, v11, s7, 0xc3600000
	s_delay_alu instid0(VALU_DEP_1) | instskip(NEXT) | instid1(VALU_DEP_1)
	v_and_b32_e32 v12, 0x7fffffff, v11
	v_cmpx_gt_u32_e32 0x43800000, v12
	s_cbranch_execz .LBB79_75
; %bb.70:                               ;   in Loop: Header=BB79_63 Depth=1
	v_cmp_lt_u32_e32 vcc_lo, 0x3bffffff, v12
	s_mov_b32 s9, 0
                                        ; implicit-def: $vgpr12
	s_and_saveexec_b32 s12, vcc_lo
	s_delay_alu instid0(SALU_CYCLE_1)
	s_xor_b32 s12, exec_lo, s12
	s_cbranch_execnz .LBB79_162
; %bb.71:                               ;   in Loop: Header=BB79_63 Depth=1
	s_or_saveexec_b32 s12, s12
                                        ; implicit-def: $sgpr13
	s_delay_alu instid0(SALU_CYCLE_1)
	s_xor_b32 exec_lo, exec_lo, s12
	s_cbranch_execnz .LBB79_163
.LBB79_72:                              ;   in Loop: Header=BB79_63 Depth=1
	s_or_b32 exec_lo, exec_lo, s12
	v_mov_b32_e32 v5, s13
	s_and_saveexec_b32 s12, s9
.LBB79_73:                              ;   in Loop: Header=BB79_63 Depth=1
	v_lshrrev_b32_e32 v5, 24, v11
	s_delay_alu instid0(VALU_DEP_1)
	v_and_or_b32 v5, 0x80, v5, v12
.LBB79_74:                              ;   in Loop: Header=BB79_63 Depth=1
	s_or_b32 exec_lo, exec_lo, s12
.LBB79_75:                              ;   in Loop: Header=BB79_63 Depth=1
	s_delay_alu instid0(SALU_CYCLE_1) | instskip(SKIP_3) | instid1(VALU_DEP_2)
	s_or_b32 exec_lo, exec_lo, s8
	v_mul_f32_e32 v10, v28, v10
	v_alignbit_b32 v2, v3, v2, 16
	s_mov_b32 s8, exec_lo
	v_bfe_u32 v11, v10, 16, 1
	s_delay_alu instid0(VALU_DEP_2) | instskip(NEXT) | instid1(VALU_DEP_2)
	v_and_b32_e32 v2, 0xffff0000, v2
	v_add3_u32 v11, v10, v11, 0x7fff
	s_delay_alu instid0(VALU_DEP_1) | instskip(SKIP_1) | instid1(VALU_DEP_2)
	v_and_b32_e32 v11, 0xffff0000, v11
	v_cmp_o_f32_e32 vcc_lo, v10, v10
	v_cndmask_b32_e32 v10, 0x7fc00000, v11, vcc_lo
	s_delay_alu instid0(VALU_DEP_1) | instskip(NEXT) | instid1(VALU_DEP_1)
	v_mul_f32_e32 v2, v10, v2
	v_bfe_u32 v10, v2, 16, 1
	v_cmp_o_f32_e32 vcc_lo, v2, v2
	s_delay_alu instid0(VALU_DEP_2) | instskip(NEXT) | instid1(VALU_DEP_1)
	v_add3_u32 v10, v2, v10, 0x7fff
	v_and_b32_e32 v10, 0xffff0000, v10
	s_delay_alu instid0(VALU_DEP_1) | instskip(NEXT) | instid1(VALU_DEP_1)
	v_cndmask_b32_e32 v2, 0x7fc00000, v10, vcc_lo
	v_div_scale_f32 v10, null, v4, v4, v2
	v_div_scale_f32 v13, vcc_lo, v2, v4, v2
	s_delay_alu instid0(VALU_DEP_2) | instskip(SKIP_2) | instid1(VALU_DEP_1)
	v_rcp_f32_e32 v11, v10
	s_waitcnt_depctr 0xfff
	v_fma_f32 v12, -v10, v11, 1.0
	v_fmac_f32_e32 v11, v12, v11
	s_delay_alu instid0(VALU_DEP_1) | instskip(NEXT) | instid1(VALU_DEP_1)
	v_mul_f32_e32 v12, v13, v11
	v_fma_f32 v14, -v10, v12, v13
	s_delay_alu instid0(VALU_DEP_1) | instskip(NEXT) | instid1(VALU_DEP_1)
	v_fmac_f32_e32 v12, v14, v11
	v_fma_f32 v10, -v10, v12, v13
	s_delay_alu instid0(VALU_DEP_1) | instskip(NEXT) | instid1(VALU_DEP_1)
	v_div_fmas_f32 v10, v10, v11, v12
	v_div_fixup_f32 v2, v10, v4, v2
	v_mov_b32_e32 v10, 0x80
	s_delay_alu instid0(VALU_DEP_2) | instskip(SKIP_1) | instid1(VALU_DEP_2)
	v_minmax_f32 v11, v2, s7, 0xc3600000
	v_mov_b32_e32 v2, 0x80
	v_and_b32_e32 v12, 0x7fffffff, v11
	s_delay_alu instid0(VALU_DEP_1)
	v_cmpx_gt_u32_e32 0x43800000, v12
	s_cbranch_execz .LBB79_81
; %bb.76:                               ;   in Loop: Header=BB79_63 Depth=1
	v_cmp_lt_u32_e32 vcc_lo, 0x3bffffff, v12
	s_mov_b32 s9, 0
                                        ; implicit-def: $vgpr12
	s_and_saveexec_b32 s12, vcc_lo
	s_delay_alu instid0(SALU_CYCLE_1)
	s_xor_b32 s12, exec_lo, s12
	s_cbranch_execnz .LBB79_164
; %bb.77:                               ;   in Loop: Header=BB79_63 Depth=1
	s_or_saveexec_b32 s12, s12
                                        ; implicit-def: $sgpr13
	s_delay_alu instid0(SALU_CYCLE_1)
	s_xor_b32 exec_lo, exec_lo, s12
	s_cbranch_execnz .LBB79_165
.LBB79_78:                              ;   in Loop: Header=BB79_63 Depth=1
	s_or_b32 exec_lo, exec_lo, s12
	v_mov_b32_e32 v10, s13
	s_and_saveexec_b32 s12, s9
.LBB79_79:                              ;   in Loop: Header=BB79_63 Depth=1
	v_lshrrev_b32_e32 v10, 24, v11
	s_delay_alu instid0(VALU_DEP_1)
	v_and_or_b32 v10, 0x80, v10, v12
.LBB79_80:                              ;   in Loop: Header=BB79_63 Depth=1
	s_or_b32 exec_lo, exec_lo, s12
.LBB79_81:                              ;   in Loop: Header=BB79_63 Depth=1
	s_delay_alu instid0(SALU_CYCLE_1) | instskip(SKIP_3) | instid1(VALU_DEP_2)
	s_or_b32 exec_lo, exec_lo, s8
	v_mul_f32_e32 v9, v28, v9
	v_and_b32_e32 v3, 0xffff0000, v3
	s_mov_b32 s8, exec_lo
	v_bfe_u32 v11, v9, 16, 1
	v_cmp_o_f32_e32 vcc_lo, v9, v9
	s_delay_alu instid0(VALU_DEP_2) | instskip(NEXT) | instid1(VALU_DEP_1)
	v_add3_u32 v11, v9, v11, 0x7fff
	v_and_b32_e32 v11, 0xffff0000, v11
	s_delay_alu instid0(VALU_DEP_1) | instskip(NEXT) | instid1(VALU_DEP_1)
	v_cndmask_b32_e32 v9, 0x7fc00000, v11, vcc_lo
	v_mul_f32_e32 v3, v9, v3
	s_delay_alu instid0(VALU_DEP_1) | instskip(SKIP_1) | instid1(VALU_DEP_2)
	v_bfe_u32 v9, v3, 16, 1
	v_cmp_o_f32_e32 vcc_lo, v3, v3
	v_add3_u32 v9, v3, v9, 0x7fff
	s_delay_alu instid0(VALU_DEP_1) | instskip(NEXT) | instid1(VALU_DEP_1)
	v_and_b32_e32 v9, 0xffff0000, v9
	v_cndmask_b32_e32 v3, 0x7fc00000, v9, vcc_lo
	s_delay_alu instid0(VALU_DEP_1) | instskip(NEXT) | instid1(VALU_DEP_1)
	v_div_scale_f32 v9, null, v4, v4, v3
	v_rcp_f32_e32 v11, v9
	s_waitcnt_depctr 0xfff
	v_fma_f32 v12, -v9, v11, 1.0
	s_delay_alu instid0(VALU_DEP_1) | instskip(SKIP_1) | instid1(VALU_DEP_1)
	v_fmac_f32_e32 v11, v12, v11
	v_div_scale_f32 v12, vcc_lo, v3, v4, v3
	v_mul_f32_e32 v13, v12, v11
	s_delay_alu instid0(VALU_DEP_1) | instskip(NEXT) | instid1(VALU_DEP_1)
	v_fma_f32 v14, -v9, v13, v12
	v_fmac_f32_e32 v13, v14, v11
	s_delay_alu instid0(VALU_DEP_1) | instskip(NEXT) | instid1(VALU_DEP_1)
	v_fma_f32 v9, -v9, v13, v12
	v_div_fmas_f32 v9, v9, v11, v13
	s_delay_alu instid0(VALU_DEP_1) | instskip(NEXT) | instid1(VALU_DEP_1)
	v_div_fixup_f32 v3, v9, v4, v3
	v_minmax_f32 v3, v3, s7, 0xc3600000
	s_delay_alu instid0(VALU_DEP_1) | instskip(NEXT) | instid1(VALU_DEP_1)
	v_and_b32_e32 v4, 0x7fffffff, v3
	v_cmpx_gt_u32_e32 0x43800000, v4
	s_cbranch_execz .LBB79_87
; %bb.82:                               ;   in Loop: Header=BB79_63 Depth=1
	v_cmp_lt_u32_e32 vcc_lo, 0x3bffffff, v4
	s_mov_b32 s9, 0
                                        ; implicit-def: $vgpr4
	s_and_saveexec_b32 s12, vcc_lo
	s_delay_alu instid0(SALU_CYCLE_1)
	s_xor_b32 s12, exec_lo, s12
	s_cbranch_execnz .LBB79_166
; %bb.83:                               ;   in Loop: Header=BB79_63 Depth=1
	s_or_saveexec_b32 s12, s12
                                        ; implicit-def: $sgpr13
	s_delay_alu instid0(SALU_CYCLE_1)
	s_xor_b32 exec_lo, exec_lo, s12
	s_cbranch_execnz .LBB79_167
.LBB79_84:                              ;   in Loop: Header=BB79_63 Depth=1
	s_or_b32 exec_lo, exec_lo, s12
	v_mov_b32_e32 v2, s13
	s_and_saveexec_b32 s12, s9
.LBB79_85:                              ;   in Loop: Header=BB79_63 Depth=1
	v_lshrrev_b32_e32 v2, 24, v3
	s_delay_alu instid0(VALU_DEP_1)
	v_and_or_b32 v2, 0x80, v2, v4
.LBB79_86:                              ;   in Loop: Header=BB79_63 Depth=1
	s_or_b32 exec_lo, exec_lo, s12
.LBB79_87:                              ;   in Loop: Header=BB79_63 Depth=1
	s_delay_alu instid0(SALU_CYCLE_1)
	s_or_b32 exec_lo, exec_lo, s8
	v_lshlrev_b32_e32 v9, 16, v10
	v_lshlrev_b32_e32 v5, 8, v5
	v_lshlrev_b64 v[3:4], 2, v[0:1]
	v_and_b32_e32 v6, 0xff, v6
	s_mov_b32 s9, -1
	v_perm_b32 v9, v2, v9, 0x4020c0c
	v_and_b32_e32 v5, 0xff00, v5
	v_add_nc_u32_e32 v2, s35, v0
	v_add_co_u32 v3, vcc_lo, s0, v3
	v_add_co_ci_u32_e32 v4, vcc_lo, s1, v4, vcc_lo
	s_delay_alu instid0(VALU_DEP_4)
	v_or3_b32 v5, v9, v5, v6
	s_mov_b32 s8, exec_lo
	global_store_b32 v[3:4], v5, off
	v_cmpx_gt_u32_e64 s14, v2
	s_cbranch_execz .LBB79_62
; %bb.88:                               ;   in Loop: Header=BB79_63 Depth=1
	v_bfe_u32 v18, v2, 4, 26
	s_mov_b32 s9, exec_lo
	s_delay_alu instid0(VALU_DEP_1) | instskip(NEXT) | instid1(VALU_DEP_1)
	v_mad_u64_u32 v[13:14], null, v7, v18, 0
	v_dual_mov_b32 v3, v1 :: v_dual_mov_b32 v6, v14
	s_delay_alu instid0(VALU_DEP_1) | instskip(NEXT) | instid1(VALU_DEP_2)
	v_lshlrev_b64 v[4:5], 3, v[2:3]
	v_mad_u64_u32 v[14:15], null, v8, v18, v[6:7]
	s_delay_alu instid0(VALU_DEP_2) | instskip(NEXT) | instid1(VALU_DEP_3)
	v_add_co_u32 v9, vcc_lo, s30, v4
	v_add_co_ci_u32_e32 v10, vcc_lo, s31, v5, vcc_lo
	v_add_co_u32 v16, vcc_lo, s33, v4
	v_add_co_ci_u32_e32 v17, vcc_lo, s34, v5, vcc_lo
	;; [unrolled: 2-line block ×3, first 2 shown]
	global_load_b64 v[9:10], v[9:10], off
	global_load_b64 v[11:12], v[16:17], off
	v_lshlrev_b64 v[13:14], 2, v[13:14]
	global_load_b64 v[4:5], v[4:5], off
	v_add_co_u32 v13, vcc_lo, s4, v13
	v_add_co_ci_u32_e32 v14, vcc_lo, s5, v14, vcc_lo
	global_load_b32 v6, v[13:14], off
	s_waitcnt vmcnt(3)
	v_lshlrev_b32_e32 v13, 16, v9
	v_and_b32_e32 v20, 0xffff0000, v9
	v_alignbit_b32 v9, v10, v9, 16
	v_and_b32_e32 v10, 0xffff0000, v10
	s_waitcnt vmcnt(1)
	v_lshlrev_b32_e32 v18, 16, v4
	v_lshlrev_b32_e32 v14, 16, v11
	s_delay_alu instid0(VALU_DEP_1) | instskip(NEXT) | instid1(VALU_DEP_1)
	v_add_f32_e32 v14, v13, v14
	v_mul_f32_e32 v13, v28, v14
	s_delay_alu instid0(VALU_DEP_1) | instskip(SKIP_1) | instid1(VALU_DEP_2)
	v_bfe_u32 v15, v13, 16, 1
	v_cmp_o_f32_e32 vcc_lo, v13, v13
	v_add3_u32 v15, v13, v15, 0x7fff
	s_delay_alu instid0(VALU_DEP_1) | instskip(NEXT) | instid1(VALU_DEP_1)
	v_and_b32_e32 v15, 0xffff0000, v15
	v_cndmask_b32_e32 v13, 0x7fc00000, v15, vcc_lo
	s_delay_alu instid0(VALU_DEP_1) | instskip(NEXT) | instid1(VALU_DEP_1)
	v_mul_f32_e32 v13, v13, v18
	v_bfe_u32 v15, v13, 16, 1
	v_cmp_o_f32_e32 vcc_lo, v13, v13
	s_delay_alu instid0(VALU_DEP_2) | instskip(NEXT) | instid1(VALU_DEP_1)
	v_add3_u32 v15, v13, v15, 0x7fff
	v_and_b32_e32 v15, 0xffff0000, v15
	s_delay_alu instid0(VALU_DEP_1) | instskip(SKIP_1) | instid1(VALU_DEP_1)
	v_cndmask_b32_e32 v15, 0x7fc00000, v15, vcc_lo
	s_waitcnt vmcnt(0)
	v_div_scale_f32 v18, null, v6, v6, v15
	v_div_scale_f32 v21, vcc_lo, v15, v6, v15
	s_delay_alu instid0(VALU_DEP_2) | instskip(SKIP_2) | instid1(VALU_DEP_1)
	v_rcp_f32_e32 v19, v18
	s_waitcnt_depctr 0xfff
	v_fma_f32 v13, -v18, v19, 1.0
	v_fmac_f32_e32 v19, v13, v19
	v_alignbit_b32 v13, v12, v11, 16
	v_and_b32_e32 v11, 0xffff0000, v11
	v_and_b32_e32 v12, 0xffff0000, v12
	s_delay_alu instid0(VALU_DEP_3) | instskip(NEXT) | instid1(VALU_DEP_3)
	v_dual_mul_f32 v22, v21, v19 :: v_dual_and_b32 v23, 0xffff0000, v13
	v_add_f32_e32 v13, v20, v11
	s_delay_alu instid0(VALU_DEP_2) | instskip(NEXT) | instid1(VALU_DEP_1)
	v_fma_f32 v20, -v18, v22, v21
	v_dual_fmac_f32 v22, v20, v19 :: v_dual_and_b32 v9, 0xffff0000, v9
	s_delay_alu instid0(VALU_DEP_1) | instskip(NEXT) | instid1(VALU_DEP_4)
	v_dual_add_f32 v11, v10, v12 :: v_dual_add_f32 v12, v9, v23
	v_bfe_u32 v10, v13, 16, 1
	v_bfe_u32 v9, v14, 16, 1
	s_delay_alu instid0(VALU_DEP_4) | instskip(NEXT) | instid1(VALU_DEP_4)
	v_fma_f32 v18, -v18, v22, v21
	v_bfe_u32 v20, v11, 16, 1
	v_bfe_u32 v23, v12, 16, 1
	v_add3_u32 v10, v13, v10, 0x7fff
	v_add3_u32 v9, v14, v9, 0x7fff
	v_div_fmas_f32 v18, v18, v19, v22
	v_cmp_o_f32_e32 vcc_lo, v13, v13
	v_add3_u32 v20, v11, v20, 0x7fff
	v_and_b32_e32 v10, 0xffff0000, v10
	v_lshrrev_b32_e32 v9, 16, v9
	v_add3_u32 v21, v12, v23, 0x7fff
	v_div_fixup_f32 v15, v18, v6, v15
	v_and_b32_e32 v19, 0xffff0000, v20
	v_cndmask_b32_e32 v10, 0x7fc00000, v10, vcc_lo
	v_cmp_o_f32_e32 vcc_lo, v14, v14
	v_lshrrev_b32_e32 v20, 16, v21
	v_minmax_f32 v14, v15, s7, 0xc3600000
	v_cndmask_b32_e32 v9, 0x7fc0, v9, vcc_lo
	v_cmp_o_f32_e32 vcc_lo, v11, v11
	s_delay_alu instid0(VALU_DEP_3) | instskip(NEXT) | instid1(VALU_DEP_3)
	v_and_b32_e32 v15, 0x7fffffff, v14
	v_or_b32_e32 v10, v9, v10
	v_cndmask_b32_e32 v18, 0x7fc00000, v19, vcc_lo
	v_cmp_o_f32_e32 vcc_lo, v12, v12
	v_mov_b32_e32 v9, 0x80
	v_cndmask_b32_e32 v19, 0x7fc0, v20, vcc_lo
	s_delay_alu instid0(VALU_DEP_1)
	v_or3_b32 v19, 0, v19, v18
	v_or3_b32 v18, v10, 0, 0
	v_mov_b32_e32 v10, 0x80
	global_store_b64 v[16:17], v[18:19], off
	v_cmpx_gt_u32_e32 0x43800000, v15
	s_cbranch_execz .LBB79_94
; %bb.89:                               ;   in Loop: Header=BB79_63 Depth=1
	v_cmp_lt_u32_e32 vcc_lo, 0x3bffffff, v15
	s_mov_b32 s12, 0
                                        ; implicit-def: $vgpr15
	s_and_saveexec_b32 s13, vcc_lo
	s_delay_alu instid0(SALU_CYCLE_1)
	s_xor_b32 s13, exec_lo, s13
	s_cbranch_execnz .LBB79_168
; %bb.90:                               ;   in Loop: Header=BB79_63 Depth=1
	s_or_saveexec_b32 s13, s13
                                        ; implicit-def: $sgpr15
	s_delay_alu instid0(SALU_CYCLE_1)
	s_xor_b32 exec_lo, exec_lo, s13
	s_cbranch_execnz .LBB79_169
.LBB79_91:                              ;   in Loop: Header=BB79_63 Depth=1
	s_or_b32 exec_lo, exec_lo, s13
	v_mov_b32_e32 v10, s15
	s_and_saveexec_b32 s13, s12
.LBB79_92:                              ;   in Loop: Header=BB79_63 Depth=1
	v_lshrrev_b32_e32 v10, 24, v14
	s_delay_alu instid0(VALU_DEP_1)
	v_and_or_b32 v10, 0x80, v10, v15
.LBB79_93:                              ;   in Loop: Header=BB79_63 Depth=1
	s_or_b32 exec_lo, exec_lo, s13
.LBB79_94:                              ;   in Loop: Header=BB79_63 Depth=1
	s_delay_alu instid0(SALU_CYCLE_1) | instskip(SKIP_3) | instid1(VALU_DEP_2)
	s_or_b32 exec_lo, exec_lo, s9
	v_mul_f32_e32 v13, v28, v13
	v_and_b32_e32 v15, 0xffff0000, v4
	s_mov_b32 s9, exec_lo
	v_bfe_u32 v14, v13, 16, 1
	s_delay_alu instid0(VALU_DEP_1) | instskip(NEXT) | instid1(VALU_DEP_1)
	v_add3_u32 v14, v13, v14, 0x7fff
	v_and_b32_e32 v14, 0xffff0000, v14
	v_cmp_o_f32_e32 vcc_lo, v13, v13
	s_delay_alu instid0(VALU_DEP_2) | instskip(NEXT) | instid1(VALU_DEP_1)
	v_cndmask_b32_e32 v13, 0x7fc00000, v14, vcc_lo
	v_mul_f32_e32 v13, v13, v15
	s_delay_alu instid0(VALU_DEP_1) | instskip(NEXT) | instid1(VALU_DEP_1)
	v_bfe_u32 v14, v13, 16, 1
	v_add3_u32 v14, v13, v14, 0x7fff
	s_delay_alu instid0(VALU_DEP_1) | instskip(SKIP_1) | instid1(VALU_DEP_2)
	v_and_b32_e32 v14, 0xffff0000, v14
	v_cmp_o_f32_e32 vcc_lo, v13, v13
	v_cndmask_b32_e32 v13, 0x7fc00000, v14, vcc_lo
	s_delay_alu instid0(VALU_DEP_1) | instskip(NEXT) | instid1(VALU_DEP_1)
	v_div_scale_f32 v14, null, v6, v6, v13
	v_rcp_f32_e32 v15, v14
	s_waitcnt_depctr 0xfff
	v_fma_f32 v16, -v14, v15, 1.0
	s_delay_alu instid0(VALU_DEP_1) | instskip(SKIP_1) | instid1(VALU_DEP_1)
	v_fmac_f32_e32 v15, v16, v15
	v_div_scale_f32 v16, vcc_lo, v13, v6, v13
	v_mul_f32_e32 v17, v16, v15
	s_delay_alu instid0(VALU_DEP_1) | instskip(NEXT) | instid1(VALU_DEP_1)
	v_fma_f32 v18, -v14, v17, v16
	v_fmac_f32_e32 v17, v18, v15
	s_delay_alu instid0(VALU_DEP_1) | instskip(NEXT) | instid1(VALU_DEP_1)
	v_fma_f32 v14, -v14, v17, v16
	v_div_fmas_f32 v14, v14, v15, v17
	s_delay_alu instid0(VALU_DEP_1) | instskip(NEXT) | instid1(VALU_DEP_1)
	v_div_fixup_f32 v13, v14, v6, v13
	v_minmax_f32 v13, v13, s7, 0xc3600000
	s_delay_alu instid0(VALU_DEP_1) | instskip(NEXT) | instid1(VALU_DEP_1)
	v_and_b32_e32 v14, 0x7fffffff, v13
	v_cmpx_gt_u32_e32 0x43800000, v14
	s_cbranch_execz .LBB79_100
; %bb.95:                               ;   in Loop: Header=BB79_63 Depth=1
	v_cmp_lt_u32_e32 vcc_lo, 0x3bffffff, v14
	s_mov_b32 s12, 0
                                        ; implicit-def: $vgpr14
	s_and_saveexec_b32 s13, vcc_lo
	s_delay_alu instid0(SALU_CYCLE_1)
	s_xor_b32 s13, exec_lo, s13
	s_cbranch_execnz .LBB79_170
; %bb.96:                               ;   in Loop: Header=BB79_63 Depth=1
	s_or_saveexec_b32 s13, s13
                                        ; implicit-def: $sgpr15
	s_delay_alu instid0(SALU_CYCLE_1)
	s_xor_b32 exec_lo, exec_lo, s13
	s_cbranch_execnz .LBB79_171
.LBB79_97:                              ;   in Loop: Header=BB79_63 Depth=1
	s_or_b32 exec_lo, exec_lo, s13
	v_mov_b32_e32 v9, s15
	s_and_saveexec_b32 s13, s12
.LBB79_98:                              ;   in Loop: Header=BB79_63 Depth=1
	v_lshrrev_b32_e32 v9, 24, v13
	s_delay_alu instid0(VALU_DEP_1)
	v_and_or_b32 v9, 0x80, v9, v14
.LBB79_99:                              ;   in Loop: Header=BB79_63 Depth=1
	s_or_b32 exec_lo, exec_lo, s13
.LBB79_100:                             ;   in Loop: Header=BB79_63 Depth=1
	s_delay_alu instid0(SALU_CYCLE_1) | instskip(SKIP_3) | instid1(VALU_DEP_2)
	s_or_b32 exec_lo, exec_lo, s9
	v_mul_f32_e32 v12, v28, v12
	v_alignbit_b32 v4, v5, v4, 16
	s_mov_b32 s9, exec_lo
	v_bfe_u32 v13, v12, 16, 1
	s_delay_alu instid0(VALU_DEP_2) | instskip(NEXT) | instid1(VALU_DEP_2)
	v_and_b32_e32 v4, 0xffff0000, v4
	v_add3_u32 v13, v12, v13, 0x7fff
	s_delay_alu instid0(VALU_DEP_1) | instskip(SKIP_1) | instid1(VALU_DEP_2)
	v_and_b32_e32 v13, 0xffff0000, v13
	v_cmp_o_f32_e32 vcc_lo, v12, v12
	v_cndmask_b32_e32 v12, 0x7fc00000, v13, vcc_lo
	s_delay_alu instid0(VALU_DEP_1) | instskip(NEXT) | instid1(VALU_DEP_1)
	v_mul_f32_e32 v4, v12, v4
	v_bfe_u32 v12, v4, 16, 1
	v_cmp_o_f32_e32 vcc_lo, v4, v4
	s_delay_alu instid0(VALU_DEP_2) | instskip(NEXT) | instid1(VALU_DEP_1)
	v_add3_u32 v12, v4, v12, 0x7fff
	v_and_b32_e32 v12, 0xffff0000, v12
	s_delay_alu instid0(VALU_DEP_1) | instskip(NEXT) | instid1(VALU_DEP_1)
	v_cndmask_b32_e32 v4, 0x7fc00000, v12, vcc_lo
	v_div_scale_f32 v12, null, v6, v6, v4
	v_div_scale_f32 v15, vcc_lo, v4, v6, v4
	s_delay_alu instid0(VALU_DEP_2) | instskip(SKIP_2) | instid1(VALU_DEP_1)
	v_rcp_f32_e32 v13, v12
	s_waitcnt_depctr 0xfff
	v_fma_f32 v14, -v12, v13, 1.0
	v_fmac_f32_e32 v13, v14, v13
	s_delay_alu instid0(VALU_DEP_1) | instskip(NEXT) | instid1(VALU_DEP_1)
	v_mul_f32_e32 v14, v15, v13
	v_fma_f32 v16, -v12, v14, v15
	s_delay_alu instid0(VALU_DEP_1) | instskip(NEXT) | instid1(VALU_DEP_1)
	v_fmac_f32_e32 v14, v16, v13
	v_fma_f32 v12, -v12, v14, v15
	s_delay_alu instid0(VALU_DEP_1) | instskip(NEXT) | instid1(VALU_DEP_1)
	v_div_fmas_f32 v12, v12, v13, v14
	v_div_fixup_f32 v4, v12, v6, v4
	v_mov_b32_e32 v12, 0x80
	s_delay_alu instid0(VALU_DEP_2) | instskip(SKIP_1) | instid1(VALU_DEP_2)
	v_minmax_f32 v13, v4, s7, 0xc3600000
	v_mov_b32_e32 v4, 0x80
	v_and_b32_e32 v14, 0x7fffffff, v13
	s_delay_alu instid0(VALU_DEP_1)
	v_cmpx_gt_u32_e32 0x43800000, v14
	s_cbranch_execz .LBB79_106
; %bb.101:                              ;   in Loop: Header=BB79_63 Depth=1
	v_cmp_lt_u32_e32 vcc_lo, 0x3bffffff, v14
	s_mov_b32 s12, 0
                                        ; implicit-def: $vgpr14
	s_and_saveexec_b32 s13, vcc_lo
	s_delay_alu instid0(SALU_CYCLE_1)
	s_xor_b32 s13, exec_lo, s13
	s_cbranch_execnz .LBB79_172
; %bb.102:                              ;   in Loop: Header=BB79_63 Depth=1
	s_or_saveexec_b32 s13, s13
                                        ; implicit-def: $sgpr15
	s_delay_alu instid0(SALU_CYCLE_1)
	s_xor_b32 exec_lo, exec_lo, s13
	s_cbranch_execnz .LBB79_173
.LBB79_103:                             ;   in Loop: Header=BB79_63 Depth=1
	s_or_b32 exec_lo, exec_lo, s13
	v_mov_b32_e32 v12, s15
	s_and_saveexec_b32 s13, s12
.LBB79_104:                             ;   in Loop: Header=BB79_63 Depth=1
	v_lshrrev_b32_e32 v12, 24, v13
	s_delay_alu instid0(VALU_DEP_1)
	v_and_or_b32 v12, 0x80, v12, v14
.LBB79_105:                             ;   in Loop: Header=BB79_63 Depth=1
	s_or_b32 exec_lo, exec_lo, s13
.LBB79_106:                             ;   in Loop: Header=BB79_63 Depth=1
	s_delay_alu instid0(SALU_CYCLE_1) | instskip(SKIP_3) | instid1(VALU_DEP_2)
	s_or_b32 exec_lo, exec_lo, s9
	v_mul_f32_e32 v11, v28, v11
	v_and_b32_e32 v5, 0xffff0000, v5
	s_mov_b32 s9, exec_lo
	v_bfe_u32 v13, v11, 16, 1
	v_cmp_o_f32_e32 vcc_lo, v11, v11
	s_delay_alu instid0(VALU_DEP_2) | instskip(NEXT) | instid1(VALU_DEP_1)
	v_add3_u32 v13, v11, v13, 0x7fff
	v_and_b32_e32 v13, 0xffff0000, v13
	s_delay_alu instid0(VALU_DEP_1) | instskip(NEXT) | instid1(VALU_DEP_1)
	v_cndmask_b32_e32 v11, 0x7fc00000, v13, vcc_lo
	v_mul_f32_e32 v5, v11, v5
	s_delay_alu instid0(VALU_DEP_1) | instskip(SKIP_1) | instid1(VALU_DEP_2)
	v_bfe_u32 v11, v5, 16, 1
	v_cmp_o_f32_e32 vcc_lo, v5, v5
	v_add3_u32 v11, v5, v11, 0x7fff
	s_delay_alu instid0(VALU_DEP_1) | instskip(NEXT) | instid1(VALU_DEP_1)
	v_and_b32_e32 v11, 0xffff0000, v11
	v_cndmask_b32_e32 v5, 0x7fc00000, v11, vcc_lo
	s_delay_alu instid0(VALU_DEP_1) | instskip(NEXT) | instid1(VALU_DEP_1)
	v_div_scale_f32 v11, null, v6, v6, v5
	v_rcp_f32_e32 v13, v11
	s_waitcnt_depctr 0xfff
	v_fma_f32 v14, -v11, v13, 1.0
	s_delay_alu instid0(VALU_DEP_1) | instskip(SKIP_1) | instid1(VALU_DEP_1)
	v_fmac_f32_e32 v13, v14, v13
	v_div_scale_f32 v14, vcc_lo, v5, v6, v5
	v_mul_f32_e32 v15, v14, v13
	s_delay_alu instid0(VALU_DEP_1) | instskip(NEXT) | instid1(VALU_DEP_1)
	v_fma_f32 v16, -v11, v15, v14
	v_fmac_f32_e32 v15, v16, v13
	s_delay_alu instid0(VALU_DEP_1) | instskip(NEXT) | instid1(VALU_DEP_1)
	v_fma_f32 v11, -v11, v15, v14
	v_div_fmas_f32 v11, v11, v13, v15
	s_delay_alu instid0(VALU_DEP_1) | instskip(NEXT) | instid1(VALU_DEP_1)
	v_div_fixup_f32 v5, v11, v6, v5
	v_minmax_f32 v5, v5, s7, 0xc3600000
	s_delay_alu instid0(VALU_DEP_1) | instskip(NEXT) | instid1(VALU_DEP_1)
	v_and_b32_e32 v6, 0x7fffffff, v5
	v_cmpx_gt_u32_e32 0x43800000, v6
	s_cbranch_execz .LBB79_112
; %bb.107:                              ;   in Loop: Header=BB79_63 Depth=1
	v_cmp_lt_u32_e32 vcc_lo, 0x3bffffff, v6
	s_mov_b32 s12, 0
                                        ; implicit-def: $vgpr6
	s_and_saveexec_b32 s13, vcc_lo
	s_delay_alu instid0(SALU_CYCLE_1)
	s_xor_b32 s13, exec_lo, s13
	s_cbranch_execnz .LBB79_174
; %bb.108:                              ;   in Loop: Header=BB79_63 Depth=1
	s_or_saveexec_b32 s13, s13
                                        ; implicit-def: $sgpr15
	s_delay_alu instid0(SALU_CYCLE_1)
	s_xor_b32 exec_lo, exec_lo, s13
	s_cbranch_execnz .LBB79_175
.LBB79_109:                             ;   in Loop: Header=BB79_63 Depth=1
	s_or_b32 exec_lo, exec_lo, s13
	v_mov_b32_e32 v4, s15
	s_and_saveexec_b32 s13, s12
.LBB79_110:                             ;   in Loop: Header=BB79_63 Depth=1
	v_lshrrev_b32_e32 v4, 24, v5
	s_delay_alu instid0(VALU_DEP_1)
	v_and_or_b32 v4, 0x80, v4, v6
.LBB79_111:                             ;   in Loop: Header=BB79_63 Depth=1
	s_or_b32 exec_lo, exec_lo, s13
.LBB79_112:                             ;   in Loop: Header=BB79_63 Depth=1
	s_delay_alu instid0(SALU_CYCLE_1)
	s_or_b32 exec_lo, exec_lo, s9
	v_lshlrev_b32_e32 v11, 16, v12
	v_lshlrev_b32_e32 v9, 8, v9
	v_lshlrev_b64 v[5:6], 2, v[2:3]
	v_and_b32_e32 v10, 0xff, v10
	v_add_nc_u32_e32 v3, s3, v0
	v_perm_b32 v11, v4, v11, 0x4020c0c
	v_and_b32_e32 v9, 0xff00, v9
	s_mov_b32 s12, -1
	v_add_co_u32 v4, vcc_lo, s0, v5
	v_add_co_ci_u32_e32 v5, vcc_lo, s1, v6, vcc_lo
	s_delay_alu instid0(VALU_DEP_3)
	v_or3_b32 v6, v11, v9, v10
	s_mov_b32 s9, exec_lo
	global_store_b32 v[4:5], v6, off
	v_cmpx_gt_u32_e64 s14, v3
	s_cbranch_execz .LBB79_61
; %bb.113:                              ;   in Loop: Header=BB79_63 Depth=1
	v_bfe_u32 v19, v3, 4, 26
	s_mov_b32 s12, exec_lo
	s_delay_alu instid0(VALU_DEP_1) | instskip(SKIP_1) | instid1(VALU_DEP_1)
	v_mad_u64_u32 v[14:15], null, v7, v19, 0
	v_mov_b32_e32 v4, v1
	v_lshlrev_b64 v[5:6], 3, v[3:4]
	s_delay_alu instid0(VALU_DEP_1) | instskip(NEXT) | instid1(VALU_DEP_2)
	v_add_co_u32 v9, vcc_lo, s30, v5
	v_add_co_ci_u32_e32 v10, vcc_lo, s31, v6, vcc_lo
	v_add_co_u32 v17, vcc_lo, s33, v5
	v_add_co_ci_u32_e32 v18, vcc_lo, s34, v6, vcc_lo
	global_load_b64 v[10:11], v[9:10], off
	global_load_b64 v[12:13], v[17:18], off
	v_mov_b32_e32 v9, v15
	v_add_co_u32 v5, vcc_lo, s10, v5
	v_add_co_ci_u32_e32 v6, vcc_lo, s11, v6, vcc_lo
	global_load_b64 v[5:6], v[5:6], off
	s_waitcnt vmcnt(2)
	v_mad_u64_u32 v[15:16], null, v8, v19, v[9:10]
	v_and_b32_e32 v21, 0xffff0000, v10
	s_delay_alu instid0(VALU_DEP_2) | instskip(SKIP_2) | instid1(VALU_DEP_2)
	v_lshlrev_b64 v[14:15], 2, v[14:15]
	s_waitcnt vmcnt(0)
	v_lshlrev_b32_e32 v19, 16, v5
	v_add_co_u32 v14, vcc_lo, s4, v14
	s_delay_alu instid0(VALU_DEP_3)
	v_add_co_ci_u32_e32 v15, vcc_lo, s5, v15, vcc_lo
	global_load_b32 v9, v[14:15], off
	v_lshlrev_b32_e32 v14, 16, v10
	v_lshlrev_b32_e32 v15, 16, v12
	v_alignbit_b32 v10, v11, v10, 16
	v_and_b32_e32 v11, 0xffff0000, v11
	s_delay_alu instid0(VALU_DEP_3) | instskip(NEXT) | instid1(VALU_DEP_1)
	v_add_f32_e32 v15, v14, v15
	v_mul_f32_e32 v14, v28, v15
	s_delay_alu instid0(VALU_DEP_1) | instskip(SKIP_1) | instid1(VALU_DEP_2)
	v_bfe_u32 v16, v14, 16, 1
	v_cmp_o_f32_e32 vcc_lo, v14, v14
	v_add3_u32 v16, v14, v16, 0x7fff
	s_delay_alu instid0(VALU_DEP_1) | instskip(NEXT) | instid1(VALU_DEP_1)
	v_and_b32_e32 v16, 0xffff0000, v16
	v_cndmask_b32_e32 v14, 0x7fc00000, v16, vcc_lo
	s_delay_alu instid0(VALU_DEP_1) | instskip(NEXT) | instid1(VALU_DEP_1)
	v_mul_f32_e32 v14, v14, v19
	v_bfe_u32 v16, v14, 16, 1
	v_cmp_o_f32_e32 vcc_lo, v14, v14
	s_delay_alu instid0(VALU_DEP_2) | instskip(NEXT) | instid1(VALU_DEP_1)
	v_add3_u32 v16, v14, v16, 0x7fff
	v_and_b32_e32 v16, 0xffff0000, v16
	s_delay_alu instid0(VALU_DEP_1) | instskip(SKIP_1) | instid1(VALU_DEP_1)
	v_cndmask_b32_e32 v16, 0x7fc00000, v16, vcc_lo
	s_waitcnt vmcnt(0)
	v_div_scale_f32 v19, null, v9, v9, v16
	v_div_scale_f32 v22, vcc_lo, v16, v9, v16
	s_delay_alu instid0(VALU_DEP_2) | instskip(SKIP_2) | instid1(VALU_DEP_1)
	v_rcp_f32_e32 v20, v19
	s_waitcnt_depctr 0xfff
	v_fma_f32 v14, -v19, v20, 1.0
	v_fmac_f32_e32 v20, v14, v20
	v_alignbit_b32 v14, v13, v12, 16
	v_and_b32_e32 v12, 0xffff0000, v12
	v_and_b32_e32 v13, 0xffff0000, v13
	s_delay_alu instid0(VALU_DEP_3) | instskip(NEXT) | instid1(VALU_DEP_3)
	v_dual_mul_f32 v23, v22, v20 :: v_dual_and_b32 v24, 0xffff0000, v14
	v_add_f32_e32 v14, v21, v12
	s_delay_alu instid0(VALU_DEP_2) | instskip(NEXT) | instid1(VALU_DEP_1)
	v_fma_f32 v21, -v19, v23, v22
	v_dual_fmac_f32 v23, v21, v20 :: v_dual_and_b32 v10, 0xffff0000, v10
	s_delay_alu instid0(VALU_DEP_1) | instskip(NEXT) | instid1(VALU_DEP_4)
	v_dual_add_f32 v12, v11, v13 :: v_dual_add_f32 v13, v10, v24
	v_bfe_u32 v11, v14, 16, 1
	v_bfe_u32 v10, v15, 16, 1
	s_delay_alu instid0(VALU_DEP_4) | instskip(NEXT) | instid1(VALU_DEP_4)
	v_fma_f32 v19, -v19, v23, v22
	v_bfe_u32 v21, v12, 16, 1
	v_bfe_u32 v24, v13, 16, 1
	v_add3_u32 v11, v14, v11, 0x7fff
	v_add3_u32 v10, v15, v10, 0x7fff
	v_div_fmas_f32 v19, v19, v20, v23
	v_cmp_o_f32_e32 vcc_lo, v14, v14
	v_add3_u32 v21, v12, v21, 0x7fff
	v_and_b32_e32 v11, 0xffff0000, v11
	v_lshrrev_b32_e32 v10, 16, v10
	v_add3_u32 v22, v13, v24, 0x7fff
	v_div_fixup_f32 v16, v19, v9, v16
	v_and_b32_e32 v20, 0xffff0000, v21
	v_cndmask_b32_e32 v11, 0x7fc00000, v11, vcc_lo
	v_cmp_o_f32_e32 vcc_lo, v15, v15
	v_lshrrev_b32_e32 v21, 16, v22
	v_minmax_f32 v15, v16, s7, 0xc3600000
	v_cndmask_b32_e32 v10, 0x7fc0, v10, vcc_lo
	v_cmp_o_f32_e32 vcc_lo, v12, v12
	s_delay_alu instid0(VALU_DEP_3) | instskip(NEXT) | instid1(VALU_DEP_3)
	v_and_b32_e32 v16, 0x7fffffff, v15
	v_or_b32_e32 v11, v10, v11
	v_cndmask_b32_e32 v19, 0x7fc00000, v20, vcc_lo
	v_cmp_o_f32_e32 vcc_lo, v13, v13
	v_mov_b32_e32 v10, 0x80
	v_cndmask_b32_e32 v20, 0x7fc0, v21, vcc_lo
	s_delay_alu instid0(VALU_DEP_1)
	v_or3_b32 v20, 0, v20, v19
	v_or3_b32 v19, v11, 0, 0
	v_mov_b32_e32 v11, 0x80
	global_store_b64 v[17:18], v[19:20], off
	v_cmpx_gt_u32_e32 0x43800000, v16
	s_cbranch_execz .LBB79_119
; %bb.114:                              ;   in Loop: Header=BB79_63 Depth=1
	v_cmp_lt_u32_e32 vcc_lo, 0x3bffffff, v16
	s_mov_b32 s13, 0
                                        ; implicit-def: $vgpr16
	s_and_saveexec_b32 s15, vcc_lo
	s_delay_alu instid0(SALU_CYCLE_1)
	s_xor_b32 s15, exec_lo, s15
	s_cbranch_execnz .LBB79_176
; %bb.115:                              ;   in Loop: Header=BB79_63 Depth=1
	s_or_saveexec_b32 s15, s15
                                        ; implicit-def: $sgpr16
	s_delay_alu instid0(SALU_CYCLE_1)
	s_xor_b32 exec_lo, exec_lo, s15
	s_cbranch_execnz .LBB79_177
.LBB79_116:                             ;   in Loop: Header=BB79_63 Depth=1
	s_or_b32 exec_lo, exec_lo, s15
	v_mov_b32_e32 v11, s16
	s_and_saveexec_b32 s15, s13
.LBB79_117:                             ;   in Loop: Header=BB79_63 Depth=1
	v_lshrrev_b32_e32 v11, 24, v15
	s_delay_alu instid0(VALU_DEP_1)
	v_and_or_b32 v11, 0x80, v11, v16
.LBB79_118:                             ;   in Loop: Header=BB79_63 Depth=1
	s_or_b32 exec_lo, exec_lo, s15
.LBB79_119:                             ;   in Loop: Header=BB79_63 Depth=1
	s_delay_alu instid0(SALU_CYCLE_1) | instskip(SKIP_3) | instid1(VALU_DEP_2)
	s_or_b32 exec_lo, exec_lo, s12
	v_mul_f32_e32 v14, v28, v14
	v_and_b32_e32 v16, 0xffff0000, v5
	s_mov_b32 s12, exec_lo
	v_bfe_u32 v15, v14, 16, 1
	s_delay_alu instid0(VALU_DEP_1) | instskip(NEXT) | instid1(VALU_DEP_1)
	v_add3_u32 v15, v14, v15, 0x7fff
	v_and_b32_e32 v15, 0xffff0000, v15
	v_cmp_o_f32_e32 vcc_lo, v14, v14
	s_delay_alu instid0(VALU_DEP_2) | instskip(NEXT) | instid1(VALU_DEP_1)
	v_cndmask_b32_e32 v14, 0x7fc00000, v15, vcc_lo
	v_mul_f32_e32 v14, v14, v16
	s_delay_alu instid0(VALU_DEP_1) | instskip(NEXT) | instid1(VALU_DEP_1)
	v_bfe_u32 v15, v14, 16, 1
	v_add3_u32 v15, v14, v15, 0x7fff
	s_delay_alu instid0(VALU_DEP_1) | instskip(SKIP_1) | instid1(VALU_DEP_2)
	v_and_b32_e32 v15, 0xffff0000, v15
	v_cmp_o_f32_e32 vcc_lo, v14, v14
	v_cndmask_b32_e32 v14, 0x7fc00000, v15, vcc_lo
	s_delay_alu instid0(VALU_DEP_1) | instskip(NEXT) | instid1(VALU_DEP_1)
	v_div_scale_f32 v15, null, v9, v9, v14
	v_rcp_f32_e32 v16, v15
	s_waitcnt_depctr 0xfff
	v_fma_f32 v17, -v15, v16, 1.0
	s_delay_alu instid0(VALU_DEP_1) | instskip(SKIP_1) | instid1(VALU_DEP_1)
	v_fmac_f32_e32 v16, v17, v16
	v_div_scale_f32 v17, vcc_lo, v14, v9, v14
	v_mul_f32_e32 v18, v17, v16
	s_delay_alu instid0(VALU_DEP_1) | instskip(NEXT) | instid1(VALU_DEP_1)
	v_fma_f32 v19, -v15, v18, v17
	v_fmac_f32_e32 v18, v19, v16
	s_delay_alu instid0(VALU_DEP_1) | instskip(NEXT) | instid1(VALU_DEP_1)
	v_fma_f32 v15, -v15, v18, v17
	v_div_fmas_f32 v15, v15, v16, v18
	s_delay_alu instid0(VALU_DEP_1) | instskip(NEXT) | instid1(VALU_DEP_1)
	v_div_fixup_f32 v14, v15, v9, v14
	v_minmax_f32 v14, v14, s7, 0xc3600000
	s_delay_alu instid0(VALU_DEP_1) | instskip(NEXT) | instid1(VALU_DEP_1)
	v_and_b32_e32 v15, 0x7fffffff, v14
	v_cmpx_gt_u32_e32 0x43800000, v15
	s_cbranch_execz .LBB79_125
; %bb.120:                              ;   in Loop: Header=BB79_63 Depth=1
	v_cmp_lt_u32_e32 vcc_lo, 0x3bffffff, v15
	s_mov_b32 s13, 0
                                        ; implicit-def: $vgpr15
	s_and_saveexec_b32 s15, vcc_lo
	s_delay_alu instid0(SALU_CYCLE_1)
	s_xor_b32 s15, exec_lo, s15
	s_cbranch_execnz .LBB79_178
; %bb.121:                              ;   in Loop: Header=BB79_63 Depth=1
	s_or_saveexec_b32 s15, s15
                                        ; implicit-def: $sgpr16
	s_delay_alu instid0(SALU_CYCLE_1)
	s_xor_b32 exec_lo, exec_lo, s15
	s_cbranch_execnz .LBB79_179
.LBB79_122:                             ;   in Loop: Header=BB79_63 Depth=1
	s_or_b32 exec_lo, exec_lo, s15
	v_mov_b32_e32 v10, s16
	s_and_saveexec_b32 s15, s13
.LBB79_123:                             ;   in Loop: Header=BB79_63 Depth=1
	v_lshrrev_b32_e32 v10, 24, v14
	s_delay_alu instid0(VALU_DEP_1)
	v_and_or_b32 v10, 0x80, v10, v15
.LBB79_124:                             ;   in Loop: Header=BB79_63 Depth=1
	s_or_b32 exec_lo, exec_lo, s15
.LBB79_125:                             ;   in Loop: Header=BB79_63 Depth=1
	s_delay_alu instid0(SALU_CYCLE_1) | instskip(SKIP_3) | instid1(VALU_DEP_2)
	s_or_b32 exec_lo, exec_lo, s12
	v_mul_f32_e32 v13, v28, v13
	v_alignbit_b32 v5, v6, v5, 16
	s_mov_b32 s12, exec_lo
	v_bfe_u32 v14, v13, 16, 1
	s_delay_alu instid0(VALU_DEP_2) | instskip(NEXT) | instid1(VALU_DEP_2)
	v_and_b32_e32 v5, 0xffff0000, v5
	v_add3_u32 v14, v13, v14, 0x7fff
	s_delay_alu instid0(VALU_DEP_1) | instskip(SKIP_1) | instid1(VALU_DEP_2)
	v_and_b32_e32 v14, 0xffff0000, v14
	v_cmp_o_f32_e32 vcc_lo, v13, v13
	v_cndmask_b32_e32 v13, 0x7fc00000, v14, vcc_lo
	s_delay_alu instid0(VALU_DEP_1) | instskip(NEXT) | instid1(VALU_DEP_1)
	v_mul_f32_e32 v5, v13, v5
	v_bfe_u32 v13, v5, 16, 1
	v_cmp_o_f32_e32 vcc_lo, v5, v5
	s_delay_alu instid0(VALU_DEP_2) | instskip(NEXT) | instid1(VALU_DEP_1)
	v_add3_u32 v13, v5, v13, 0x7fff
	v_and_b32_e32 v13, 0xffff0000, v13
	s_delay_alu instid0(VALU_DEP_1) | instskip(NEXT) | instid1(VALU_DEP_1)
	v_cndmask_b32_e32 v5, 0x7fc00000, v13, vcc_lo
	v_div_scale_f32 v13, null, v9, v9, v5
	v_div_scale_f32 v16, vcc_lo, v5, v9, v5
	s_delay_alu instid0(VALU_DEP_2) | instskip(SKIP_2) | instid1(VALU_DEP_1)
	v_rcp_f32_e32 v14, v13
	s_waitcnt_depctr 0xfff
	v_fma_f32 v15, -v13, v14, 1.0
	v_fmac_f32_e32 v14, v15, v14
	s_delay_alu instid0(VALU_DEP_1) | instskip(NEXT) | instid1(VALU_DEP_1)
	v_mul_f32_e32 v15, v16, v14
	v_fma_f32 v17, -v13, v15, v16
	s_delay_alu instid0(VALU_DEP_1) | instskip(NEXT) | instid1(VALU_DEP_1)
	v_fmac_f32_e32 v15, v17, v14
	v_fma_f32 v13, -v13, v15, v16
	s_delay_alu instid0(VALU_DEP_1) | instskip(NEXT) | instid1(VALU_DEP_1)
	v_div_fmas_f32 v13, v13, v14, v15
	v_div_fixup_f32 v5, v13, v9, v5
	v_mov_b32_e32 v13, 0x80
	s_delay_alu instid0(VALU_DEP_2) | instskip(SKIP_1) | instid1(VALU_DEP_2)
	v_minmax_f32 v14, v5, s7, 0xc3600000
	v_mov_b32_e32 v5, 0x80
	v_and_b32_e32 v15, 0x7fffffff, v14
	s_delay_alu instid0(VALU_DEP_1)
	v_cmpx_gt_u32_e32 0x43800000, v15
	s_cbranch_execz .LBB79_131
; %bb.126:                              ;   in Loop: Header=BB79_63 Depth=1
	v_cmp_lt_u32_e32 vcc_lo, 0x3bffffff, v15
	s_mov_b32 s13, 0
                                        ; implicit-def: $vgpr15
	s_and_saveexec_b32 s15, vcc_lo
	s_delay_alu instid0(SALU_CYCLE_1)
	s_xor_b32 s15, exec_lo, s15
	s_cbranch_execnz .LBB79_180
; %bb.127:                              ;   in Loop: Header=BB79_63 Depth=1
	s_or_saveexec_b32 s15, s15
                                        ; implicit-def: $sgpr16
	s_delay_alu instid0(SALU_CYCLE_1)
	s_xor_b32 exec_lo, exec_lo, s15
	s_cbranch_execnz .LBB79_181
.LBB79_128:                             ;   in Loop: Header=BB79_63 Depth=1
	s_or_b32 exec_lo, exec_lo, s15
	v_mov_b32_e32 v13, s16
	s_and_saveexec_b32 s15, s13
.LBB79_129:                             ;   in Loop: Header=BB79_63 Depth=1
	v_lshrrev_b32_e32 v13, 24, v14
	s_delay_alu instid0(VALU_DEP_1)
	v_and_or_b32 v13, 0x80, v13, v15
.LBB79_130:                             ;   in Loop: Header=BB79_63 Depth=1
	s_or_b32 exec_lo, exec_lo, s15
.LBB79_131:                             ;   in Loop: Header=BB79_63 Depth=1
	s_delay_alu instid0(SALU_CYCLE_1) | instskip(SKIP_3) | instid1(VALU_DEP_2)
	s_or_b32 exec_lo, exec_lo, s12
	v_mul_f32_e32 v12, v28, v12
	v_and_b32_e32 v6, 0xffff0000, v6
	s_mov_b32 s12, exec_lo
	v_bfe_u32 v14, v12, 16, 1
	v_cmp_o_f32_e32 vcc_lo, v12, v12
	s_delay_alu instid0(VALU_DEP_2) | instskip(NEXT) | instid1(VALU_DEP_1)
	v_add3_u32 v14, v12, v14, 0x7fff
	v_and_b32_e32 v14, 0xffff0000, v14
	s_delay_alu instid0(VALU_DEP_1) | instskip(NEXT) | instid1(VALU_DEP_1)
	v_cndmask_b32_e32 v12, 0x7fc00000, v14, vcc_lo
	v_mul_f32_e32 v6, v12, v6
	s_delay_alu instid0(VALU_DEP_1) | instskip(SKIP_1) | instid1(VALU_DEP_2)
	v_bfe_u32 v12, v6, 16, 1
	v_cmp_o_f32_e32 vcc_lo, v6, v6
	v_add3_u32 v12, v6, v12, 0x7fff
	s_delay_alu instid0(VALU_DEP_1) | instskip(NEXT) | instid1(VALU_DEP_1)
	v_and_b32_e32 v12, 0xffff0000, v12
	v_cndmask_b32_e32 v6, 0x7fc00000, v12, vcc_lo
	s_delay_alu instid0(VALU_DEP_1) | instskip(NEXT) | instid1(VALU_DEP_1)
	v_div_scale_f32 v12, null, v9, v9, v6
	v_rcp_f32_e32 v14, v12
	s_waitcnt_depctr 0xfff
	v_fma_f32 v15, -v12, v14, 1.0
	s_delay_alu instid0(VALU_DEP_1) | instskip(SKIP_1) | instid1(VALU_DEP_1)
	v_fmac_f32_e32 v14, v15, v14
	v_div_scale_f32 v15, vcc_lo, v6, v9, v6
	v_mul_f32_e32 v16, v15, v14
	s_delay_alu instid0(VALU_DEP_1) | instskip(NEXT) | instid1(VALU_DEP_1)
	v_fma_f32 v17, -v12, v16, v15
	v_fmac_f32_e32 v16, v17, v14
	s_delay_alu instid0(VALU_DEP_1) | instskip(NEXT) | instid1(VALU_DEP_1)
	v_fma_f32 v12, -v12, v16, v15
	v_div_fmas_f32 v12, v12, v14, v16
	s_delay_alu instid0(VALU_DEP_1) | instskip(NEXT) | instid1(VALU_DEP_1)
	v_div_fixup_f32 v6, v12, v9, v6
	v_minmax_f32 v6, v6, s7, 0xc3600000
	s_delay_alu instid0(VALU_DEP_1) | instskip(NEXT) | instid1(VALU_DEP_1)
	v_and_b32_e32 v9, 0x7fffffff, v6
	v_cmpx_gt_u32_e32 0x43800000, v9
	s_cbranch_execz .LBB79_137
; %bb.132:                              ;   in Loop: Header=BB79_63 Depth=1
	v_cmp_lt_u32_e32 vcc_lo, 0x3bffffff, v9
	s_mov_b32 s13, 0
                                        ; implicit-def: $vgpr9
	s_and_saveexec_b32 s15, vcc_lo
	s_delay_alu instid0(SALU_CYCLE_1)
	s_xor_b32 s15, exec_lo, s15
	s_cbranch_execnz .LBB79_182
; %bb.133:                              ;   in Loop: Header=BB79_63 Depth=1
	s_or_saveexec_b32 s15, s15
                                        ; implicit-def: $sgpr16
	s_delay_alu instid0(SALU_CYCLE_1)
	s_xor_b32 exec_lo, exec_lo, s15
	s_cbranch_execnz .LBB79_183
.LBB79_134:                             ;   in Loop: Header=BB79_63 Depth=1
	s_or_b32 exec_lo, exec_lo, s15
	v_mov_b32_e32 v5, s16
	s_and_saveexec_b32 s15, s13
.LBB79_135:                             ;   in Loop: Header=BB79_63 Depth=1
	v_lshrrev_b32_e32 v5, 24, v6
	s_delay_alu instid0(VALU_DEP_1)
	v_and_or_b32 v5, 0x80, v5, v9
.LBB79_136:                             ;   in Loop: Header=BB79_63 Depth=1
	s_or_b32 exec_lo, exec_lo, s15
.LBB79_137:                             ;   in Loop: Header=BB79_63 Depth=1
	s_delay_alu instid0(SALU_CYCLE_1)
	s_or_b32 exec_lo, exec_lo, s12
	v_lshlrev_b32_e32 v6, 16, v13
	v_lshlrev_b32_e32 v9, 8, v10
	v_lshlrev_b64 v[3:4], 2, v[3:4]
	v_and_b32_e32 v10, 0xff, v11
	v_add_nc_u32_e32 v0, s2, v0
	v_perm_b32 v5, v5, v6, 0x4020c0c
	v_and_b32_e32 v6, 0xff00, v9
	s_mov_b32 s13, -1
	v_add_co_u32 v3, vcc_lo, s0, v3
	v_add_co_ci_u32_e32 v4, vcc_lo, s1, v4, vcc_lo
	s_delay_alu instid0(VALU_DEP_3)
	v_or3_b32 v5, v5, v6, v10
	s_mov_b32 s12, exec_lo
	global_store_b32 v[3:4], v5, off
	v_cmpx_gt_u32_e64 s14, v0
	s_cbranch_execz .LBB79_60
; %bb.138:                              ;   in Loop: Header=BB79_63 Depth=1
	v_lshlrev_b64 v[3:4], 3, v[0:1]
	v_bfe_u32 v17, v0, 4, 26
	s_mov_b32 s13, exec_lo
	s_delay_alu instid0(VALU_DEP_2) | instskip(NEXT) | instid1(VALU_DEP_3)
	v_add_co_u32 v5, vcc_lo, s30, v3
	v_add_co_ci_u32_e32 v6, vcc_lo, s31, v4, vcc_lo
	v_add_co_u32 v15, vcc_lo, s33, v3
	v_add_co_ci_u32_e32 v16, vcc_lo, s34, v4, vcc_lo
	v_add_co_u32 v3, vcc_lo, s10, v3
	global_load_b64 v[9:10], v[5:6], off
	global_load_b64 v[11:12], v[15:16], off
	v_add_co_ci_u32_e32 v4, vcc_lo, s11, v4, vcc_lo
	v_mad_u64_u32 v[5:6], null, v7, v17, 0
	global_load_b64 v[3:4], v[3:4], off
	v_mad_u64_u32 v[13:14], null, v8, v17, v[6:7]
	s_waitcnt vmcnt(2)
	s_delay_alu instid0(VALU_DEP_1) | instskip(SKIP_2) | instid1(VALU_DEP_2)
	v_dual_mov_b32 v6, v13 :: v_dual_and_b32 v19, 0xffff0000, v9
	s_waitcnt vmcnt(1)
	v_lshlrev_b32_e32 v13, 16, v11
	v_lshlrev_b64 v[5:6], 2, v[5:6]
	s_waitcnt vmcnt(0)
	v_lshlrev_b32_e32 v17, 16, v3
	s_delay_alu instid0(VALU_DEP_2) | instskip(NEXT) | instid1(VALU_DEP_3)
	v_add_co_u32 v5, vcc_lo, s4, v5
	v_add_co_ci_u32_e32 v6, vcc_lo, s5, v6, vcc_lo
	global_load_b32 v5, v[5:6], off
	v_lshlrev_b32_e32 v6, 16, v9
	v_alignbit_b32 v9, v10, v9, 16
	v_and_b32_e32 v10, 0xffff0000, v10
	s_delay_alu instid0(VALU_DEP_3) | instskip(NEXT) | instid1(VALU_DEP_3)
	v_add_f32_e32 v6, v6, v13
	v_and_b32_e32 v9, 0xffff0000, v9
	s_delay_alu instid0(VALU_DEP_2) | instskip(NEXT) | instid1(VALU_DEP_1)
	v_mul_f32_e32 v13, v28, v6
	v_bfe_u32 v14, v13, 16, 1
	v_cmp_o_f32_e32 vcc_lo, v13, v13
	s_delay_alu instid0(VALU_DEP_2) | instskip(NEXT) | instid1(VALU_DEP_1)
	v_add3_u32 v14, v13, v14, 0x7fff
	v_and_b32_e32 v14, 0xffff0000, v14
	s_delay_alu instid0(VALU_DEP_1) | instskip(NEXT) | instid1(VALU_DEP_1)
	v_cndmask_b32_e32 v13, 0x7fc00000, v14, vcc_lo
	v_mul_f32_e32 v13, v13, v17
	s_delay_alu instid0(VALU_DEP_1) | instskip(SKIP_1) | instid1(VALU_DEP_2)
	v_bfe_u32 v14, v13, 16, 1
	v_cmp_o_f32_e32 vcc_lo, v13, v13
	v_add3_u32 v14, v13, v14, 0x7fff
	s_delay_alu instid0(VALU_DEP_1) | instskip(NEXT) | instid1(VALU_DEP_1)
	v_and_b32_e32 v14, 0xffff0000, v14
	v_cndmask_b32_e32 v13, 0x7fc00000, v14, vcc_lo
	s_waitcnt vmcnt(0)
	s_delay_alu instid0(VALU_DEP_1) | instskip(SKIP_1) | instid1(VALU_DEP_2)
	v_div_scale_f32 v14, null, v5, v5, v13
	v_div_scale_f32 v20, vcc_lo, v13, v5, v13
	v_rcp_f32_e32 v17, v14
	s_waitcnt_depctr 0xfff
	v_fma_f32 v18, -v14, v17, 1.0
	s_delay_alu instid0(VALU_DEP_1) | instskip(SKIP_1) | instid1(VALU_DEP_2)
	v_fmac_f32_e32 v17, v18, v17
	v_alignbit_b32 v18, v12, v11, 16
	v_dual_mul_f32 v22, v20, v17 :: v_dual_and_b32 v21, 0xffff0000, v12
	v_and_b32_e32 v11, 0xffff0000, v11
	s_delay_alu instid0(VALU_DEP_3) | instskip(NEXT) | instid1(VALU_DEP_3)
	v_and_b32_e32 v18, 0xffff0000, v18
	v_add_f32_e32 v10, v10, v21
	s_delay_alu instid0(VALU_DEP_3) | instskip(SKIP_1) | instid1(VALU_DEP_1)
	v_add_f32_e32 v12, v19, v11
	v_fma_f32 v19, -v14, v22, v20
	v_fmac_f32_e32 v22, v19, v17
	s_delay_alu instid0(VALU_DEP_4) | instskip(NEXT) | instid1(VALU_DEP_2)
	v_bfe_u32 v19, v10, 16, 1
	v_fma_f32 v14, -v14, v22, v20
	s_delay_alu instid0(VALU_DEP_2)
	v_add3_u32 v19, v10, v19, 0x7fff
	v_add_f32_e32 v11, v9, v18
	v_bfe_u32 v18, v12, 16, 1
	v_bfe_u32 v9, v6, 16, 1
	v_div_fmas_f32 v14, v14, v17, v22
	v_cmp_o_f32_e32 vcc_lo, v12, v12
	s_delay_alu instid0(VALU_DEP_4) | instskip(NEXT) | instid1(VALU_DEP_4)
	v_add3_u32 v18, v12, v18, 0x7fff
	v_add3_u32 v9, v6, v9, 0x7fff
	s_delay_alu instid0(VALU_DEP_4) | instskip(NEXT) | instid1(VALU_DEP_3)
	v_div_fixup_f32 v13, v14, v5, v13
	v_and_b32_e32 v17, 0xffff0000, v18
	v_and_b32_e32 v18, 0xffff0000, v19
	v_bfe_u32 v21, v11, 16, 1
	v_lshrrev_b32_e32 v9, 16, v9
	v_minmax_f32 v13, v13, s7, 0xc3600000
	v_cndmask_b32_e32 v14, 0x7fc00000, v17, vcc_lo
	v_cmp_o_f32_e32 vcc_lo, v6, v6
	v_add3_u32 v20, v11, v21, 0x7fff
	v_cndmask_b32_e32 v6, 0x7fc0, v9, vcc_lo
	v_cmp_o_f32_e32 vcc_lo, v10, v10
	s_delay_alu instid0(VALU_DEP_3) | instskip(SKIP_1) | instid1(VALU_DEP_4)
	v_lshrrev_b32_e32 v19, 16, v20
	v_mov_b32_e32 v9, 0x80
	v_or_b32_e32 v6, v6, v14
	v_cndmask_b32_e32 v17, 0x7fc00000, v18, vcc_lo
	v_cmp_o_f32_e32 vcc_lo, v11, v11
	v_and_b32_e32 v14, 0x7fffffff, v13
	v_cndmask_b32_e32 v18, 0x7fc0, v19, vcc_lo
	s_delay_alu instid0(VALU_DEP_1)
	v_or3_b32 v18, 0, v18, v17
	v_or3_b32 v17, v6, 0, 0
	v_mov_b32_e32 v6, 0x80
	global_store_b64 v[15:16], v[17:18], off
	v_cmpx_gt_u32_e32 0x43800000, v14
	s_cbranch_execz .LBB79_144
; %bb.139:                              ;   in Loop: Header=BB79_63 Depth=1
	v_cmp_lt_u32_e32 vcc_lo, 0x3bffffff, v14
	s_mov_b32 s15, 0
                                        ; implicit-def: $vgpr14
	s_and_saveexec_b32 s16, vcc_lo
	s_delay_alu instid0(SALU_CYCLE_1)
	s_xor_b32 s16, exec_lo, s16
	s_cbranch_execnz .LBB79_184
; %bb.140:                              ;   in Loop: Header=BB79_63 Depth=1
	s_or_saveexec_b32 s16, s16
                                        ; implicit-def: $sgpr17
	s_delay_alu instid0(SALU_CYCLE_1)
	s_xor_b32 exec_lo, exec_lo, s16
	s_cbranch_execnz .LBB79_185
.LBB79_141:                             ;   in Loop: Header=BB79_63 Depth=1
	s_or_b32 exec_lo, exec_lo, s16
	v_mov_b32_e32 v6, s17
	s_and_saveexec_b32 s16, s15
.LBB79_142:                             ;   in Loop: Header=BB79_63 Depth=1
	v_lshrrev_b32_e32 v6, 24, v13
	s_delay_alu instid0(VALU_DEP_1)
	v_and_or_b32 v6, 0x80, v6, v14
.LBB79_143:                             ;   in Loop: Header=BB79_63 Depth=1
	s_or_b32 exec_lo, exec_lo, s16
.LBB79_144:                             ;   in Loop: Header=BB79_63 Depth=1
	s_delay_alu instid0(SALU_CYCLE_1) | instskip(SKIP_3) | instid1(VALU_DEP_2)
	s_or_b32 exec_lo, exec_lo, s13
	v_mul_f32_e32 v12, v28, v12
	v_and_b32_e32 v14, 0xffff0000, v3
	s_mov_b32 s13, exec_lo
	v_bfe_u32 v13, v12, 16, 1
	s_delay_alu instid0(VALU_DEP_1) | instskip(NEXT) | instid1(VALU_DEP_1)
	v_add3_u32 v13, v12, v13, 0x7fff
	v_and_b32_e32 v13, 0xffff0000, v13
	v_cmp_o_f32_e32 vcc_lo, v12, v12
	s_delay_alu instid0(VALU_DEP_2) | instskip(NEXT) | instid1(VALU_DEP_1)
	v_cndmask_b32_e32 v12, 0x7fc00000, v13, vcc_lo
	v_mul_f32_e32 v12, v12, v14
	s_delay_alu instid0(VALU_DEP_1) | instskip(NEXT) | instid1(VALU_DEP_1)
	v_bfe_u32 v13, v12, 16, 1
	v_add3_u32 v13, v12, v13, 0x7fff
	s_delay_alu instid0(VALU_DEP_1) | instskip(SKIP_1) | instid1(VALU_DEP_2)
	v_and_b32_e32 v13, 0xffff0000, v13
	v_cmp_o_f32_e32 vcc_lo, v12, v12
	v_cndmask_b32_e32 v12, 0x7fc00000, v13, vcc_lo
	s_delay_alu instid0(VALU_DEP_1) | instskip(NEXT) | instid1(VALU_DEP_1)
	v_div_scale_f32 v13, null, v5, v5, v12
	v_rcp_f32_e32 v14, v13
	s_waitcnt_depctr 0xfff
	v_fma_f32 v15, -v13, v14, 1.0
	s_delay_alu instid0(VALU_DEP_1) | instskip(SKIP_1) | instid1(VALU_DEP_1)
	v_fmac_f32_e32 v14, v15, v14
	v_div_scale_f32 v15, vcc_lo, v12, v5, v12
	v_mul_f32_e32 v16, v15, v14
	s_delay_alu instid0(VALU_DEP_1) | instskip(NEXT) | instid1(VALU_DEP_1)
	v_fma_f32 v17, -v13, v16, v15
	v_fmac_f32_e32 v16, v17, v14
	s_delay_alu instid0(VALU_DEP_1) | instskip(NEXT) | instid1(VALU_DEP_1)
	v_fma_f32 v13, -v13, v16, v15
	v_div_fmas_f32 v13, v13, v14, v16
	s_delay_alu instid0(VALU_DEP_1) | instskip(NEXT) | instid1(VALU_DEP_1)
	v_div_fixup_f32 v12, v13, v5, v12
	v_minmax_f32 v12, v12, s7, 0xc3600000
	s_delay_alu instid0(VALU_DEP_1) | instskip(NEXT) | instid1(VALU_DEP_1)
	v_and_b32_e32 v13, 0x7fffffff, v12
	v_cmpx_gt_u32_e32 0x43800000, v13
	s_cbranch_execz .LBB79_150
; %bb.145:                              ;   in Loop: Header=BB79_63 Depth=1
	v_cmp_lt_u32_e32 vcc_lo, 0x3bffffff, v13
	s_mov_b32 s15, 0
                                        ; implicit-def: $vgpr13
	s_and_saveexec_b32 s16, vcc_lo
	s_delay_alu instid0(SALU_CYCLE_1)
	s_xor_b32 s16, exec_lo, s16
	s_cbranch_execnz .LBB79_186
; %bb.146:                              ;   in Loop: Header=BB79_63 Depth=1
	s_or_saveexec_b32 s16, s16
                                        ; implicit-def: $sgpr17
	s_delay_alu instid0(SALU_CYCLE_1)
	s_xor_b32 exec_lo, exec_lo, s16
	s_cbranch_execnz .LBB79_187
.LBB79_147:                             ;   in Loop: Header=BB79_63 Depth=1
	s_or_b32 exec_lo, exec_lo, s16
	v_mov_b32_e32 v9, s17
	s_and_saveexec_b32 s16, s15
.LBB79_148:                             ;   in Loop: Header=BB79_63 Depth=1
	v_lshrrev_b32_e32 v9, 24, v12
	s_delay_alu instid0(VALU_DEP_1)
	v_and_or_b32 v9, 0x80, v9, v13
.LBB79_149:                             ;   in Loop: Header=BB79_63 Depth=1
	s_or_b32 exec_lo, exec_lo, s16
.LBB79_150:                             ;   in Loop: Header=BB79_63 Depth=1
	s_delay_alu instid0(SALU_CYCLE_1) | instskip(SKIP_3) | instid1(VALU_DEP_2)
	s_or_b32 exec_lo, exec_lo, s13
	v_mul_f32_e32 v11, v28, v11
	v_alignbit_b32 v3, v4, v3, 16
	s_mov_b32 s13, exec_lo
	v_bfe_u32 v12, v11, 16, 1
	s_delay_alu instid0(VALU_DEP_2) | instskip(NEXT) | instid1(VALU_DEP_2)
	v_and_b32_e32 v3, 0xffff0000, v3
	v_add3_u32 v12, v11, v12, 0x7fff
	s_delay_alu instid0(VALU_DEP_1) | instskip(SKIP_1) | instid1(VALU_DEP_2)
	v_and_b32_e32 v12, 0xffff0000, v12
	v_cmp_o_f32_e32 vcc_lo, v11, v11
	v_cndmask_b32_e32 v11, 0x7fc00000, v12, vcc_lo
	s_delay_alu instid0(VALU_DEP_1) | instskip(NEXT) | instid1(VALU_DEP_1)
	v_mul_f32_e32 v3, v11, v3
	v_bfe_u32 v11, v3, 16, 1
	v_cmp_o_f32_e32 vcc_lo, v3, v3
	s_delay_alu instid0(VALU_DEP_2) | instskip(NEXT) | instid1(VALU_DEP_1)
	v_add3_u32 v11, v3, v11, 0x7fff
	v_and_b32_e32 v11, 0xffff0000, v11
	s_delay_alu instid0(VALU_DEP_1) | instskip(NEXT) | instid1(VALU_DEP_1)
	v_cndmask_b32_e32 v3, 0x7fc00000, v11, vcc_lo
	v_div_scale_f32 v11, null, v5, v5, v3
	v_div_scale_f32 v14, vcc_lo, v3, v5, v3
	s_delay_alu instid0(VALU_DEP_2) | instskip(SKIP_2) | instid1(VALU_DEP_1)
	v_rcp_f32_e32 v12, v11
	s_waitcnt_depctr 0xfff
	v_fma_f32 v13, -v11, v12, 1.0
	v_fmac_f32_e32 v12, v13, v12
	s_delay_alu instid0(VALU_DEP_1) | instskip(NEXT) | instid1(VALU_DEP_1)
	v_mul_f32_e32 v13, v14, v12
	v_fma_f32 v15, -v11, v13, v14
	s_delay_alu instid0(VALU_DEP_1) | instskip(NEXT) | instid1(VALU_DEP_1)
	v_fmac_f32_e32 v13, v15, v12
	v_fma_f32 v11, -v11, v13, v14
	s_delay_alu instid0(VALU_DEP_1) | instskip(NEXT) | instid1(VALU_DEP_1)
	v_div_fmas_f32 v11, v11, v12, v13
	v_div_fixup_f32 v3, v11, v5, v3
	v_mov_b32_e32 v11, 0x80
	s_delay_alu instid0(VALU_DEP_2) | instskip(SKIP_1) | instid1(VALU_DEP_2)
	v_minmax_f32 v12, v3, s7, 0xc3600000
	v_mov_b32_e32 v3, 0x80
	v_and_b32_e32 v13, 0x7fffffff, v12
	s_delay_alu instid0(VALU_DEP_1)
	v_cmpx_gt_u32_e32 0x43800000, v13
	s_cbranch_execz .LBB79_156
; %bb.151:                              ;   in Loop: Header=BB79_63 Depth=1
	v_cmp_lt_u32_e32 vcc_lo, 0x3bffffff, v13
	s_mov_b32 s15, 0
                                        ; implicit-def: $vgpr13
	s_and_saveexec_b32 s16, vcc_lo
	s_delay_alu instid0(SALU_CYCLE_1)
	s_xor_b32 s16, exec_lo, s16
	s_cbranch_execnz .LBB79_188
; %bb.152:                              ;   in Loop: Header=BB79_63 Depth=1
	s_or_saveexec_b32 s16, s16
                                        ; implicit-def: $sgpr17
	s_delay_alu instid0(SALU_CYCLE_1)
	s_xor_b32 exec_lo, exec_lo, s16
	s_cbranch_execnz .LBB79_189
.LBB79_153:                             ;   in Loop: Header=BB79_63 Depth=1
	s_or_b32 exec_lo, exec_lo, s16
	v_mov_b32_e32 v11, s17
	s_and_saveexec_b32 s16, s15
.LBB79_154:                             ;   in Loop: Header=BB79_63 Depth=1
	v_lshrrev_b32_e32 v11, 24, v12
	s_delay_alu instid0(VALU_DEP_1)
	v_and_or_b32 v11, 0x80, v11, v13
.LBB79_155:                             ;   in Loop: Header=BB79_63 Depth=1
	s_or_b32 exec_lo, exec_lo, s16
.LBB79_156:                             ;   in Loop: Header=BB79_63 Depth=1
	s_delay_alu instid0(SALU_CYCLE_1) | instskip(SKIP_3) | instid1(VALU_DEP_2)
	s_or_b32 exec_lo, exec_lo, s13
	v_mul_f32_e32 v10, v28, v10
	v_and_b32_e32 v4, 0xffff0000, v4
	s_mov_b32 s13, exec_lo
	v_bfe_u32 v12, v10, 16, 1
	v_cmp_o_f32_e32 vcc_lo, v10, v10
	s_delay_alu instid0(VALU_DEP_2) | instskip(NEXT) | instid1(VALU_DEP_1)
	v_add3_u32 v12, v10, v12, 0x7fff
	v_and_b32_e32 v12, 0xffff0000, v12
	s_delay_alu instid0(VALU_DEP_1) | instskip(NEXT) | instid1(VALU_DEP_1)
	v_cndmask_b32_e32 v10, 0x7fc00000, v12, vcc_lo
	v_mul_f32_e32 v4, v10, v4
	s_delay_alu instid0(VALU_DEP_1) | instskip(SKIP_1) | instid1(VALU_DEP_2)
	v_bfe_u32 v10, v4, 16, 1
	v_cmp_o_f32_e32 vcc_lo, v4, v4
	v_add3_u32 v10, v4, v10, 0x7fff
	s_delay_alu instid0(VALU_DEP_1) | instskip(NEXT) | instid1(VALU_DEP_1)
	v_and_b32_e32 v10, 0xffff0000, v10
	v_cndmask_b32_e32 v4, 0x7fc00000, v10, vcc_lo
	s_delay_alu instid0(VALU_DEP_1) | instskip(NEXT) | instid1(VALU_DEP_1)
	v_div_scale_f32 v10, null, v5, v5, v4
	v_rcp_f32_e32 v12, v10
	s_waitcnt_depctr 0xfff
	v_fma_f32 v13, -v10, v12, 1.0
	s_delay_alu instid0(VALU_DEP_1) | instskip(SKIP_1) | instid1(VALU_DEP_1)
	v_fmac_f32_e32 v12, v13, v12
	v_div_scale_f32 v13, vcc_lo, v4, v5, v4
	v_mul_f32_e32 v14, v13, v12
	s_delay_alu instid0(VALU_DEP_1) | instskip(NEXT) | instid1(VALU_DEP_1)
	v_fma_f32 v15, -v10, v14, v13
	v_fmac_f32_e32 v14, v15, v12
	s_delay_alu instid0(VALU_DEP_1) | instskip(NEXT) | instid1(VALU_DEP_1)
	v_fma_f32 v10, -v10, v14, v13
	v_div_fmas_f32 v10, v10, v12, v14
	s_delay_alu instid0(VALU_DEP_1) | instskip(NEXT) | instid1(VALU_DEP_1)
	v_div_fixup_f32 v4, v10, v5, v4
	v_minmax_f32 v4, v4, s7, 0xc3600000
	s_delay_alu instid0(VALU_DEP_1) | instskip(NEXT) | instid1(VALU_DEP_1)
	v_and_b32_e32 v5, 0x7fffffff, v4
	v_cmpx_gt_u32_e32 0x43800000, v5
	s_cbranch_execz .LBB79_59
; %bb.157:                              ;   in Loop: Header=BB79_63 Depth=1
	v_cmp_lt_u32_e32 vcc_lo, 0x3bffffff, v5
	s_mov_b32 s15, 0
                                        ; implicit-def: $vgpr5
	s_and_saveexec_b32 s16, vcc_lo
	s_delay_alu instid0(SALU_CYCLE_1)
	s_xor_b32 s16, exec_lo, s16
	s_cbranch_execnz .LBB79_190
; %bb.158:                              ;   in Loop: Header=BB79_63 Depth=1
	s_or_saveexec_b32 s16, s16
                                        ; implicit-def: $sgpr17
	s_delay_alu instid0(SALU_CYCLE_1)
	s_xor_b32 exec_lo, exec_lo, s16
	s_cbranch_execnz .LBB79_191
.LBB79_159:                             ;   in Loop: Header=BB79_63 Depth=1
	s_or_b32 exec_lo, exec_lo, s16
	v_mov_b32_e32 v3, s17
	s_and_saveexec_b32 s16, s15
	s_cbranch_execz .LBB79_58
	s_branch .LBB79_192
.LBB79_160:                             ;   in Loop: Header=BB79_63 Depth=1
	v_bfe_u32 v6, v12, 20, 1
	s_mov_b32 s9, exec_lo
	s_delay_alu instid0(VALU_DEP_1) | instskip(NEXT) | instid1(VALU_DEP_1)
	v_add3_u32 v6, v12, v6, 0x487ffff
	v_lshrrev_b32_e32 v13, 20, v6
	s_or_saveexec_b32 s12, s12
                                        ; implicit-def: $sgpr13
	s_delay_alu instid0(SALU_CYCLE_1)
	s_xor_b32 exec_lo, exec_lo, s12
	s_cbranch_execz .LBB79_66
.LBB79_161:                             ;   in Loop: Header=BB79_63 Depth=1
	v_add_f32_e64 v6, 0x46000000, |v12|
	s_and_not1_b32 s9, s9, exec_lo
	s_mov_b32 s13, 0
	s_delay_alu instid0(VALU_DEP_1) | instskip(NEXT) | instid1(VALU_DEP_1)
	v_and_b32_e32 v13, 0xff, v6
	v_cmp_ne_u32_e32 vcc_lo, 0, v13
	s_and_b32 s15, vcc_lo, exec_lo
	s_delay_alu instid0(SALU_CYCLE_1)
	s_or_b32 s9, s9, s15
	s_or_b32 exec_lo, exec_lo, s12
	v_mov_b32_e32 v6, s13
	s_and_saveexec_b32 s12, s9
	s_cbranch_execnz .LBB79_67
	s_branch .LBB79_68
.LBB79_162:                             ;   in Loop: Header=BB79_63 Depth=1
	v_bfe_u32 v5, v11, 20, 1
	s_mov_b32 s9, exec_lo
	s_delay_alu instid0(VALU_DEP_1) | instskip(NEXT) | instid1(VALU_DEP_1)
	v_add3_u32 v5, v11, v5, 0x487ffff
	v_lshrrev_b32_e32 v12, 20, v5
	s_or_saveexec_b32 s12, s12
                                        ; implicit-def: $sgpr13
	s_delay_alu instid0(SALU_CYCLE_1)
	s_xor_b32 exec_lo, exec_lo, s12
	s_cbranch_execz .LBB79_72
.LBB79_163:                             ;   in Loop: Header=BB79_63 Depth=1
	v_add_f32_e64 v5, 0x46000000, |v11|
	s_and_not1_b32 s9, s9, exec_lo
	s_mov_b32 s13, 0
	s_delay_alu instid0(VALU_DEP_1) | instskip(NEXT) | instid1(VALU_DEP_1)
	v_and_b32_e32 v12, 0xff, v5
	v_cmp_ne_u32_e32 vcc_lo, 0, v12
	s_and_b32 s15, vcc_lo, exec_lo
	s_delay_alu instid0(SALU_CYCLE_1)
	s_or_b32 s9, s9, s15
	s_or_b32 exec_lo, exec_lo, s12
	v_mov_b32_e32 v5, s13
	s_and_saveexec_b32 s12, s9
	s_cbranch_execnz .LBB79_73
	s_branch .LBB79_74
.LBB79_164:                             ;   in Loop: Header=BB79_63 Depth=1
	v_bfe_u32 v10, v11, 20, 1
	s_mov_b32 s9, exec_lo
	s_delay_alu instid0(VALU_DEP_1) | instskip(NEXT) | instid1(VALU_DEP_1)
	v_add3_u32 v10, v11, v10, 0x487ffff
	v_lshrrev_b32_e32 v12, 20, v10
	s_or_saveexec_b32 s12, s12
                                        ; implicit-def: $sgpr13
	s_delay_alu instid0(SALU_CYCLE_1)
	s_xor_b32 exec_lo, exec_lo, s12
	s_cbranch_execz .LBB79_78
.LBB79_165:                             ;   in Loop: Header=BB79_63 Depth=1
	v_add_f32_e64 v10, 0x46000000, |v11|
	s_and_not1_b32 s9, s9, exec_lo
	s_mov_b32 s13, 0
	s_delay_alu instid0(VALU_DEP_1) | instskip(NEXT) | instid1(VALU_DEP_1)
	v_and_b32_e32 v12, 0xff, v10
	v_cmp_ne_u32_e32 vcc_lo, 0, v12
	s_and_b32 s15, vcc_lo, exec_lo
	s_delay_alu instid0(SALU_CYCLE_1)
	s_or_b32 s9, s9, s15
	s_or_b32 exec_lo, exec_lo, s12
	v_mov_b32_e32 v10, s13
	s_and_saveexec_b32 s12, s9
	s_cbranch_execnz .LBB79_79
	s_branch .LBB79_80
.LBB79_166:                             ;   in Loop: Header=BB79_63 Depth=1
	v_bfe_u32 v2, v3, 20, 1
	s_mov_b32 s9, exec_lo
	s_delay_alu instid0(VALU_DEP_1) | instskip(NEXT) | instid1(VALU_DEP_1)
	v_add3_u32 v2, v3, v2, 0x487ffff
	v_lshrrev_b32_e32 v4, 20, v2
	s_or_saveexec_b32 s12, s12
                                        ; implicit-def: $sgpr13
	s_delay_alu instid0(SALU_CYCLE_1)
	s_xor_b32 exec_lo, exec_lo, s12
	s_cbranch_execz .LBB79_84
.LBB79_167:                             ;   in Loop: Header=BB79_63 Depth=1
	v_add_f32_e64 v2, 0x46000000, |v3|
	s_and_not1_b32 s9, s9, exec_lo
	s_mov_b32 s13, 0
	s_delay_alu instid0(VALU_DEP_1) | instskip(NEXT) | instid1(VALU_DEP_1)
	v_and_b32_e32 v4, 0xff, v2
	v_cmp_ne_u32_e32 vcc_lo, 0, v4
	s_and_b32 s15, vcc_lo, exec_lo
	s_delay_alu instid0(SALU_CYCLE_1)
	s_or_b32 s9, s9, s15
	s_or_b32 exec_lo, exec_lo, s12
	v_mov_b32_e32 v2, s13
	s_and_saveexec_b32 s12, s9
	s_cbranch_execnz .LBB79_85
	s_branch .LBB79_86
.LBB79_168:                             ;   in Loop: Header=BB79_63 Depth=1
	v_bfe_u32 v10, v14, 20, 1
	s_mov_b32 s12, exec_lo
	s_delay_alu instid0(VALU_DEP_1) | instskip(NEXT) | instid1(VALU_DEP_1)
	v_add3_u32 v10, v14, v10, 0x487ffff
	v_lshrrev_b32_e32 v15, 20, v10
	s_or_saveexec_b32 s13, s13
                                        ; implicit-def: $sgpr15
	s_delay_alu instid0(SALU_CYCLE_1)
	s_xor_b32 exec_lo, exec_lo, s13
	s_cbranch_execz .LBB79_91
.LBB79_169:                             ;   in Loop: Header=BB79_63 Depth=1
	v_add_f32_e64 v10, 0x46000000, |v14|
	s_and_not1_b32 s12, s12, exec_lo
	s_mov_b32 s15, 0
	s_delay_alu instid0(VALU_DEP_1) | instskip(NEXT) | instid1(VALU_DEP_1)
	v_and_b32_e32 v15, 0xff, v10
	v_cmp_ne_u32_e32 vcc_lo, 0, v15
	s_and_b32 s16, vcc_lo, exec_lo
	s_delay_alu instid0(SALU_CYCLE_1)
	s_or_b32 s12, s12, s16
	s_or_b32 exec_lo, exec_lo, s13
	v_mov_b32_e32 v10, s15
	s_and_saveexec_b32 s13, s12
	s_cbranch_execnz .LBB79_92
	s_branch .LBB79_93
.LBB79_170:                             ;   in Loop: Header=BB79_63 Depth=1
	v_bfe_u32 v9, v13, 20, 1
	s_mov_b32 s12, exec_lo
	s_delay_alu instid0(VALU_DEP_1) | instskip(NEXT) | instid1(VALU_DEP_1)
	v_add3_u32 v9, v13, v9, 0x487ffff
	v_lshrrev_b32_e32 v14, 20, v9
	s_or_saveexec_b32 s13, s13
                                        ; implicit-def: $sgpr15
	s_delay_alu instid0(SALU_CYCLE_1)
	s_xor_b32 exec_lo, exec_lo, s13
	s_cbranch_execz .LBB79_97
.LBB79_171:                             ;   in Loop: Header=BB79_63 Depth=1
	v_add_f32_e64 v9, 0x46000000, |v13|
	s_and_not1_b32 s12, s12, exec_lo
	s_mov_b32 s15, 0
	s_delay_alu instid0(VALU_DEP_1) | instskip(NEXT) | instid1(VALU_DEP_1)
	v_and_b32_e32 v14, 0xff, v9
	v_cmp_ne_u32_e32 vcc_lo, 0, v14
	s_and_b32 s16, vcc_lo, exec_lo
	s_delay_alu instid0(SALU_CYCLE_1)
	s_or_b32 s12, s12, s16
	s_or_b32 exec_lo, exec_lo, s13
	v_mov_b32_e32 v9, s15
	s_and_saveexec_b32 s13, s12
	s_cbranch_execnz .LBB79_98
	s_branch .LBB79_99
.LBB79_172:                             ;   in Loop: Header=BB79_63 Depth=1
	v_bfe_u32 v12, v13, 20, 1
	s_mov_b32 s12, exec_lo
	s_delay_alu instid0(VALU_DEP_1) | instskip(NEXT) | instid1(VALU_DEP_1)
	v_add3_u32 v12, v13, v12, 0x487ffff
	v_lshrrev_b32_e32 v14, 20, v12
	s_or_saveexec_b32 s13, s13
                                        ; implicit-def: $sgpr15
	s_delay_alu instid0(SALU_CYCLE_1)
	s_xor_b32 exec_lo, exec_lo, s13
	s_cbranch_execz .LBB79_103
.LBB79_173:                             ;   in Loop: Header=BB79_63 Depth=1
	v_add_f32_e64 v12, 0x46000000, |v13|
	s_and_not1_b32 s12, s12, exec_lo
	s_mov_b32 s15, 0
	s_delay_alu instid0(VALU_DEP_1) | instskip(NEXT) | instid1(VALU_DEP_1)
	v_and_b32_e32 v14, 0xff, v12
	v_cmp_ne_u32_e32 vcc_lo, 0, v14
	s_and_b32 s16, vcc_lo, exec_lo
	s_delay_alu instid0(SALU_CYCLE_1)
	s_or_b32 s12, s12, s16
	s_or_b32 exec_lo, exec_lo, s13
	v_mov_b32_e32 v12, s15
	s_and_saveexec_b32 s13, s12
	s_cbranch_execnz .LBB79_104
	s_branch .LBB79_105
.LBB79_174:                             ;   in Loop: Header=BB79_63 Depth=1
	v_bfe_u32 v4, v5, 20, 1
	s_mov_b32 s12, exec_lo
	s_delay_alu instid0(VALU_DEP_1) | instskip(NEXT) | instid1(VALU_DEP_1)
	v_add3_u32 v4, v5, v4, 0x487ffff
	v_lshrrev_b32_e32 v6, 20, v4
	s_or_saveexec_b32 s13, s13
                                        ; implicit-def: $sgpr15
	s_delay_alu instid0(SALU_CYCLE_1)
	s_xor_b32 exec_lo, exec_lo, s13
	s_cbranch_execz .LBB79_109
.LBB79_175:                             ;   in Loop: Header=BB79_63 Depth=1
	v_add_f32_e64 v4, 0x46000000, |v5|
	s_and_not1_b32 s12, s12, exec_lo
	s_mov_b32 s15, 0
	s_delay_alu instid0(VALU_DEP_1) | instskip(NEXT) | instid1(VALU_DEP_1)
	v_and_b32_e32 v6, 0xff, v4
	v_cmp_ne_u32_e32 vcc_lo, 0, v6
	s_and_b32 s16, vcc_lo, exec_lo
	s_delay_alu instid0(SALU_CYCLE_1)
	s_or_b32 s12, s12, s16
	s_or_b32 exec_lo, exec_lo, s13
	v_mov_b32_e32 v4, s15
	s_and_saveexec_b32 s13, s12
	s_cbranch_execnz .LBB79_110
	s_branch .LBB79_111
.LBB79_176:                             ;   in Loop: Header=BB79_63 Depth=1
	v_bfe_u32 v11, v15, 20, 1
	s_mov_b32 s13, exec_lo
	s_delay_alu instid0(VALU_DEP_1) | instskip(NEXT) | instid1(VALU_DEP_1)
	v_add3_u32 v11, v15, v11, 0x487ffff
	v_lshrrev_b32_e32 v16, 20, v11
	s_or_saveexec_b32 s15, s15
                                        ; implicit-def: $sgpr16
	s_delay_alu instid0(SALU_CYCLE_1)
	s_xor_b32 exec_lo, exec_lo, s15
	s_cbranch_execz .LBB79_116
.LBB79_177:                             ;   in Loop: Header=BB79_63 Depth=1
	v_add_f32_e64 v11, 0x46000000, |v15|
	s_and_not1_b32 s13, s13, exec_lo
	s_mov_b32 s16, 0
	s_delay_alu instid0(VALU_DEP_1) | instskip(NEXT) | instid1(VALU_DEP_1)
	v_and_b32_e32 v16, 0xff, v11
	v_cmp_ne_u32_e32 vcc_lo, 0, v16
	s_and_b32 s17, vcc_lo, exec_lo
	s_delay_alu instid0(SALU_CYCLE_1)
	s_or_b32 s13, s13, s17
	s_or_b32 exec_lo, exec_lo, s15
	v_mov_b32_e32 v11, s16
	s_and_saveexec_b32 s15, s13
	s_cbranch_execnz .LBB79_117
	s_branch .LBB79_118
.LBB79_178:                             ;   in Loop: Header=BB79_63 Depth=1
	v_bfe_u32 v10, v14, 20, 1
	s_mov_b32 s13, exec_lo
	s_delay_alu instid0(VALU_DEP_1) | instskip(NEXT) | instid1(VALU_DEP_1)
	v_add3_u32 v10, v14, v10, 0x487ffff
	v_lshrrev_b32_e32 v15, 20, v10
	s_or_saveexec_b32 s15, s15
                                        ; implicit-def: $sgpr16
	s_delay_alu instid0(SALU_CYCLE_1)
	s_xor_b32 exec_lo, exec_lo, s15
	s_cbranch_execz .LBB79_122
.LBB79_179:                             ;   in Loop: Header=BB79_63 Depth=1
	v_add_f32_e64 v10, 0x46000000, |v14|
	s_and_not1_b32 s13, s13, exec_lo
	s_mov_b32 s16, 0
	s_delay_alu instid0(VALU_DEP_1) | instskip(NEXT) | instid1(VALU_DEP_1)
	v_and_b32_e32 v15, 0xff, v10
	v_cmp_ne_u32_e32 vcc_lo, 0, v15
	s_and_b32 s17, vcc_lo, exec_lo
	s_delay_alu instid0(SALU_CYCLE_1)
	s_or_b32 s13, s13, s17
	s_or_b32 exec_lo, exec_lo, s15
	v_mov_b32_e32 v10, s16
	s_and_saveexec_b32 s15, s13
	s_cbranch_execnz .LBB79_123
	s_branch .LBB79_124
.LBB79_180:                             ;   in Loop: Header=BB79_63 Depth=1
	v_bfe_u32 v13, v14, 20, 1
	s_mov_b32 s13, exec_lo
	s_delay_alu instid0(VALU_DEP_1) | instskip(NEXT) | instid1(VALU_DEP_1)
	v_add3_u32 v13, v14, v13, 0x487ffff
	v_lshrrev_b32_e32 v15, 20, v13
	s_or_saveexec_b32 s15, s15
                                        ; implicit-def: $sgpr16
	s_delay_alu instid0(SALU_CYCLE_1)
	s_xor_b32 exec_lo, exec_lo, s15
	s_cbranch_execz .LBB79_128
.LBB79_181:                             ;   in Loop: Header=BB79_63 Depth=1
	v_add_f32_e64 v13, 0x46000000, |v14|
	s_and_not1_b32 s13, s13, exec_lo
	s_mov_b32 s16, 0
	s_delay_alu instid0(VALU_DEP_1) | instskip(NEXT) | instid1(VALU_DEP_1)
	v_and_b32_e32 v15, 0xff, v13
	v_cmp_ne_u32_e32 vcc_lo, 0, v15
	s_and_b32 s17, vcc_lo, exec_lo
	s_delay_alu instid0(SALU_CYCLE_1)
	s_or_b32 s13, s13, s17
	s_or_b32 exec_lo, exec_lo, s15
	v_mov_b32_e32 v13, s16
	s_and_saveexec_b32 s15, s13
	s_cbranch_execnz .LBB79_129
	s_branch .LBB79_130
.LBB79_182:                             ;   in Loop: Header=BB79_63 Depth=1
	v_bfe_u32 v5, v6, 20, 1
	s_mov_b32 s13, exec_lo
	s_delay_alu instid0(VALU_DEP_1) | instskip(NEXT) | instid1(VALU_DEP_1)
	v_add3_u32 v5, v6, v5, 0x487ffff
	v_lshrrev_b32_e32 v9, 20, v5
	s_or_saveexec_b32 s15, s15
                                        ; implicit-def: $sgpr16
	s_delay_alu instid0(SALU_CYCLE_1)
	s_xor_b32 exec_lo, exec_lo, s15
	s_cbranch_execz .LBB79_134
.LBB79_183:                             ;   in Loop: Header=BB79_63 Depth=1
	v_add_f32_e64 v5, 0x46000000, |v6|
	s_and_not1_b32 s13, s13, exec_lo
	s_mov_b32 s16, 0
	s_delay_alu instid0(VALU_DEP_1) | instskip(NEXT) | instid1(VALU_DEP_1)
	v_and_b32_e32 v9, 0xff, v5
	v_cmp_ne_u32_e32 vcc_lo, 0, v9
	s_and_b32 s17, vcc_lo, exec_lo
	s_delay_alu instid0(SALU_CYCLE_1)
	s_or_b32 s13, s13, s17
	s_or_b32 exec_lo, exec_lo, s15
	v_mov_b32_e32 v5, s16
	s_and_saveexec_b32 s15, s13
	s_cbranch_execnz .LBB79_135
	s_branch .LBB79_136
.LBB79_184:                             ;   in Loop: Header=BB79_63 Depth=1
	v_bfe_u32 v6, v13, 20, 1
	s_mov_b32 s15, exec_lo
	s_delay_alu instid0(VALU_DEP_1) | instskip(NEXT) | instid1(VALU_DEP_1)
	v_add3_u32 v6, v13, v6, 0x487ffff
	v_lshrrev_b32_e32 v14, 20, v6
	s_or_saveexec_b32 s16, s16
                                        ; implicit-def: $sgpr17
	s_delay_alu instid0(SALU_CYCLE_1)
	s_xor_b32 exec_lo, exec_lo, s16
	s_cbranch_execz .LBB79_141
.LBB79_185:                             ;   in Loop: Header=BB79_63 Depth=1
	v_add_f32_e64 v6, 0x46000000, |v13|
	s_and_not1_b32 s15, s15, exec_lo
	s_mov_b32 s17, 0
	s_delay_alu instid0(VALU_DEP_1) | instskip(NEXT) | instid1(VALU_DEP_1)
	v_and_b32_e32 v14, 0xff, v6
	v_cmp_ne_u32_e32 vcc_lo, 0, v14
	s_and_b32 s18, vcc_lo, exec_lo
	s_delay_alu instid0(SALU_CYCLE_1)
	s_or_b32 s15, s15, s18
	s_or_b32 exec_lo, exec_lo, s16
	v_mov_b32_e32 v6, s17
	s_and_saveexec_b32 s16, s15
	s_cbranch_execnz .LBB79_142
	s_branch .LBB79_143
.LBB79_186:                             ;   in Loop: Header=BB79_63 Depth=1
	v_bfe_u32 v9, v12, 20, 1
	s_mov_b32 s15, exec_lo
	s_delay_alu instid0(VALU_DEP_1) | instskip(NEXT) | instid1(VALU_DEP_1)
	v_add3_u32 v9, v12, v9, 0x487ffff
	v_lshrrev_b32_e32 v13, 20, v9
	s_or_saveexec_b32 s16, s16
                                        ; implicit-def: $sgpr17
	s_delay_alu instid0(SALU_CYCLE_1)
	s_xor_b32 exec_lo, exec_lo, s16
	s_cbranch_execz .LBB79_147
.LBB79_187:                             ;   in Loop: Header=BB79_63 Depth=1
	v_add_f32_e64 v9, 0x46000000, |v12|
	s_and_not1_b32 s15, s15, exec_lo
	s_mov_b32 s17, 0
	s_delay_alu instid0(VALU_DEP_1) | instskip(NEXT) | instid1(VALU_DEP_1)
	v_and_b32_e32 v13, 0xff, v9
	v_cmp_ne_u32_e32 vcc_lo, 0, v13
	s_and_b32 s18, vcc_lo, exec_lo
	s_delay_alu instid0(SALU_CYCLE_1)
	s_or_b32 s15, s15, s18
	s_or_b32 exec_lo, exec_lo, s16
	v_mov_b32_e32 v9, s17
	s_and_saveexec_b32 s16, s15
	s_cbranch_execnz .LBB79_148
	s_branch .LBB79_149
.LBB79_188:                             ;   in Loop: Header=BB79_63 Depth=1
	v_bfe_u32 v11, v12, 20, 1
	s_mov_b32 s15, exec_lo
	s_delay_alu instid0(VALU_DEP_1) | instskip(NEXT) | instid1(VALU_DEP_1)
	v_add3_u32 v11, v12, v11, 0x487ffff
	v_lshrrev_b32_e32 v13, 20, v11
	s_or_saveexec_b32 s16, s16
                                        ; implicit-def: $sgpr17
	s_delay_alu instid0(SALU_CYCLE_1)
	s_xor_b32 exec_lo, exec_lo, s16
	s_cbranch_execz .LBB79_153
.LBB79_189:                             ;   in Loop: Header=BB79_63 Depth=1
	v_add_f32_e64 v11, 0x46000000, |v12|
	s_and_not1_b32 s15, s15, exec_lo
	s_mov_b32 s17, 0
	s_delay_alu instid0(VALU_DEP_1) | instskip(NEXT) | instid1(VALU_DEP_1)
	v_and_b32_e32 v13, 0xff, v11
	v_cmp_ne_u32_e32 vcc_lo, 0, v13
	s_and_b32 s18, vcc_lo, exec_lo
	s_delay_alu instid0(SALU_CYCLE_1)
	s_or_b32 s15, s15, s18
	s_or_b32 exec_lo, exec_lo, s16
	v_mov_b32_e32 v11, s17
	s_and_saveexec_b32 s16, s15
	s_cbranch_execnz .LBB79_154
	s_branch .LBB79_155
.LBB79_190:                             ;   in Loop: Header=BB79_63 Depth=1
	v_bfe_u32 v3, v4, 20, 1
	s_mov_b32 s15, exec_lo
	s_delay_alu instid0(VALU_DEP_1) | instskip(NEXT) | instid1(VALU_DEP_1)
	v_add3_u32 v3, v4, v3, 0x487ffff
	v_lshrrev_b32_e32 v5, 20, v3
	s_or_saveexec_b32 s16, s16
                                        ; implicit-def: $sgpr17
	s_delay_alu instid0(SALU_CYCLE_1)
	s_xor_b32 exec_lo, exec_lo, s16
	s_cbranch_execz .LBB79_159
.LBB79_191:                             ;   in Loop: Header=BB79_63 Depth=1
	v_add_f32_e64 v3, 0x46000000, |v4|
	s_and_not1_b32 s15, s15, exec_lo
	s_mov_b32 s17, 0
	s_delay_alu instid0(VALU_DEP_1) | instskip(NEXT) | instid1(VALU_DEP_1)
	v_and_b32_e32 v5, 0xff, v3
	v_cmp_ne_u32_e32 vcc_lo, 0, v5
	s_and_b32 s18, vcc_lo, exec_lo
	s_delay_alu instid0(SALU_CYCLE_1)
	s_or_b32 s15, s15, s18
	s_or_b32 exec_lo, exec_lo, s16
	v_mov_b32_e32 v3, s17
	s_and_saveexec_b32 s16, s15
	s_cbranch_execz .LBB79_58
.LBB79_192:                             ;   in Loop: Header=BB79_63 Depth=1
	v_lshrrev_b32_e32 v3, 24, v4
	s_delay_alu instid0(VALU_DEP_1)
	v_and_or_b32 v3, 0x80, v3, v5
	s_branch .LBB79_58
.LBB79_193:
	s_nop 0
	s_sendmsg sendmsg(MSG_DEALLOC_VGPRS)
	s_endpgm
.LBB79_194:
                                        ; implicit-def: $vgpr3_vgpr4
	s_branch .LBB79_51
.LBB79_195:
                                        ; implicit-def: $vgpr1_vgpr2
	s_branch .LBB79_56
	.section	.rodata,"a",@progbits
	.p2align	6, 0x0
	.amdhsa_kernel _ZN4vllm31rms_norm_per_block_quant_kernelIN3c108BFloat16ENS1_15Float8_e4m3fnuzELb1ELb1ELi64EEEvPT0_PfPKT_S9_PKffiiPS7_l
		.amdhsa_group_segment_fixed_size 4228
		.amdhsa_private_segment_fixed_size 0
		.amdhsa_kernarg_size 328
		.amdhsa_user_sgpr_count 15
		.amdhsa_user_sgpr_dispatch_ptr 0
		.amdhsa_user_sgpr_queue_ptr 0
		.amdhsa_user_sgpr_kernarg_segment_ptr 1
		.amdhsa_user_sgpr_dispatch_id 0
		.amdhsa_user_sgpr_private_segment_size 0
		.amdhsa_wavefront_size32 1
		.amdhsa_uses_dynamic_stack 0
		.amdhsa_enable_private_segment 0
		.amdhsa_system_sgpr_workgroup_id_x 1
		.amdhsa_system_sgpr_workgroup_id_y 0
		.amdhsa_system_sgpr_workgroup_id_z 0
		.amdhsa_system_sgpr_workgroup_info 0
		.amdhsa_system_vgpr_workitem_id 0
		.amdhsa_next_free_vgpr 54
		.amdhsa_next_free_sgpr 43
		.amdhsa_reserve_vcc 1
		.amdhsa_float_round_mode_32 0
		.amdhsa_float_round_mode_16_64 0
		.amdhsa_float_denorm_mode_32 3
		.amdhsa_float_denorm_mode_16_64 3
		.amdhsa_dx10_clamp 1
		.amdhsa_ieee_mode 1
		.amdhsa_fp16_overflow 0
		.amdhsa_workgroup_processor_mode 1
		.amdhsa_memory_ordered 1
		.amdhsa_forward_progress 0
		.amdhsa_shared_vgpr_count 0
		.amdhsa_exception_fp_ieee_invalid_op 0
		.amdhsa_exception_fp_denorm_src 0
		.amdhsa_exception_fp_ieee_div_zero 0
		.amdhsa_exception_fp_ieee_overflow 0
		.amdhsa_exception_fp_ieee_underflow 0
		.amdhsa_exception_fp_ieee_inexact 0
		.amdhsa_exception_int_div_zero 0
	.end_amdhsa_kernel
	.section	.text._ZN4vllm31rms_norm_per_block_quant_kernelIN3c108BFloat16ENS1_15Float8_e4m3fnuzELb1ELb1ELi64EEEvPT0_PfPKT_S9_PKffiiPS7_l,"axG",@progbits,_ZN4vllm31rms_norm_per_block_quant_kernelIN3c108BFloat16ENS1_15Float8_e4m3fnuzELb1ELb1ELi64EEEvPT0_PfPKT_S9_PKffiiPS7_l,comdat
.Lfunc_end79:
	.size	_ZN4vllm31rms_norm_per_block_quant_kernelIN3c108BFloat16ENS1_15Float8_e4m3fnuzELb1ELb1ELi64EEEvPT0_PfPKT_S9_PKffiiPS7_l, .Lfunc_end79-_ZN4vllm31rms_norm_per_block_quant_kernelIN3c108BFloat16ENS1_15Float8_e4m3fnuzELb1ELb1ELi64EEEvPT0_PfPKT_S9_PKffiiPS7_l
                                        ; -- End function
	.section	.AMDGPU.csdata,"",@progbits
; Kernel info:
; codeLenInByte = 18356
; NumSgprs: 45
; NumVgprs: 54
; ScratchSize: 0
; MemoryBound: 0
; FloatMode: 240
; IeeeMode: 1
; LDSByteSize: 4228 bytes/workgroup (compile time only)
; SGPRBlocks: 5
; VGPRBlocks: 6
; NumSGPRsForWavesPerEU: 45
; NumVGPRsForWavesPerEU: 54
; Occupancy: 16
; WaveLimiterHint : 0
; COMPUTE_PGM_RSRC2:SCRATCH_EN: 0
; COMPUTE_PGM_RSRC2:USER_SGPR: 15
; COMPUTE_PGM_RSRC2:TRAP_HANDLER: 0
; COMPUTE_PGM_RSRC2:TGID_X_EN: 1
; COMPUTE_PGM_RSRC2:TGID_Y_EN: 0
; COMPUTE_PGM_RSRC2:TGID_Z_EN: 0
; COMPUTE_PGM_RSRC2:TIDIG_COMP_CNT: 0
	.section	.text._ZN4vllm31rms_norm_per_block_quant_kernelIN3c108BFloat16EaLb1ELb1ELi64EEEvPT0_PfPKT_S8_PKffiiPS6_l,"axG",@progbits,_ZN4vllm31rms_norm_per_block_quant_kernelIN3c108BFloat16EaLb1ELb1ELi64EEEvPT0_PfPKT_S8_PKffiiPS6_l,comdat
	.protected	_ZN4vllm31rms_norm_per_block_quant_kernelIN3c108BFloat16EaLb1ELb1ELi64EEEvPT0_PfPKT_S8_PKffiiPS6_l ; -- Begin function _ZN4vllm31rms_norm_per_block_quant_kernelIN3c108BFloat16EaLb1ELb1ELi64EEEvPT0_PfPKT_S8_PKffiiPS6_l
	.globl	_ZN4vllm31rms_norm_per_block_quant_kernelIN3c108BFloat16EaLb1ELb1ELi64EEEvPT0_PfPKT_S8_PKffiiPS6_l
	.p2align	8
	.type	_ZN4vllm31rms_norm_per_block_quant_kernelIN3c108BFloat16EaLb1ELb1ELi64EEEvPT0_PfPKT_S8_PKffiiPS6_l,@function
_ZN4vllm31rms_norm_per_block_quant_kernelIN3c108BFloat16EaLb1ELb1ELi64EEEvPT0_PfPKT_S8_PKffiiPS6_l: ; @_ZN4vllm31rms_norm_per_block_quant_kernelIN3c108BFloat16EaLb1ELb1ELi64EEEvPT0_PfPKT_S8_PKffiiPS6_l
; %bb.0:
	s_mov_b32 s16, s15
	s_clause 0x3
	s_load_b128 s[12:15], s[0:1], 0x28
	s_load_b256 s[4:11], s[0:1], 0x0
	s_load_b64 s[26:27], s[0:1], 0x38
	s_load_b32 s36, s[0:1], 0x48
	v_mov_b32_e32 v6, 0
	s_mov_b32 s17, 0
	s_waitcnt lgkmcnt(0)
	s_ashr_i32 s3, s14, 31
	s_mul_hi_u32 s15, s14, s16
	s_mul_i32 s3, s3, s16
	s_ashr_i32 s21, s13, 31
	s_mul_i32 s2, s14, s16
	s_add_i32 s3, s15, s3
	s_mul_hi_u32 s14, s13, s16
	s_mul_i32 s15, s21, s16
	s_lshl_b64 s[24:25], s[2:3], 1
	s_mul_i32 s18, s13, s16
	s_add_i32 s19, s14, s15
	s_add_u32 s30, s8, s24
	s_addc_u32 s31, s9, s25
	s_lshl_b64 s[28:29], s[18:19], 1
	s_mov_b32 s20, s13
	s_add_u32 s33, s26, s28
	s_addc_u32 s34, s27, s29
	s_ashr_i32 s14, s13, 2
	s_add_u32 s22, s0, 0x48
	v_cmp_gt_u32_e64 s2, s14, v0
	s_addc_u32 s23, s1, 0
	s_delay_alu instid0(VALU_DEP_1)
	s_and_saveexec_b32 s3, s2
	s_cbranch_execz .LBB80_10
; %bb.1:
	s_cmp_lt_u32 s16, s36
	v_mov_b32_e32 v2, 0
	s_cselect_b32 s13, 12, 18
                                        ; implicit-def: $sgpr15
	v_mov_b32_e32 v1, v0
	s_add_u32 s38, s22, s13
	s_addc_u32 s39, s23, 0
	s_mov_b32 s13, s17
	global_load_u16 v7, v2, s[38:39]
	s_waitcnt vmcnt(0)
	v_lshlrev_b32_e32 v9, 1, v7
	v_mul_lo_u32 v8, v7, 3
	v_add_nc_u32_e32 v10, v7, v7
	v_mov_b32_e32 v6, v2
	s_branch .LBB80_5
.LBB80_2:                               ;   in Loop: Header=BB80_5 Depth=1
	s_or_b32 exec_lo, exec_lo, s38
	s_delay_alu instid0(SALU_CYCLE_1)
	s_or_not1_b32 s38, s39, exec_lo
.LBB80_3:                               ;   in Loop: Header=BB80_5 Depth=1
	s_or_b32 exec_lo, exec_lo, s37
	s_delay_alu instid0(SALU_CYCLE_1) | instskip(SKIP_1) | instid1(SALU_CYCLE_1)
	s_and_not1_b32 s15, s15, exec_lo
	s_and_b32 s37, s38, exec_lo
	s_or_b32 s15, s15, s37
.LBB80_4:                               ;   in Loop: Header=BB80_5 Depth=1
	s_or_b32 exec_lo, exec_lo, s35
	s_delay_alu instid0(SALU_CYCLE_1) | instskip(NEXT) | instid1(SALU_CYCLE_1)
	s_and_b32 s35, exec_lo, s15
	s_or_b32 s13, s35, s13
	s_delay_alu instid0(SALU_CYCLE_1)
	s_and_not1_b32 exec_lo, exec_lo, s13
	s_cbranch_execz .LBB80_9
.LBB80_5:                               ; =>This Inner Loop Header: Depth=1
	v_lshlrev_b64 v[3:4], 3, v[1:2]
	s_or_b32 s15, s15, exec_lo
	s_mov_b32 s35, exec_lo
	s_delay_alu instid0(VALU_DEP_1) | instskip(NEXT) | instid1(VALU_DEP_2)
	v_add_co_u32 v11, vcc_lo, s30, v3
	v_add_co_ci_u32_e32 v12, vcc_lo, s31, v4, vcc_lo
	v_add_co_u32 v3, vcc_lo, s33, v3
	v_add_co_ci_u32_e32 v4, vcc_lo, s34, v4, vcc_lo
	global_load_b64 v[11:12], v[11:12], off
	global_load_b64 v[3:4], v[3:4], off
	s_waitcnt vmcnt(1)
	v_lshlrev_b32_e32 v5, 16, v11
	s_waitcnt vmcnt(0)
	v_lshlrev_b32_e32 v13, 16, v3
	v_and_b32_e32 v14, 0xffff0000, v11
	v_alignbit_b32 v11, v12, v11, 16
	s_delay_alu instid0(VALU_DEP_3) | instskip(NEXT) | instid1(VALU_DEP_1)
	v_add_f32_e32 v5, v5, v13
	v_dual_fmac_f32 v6, v5, v5 :: v_dual_and_b32 v5, 0xffff0000, v12
	v_and_b32_e32 v15, 0xffff0000, v3
	v_alignbit_b32 v3, v4, v3, 16
	s_delay_alu instid0(VALU_DEP_1) | instskip(SKIP_1) | instid1(VALU_DEP_1)
	v_and_b32_e32 v3, 0xffff0000, v3
	v_and_b32_e32 v4, 0xffff0000, v4
	v_dual_add_f32 v4, v5, v4 :: v_dual_and_b32 v11, 0xffff0000, v11
	v_add_f32_e32 v13, v14, v15
	s_delay_alu instid0(VALU_DEP_1) | instskip(NEXT) | instid1(VALU_DEP_1)
	v_dual_add_f32 v3, v11, v3 :: v_dual_fmac_f32 v6, v13, v13
	v_fmac_f32_e32 v6, v3, v3
	s_delay_alu instid0(VALU_DEP_1) | instskip(NEXT) | instid1(VALU_DEP_1)
	v_dual_fmac_f32 v6, v4, v4 :: v_dual_add_nc_u32 v3, v1, v7
	v_cmpx_gt_u32_e64 s14, v3
	s_cbranch_execz .LBB80_4
; %bb.6:                                ;   in Loop: Header=BB80_5 Depth=1
	v_mov_b32_e32 v4, v2
	s_mov_b32 s38, -1
	s_mov_b32 s37, exec_lo
	s_delay_alu instid0(VALU_DEP_1) | instskip(NEXT) | instid1(VALU_DEP_1)
	v_lshlrev_b64 v[4:5], 3, v[3:4]
	v_add_co_u32 v11, vcc_lo, s30, v4
	s_delay_alu instid0(VALU_DEP_2)
	v_add_co_ci_u32_e32 v12, vcc_lo, s31, v5, vcc_lo
	v_add_co_u32 v4, vcc_lo, s33, v4
	v_add_co_ci_u32_e32 v5, vcc_lo, s34, v5, vcc_lo
	global_load_b64 v[11:12], v[11:12], off
	global_load_b64 v[4:5], v[4:5], off
	s_waitcnt vmcnt(1)
	v_lshlrev_b32_e32 v13, 16, v11
	v_and_b32_e32 v15, 0xffff0000, v11
	v_alignbit_b32 v11, v12, v11, 16
	v_and_b32_e32 v12, 0xffff0000, v12
	s_waitcnt vmcnt(0)
	v_lshlrev_b32_e32 v14, 16, v4
	v_and_b32_e32 v16, 0xffff0000, v4
	v_alignbit_b32 v4, v5, v4, 16
	s_delay_alu instid0(VALU_DEP_1) | instskip(SKIP_1) | instid1(VALU_DEP_1)
	v_and_b32_e32 v4, 0xffff0000, v4
	v_and_b32_e32 v5, 0xffff0000, v5
	v_add_f32_e32 v5, v12, v5
	v_add_f32_e32 v13, v13, v14
	s_delay_alu instid0(VALU_DEP_1) | instskip(SKIP_1) | instid1(VALU_DEP_2)
	v_dual_fmac_f32 v6, v13, v13 :: v_dual_and_b32 v11, 0xffff0000, v11
	v_add_f32_e32 v14, v15, v16
	v_add_f32_e32 v4, v11, v4
	s_delay_alu instid0(VALU_DEP_2) | instskip(NEXT) | instid1(VALU_DEP_1)
	v_fmac_f32_e32 v6, v14, v14
	v_fmac_f32_e32 v6, v4, v4
	v_add_nc_u32_e32 v4, v9, v1
	s_delay_alu instid0(VALU_DEP_2) | instskip(NEXT) | instid1(VALU_DEP_2)
	v_fmac_f32_e32 v6, v5, v5
	v_cmpx_gt_u32_e64 s14, v4
	s_cbranch_execz .LBB80_3
; %bb.7:                                ;   in Loop: Header=BB80_5 Depth=1
	v_mov_b32_e32 v5, v2
	v_add_nc_u32_e32 v1, v8, v1
	s_mov_b32 s39, -1
	s_mov_b32 s38, exec_lo
	s_delay_alu instid0(VALU_DEP_2) | instskip(NEXT) | instid1(VALU_DEP_1)
	v_lshlrev_b64 v[4:5], 3, v[4:5]
	v_add_co_u32 v11, vcc_lo, s30, v4
	s_delay_alu instid0(VALU_DEP_2)
	v_add_co_ci_u32_e32 v12, vcc_lo, s31, v5, vcc_lo
	v_add_co_u32 v4, vcc_lo, s33, v4
	v_add_co_ci_u32_e32 v5, vcc_lo, s34, v5, vcc_lo
	global_load_b64 v[11:12], v[11:12], off
	global_load_b64 v[4:5], v[4:5], off
	s_waitcnt vmcnt(1)
	v_and_b32_e32 v15, 0xffff0000, v11
	s_waitcnt vmcnt(0)
	v_lshlrev_b32_e32 v14, 16, v4
	v_and_b32_e32 v16, 0xffff0000, v4
	v_lshlrev_b32_e32 v13, 16, v11
	v_alignbit_b32 v11, v12, v11, 16
	v_alignbit_b32 v4, v5, v4, 16
	s_delay_alu instid0(VALU_DEP_3) | instskip(NEXT) | instid1(VALU_DEP_1)
	v_dual_add_f32 v13, v13, v14 :: v_dual_and_b32 v12, 0xffff0000, v12
	v_fmac_f32_e32 v6, v13, v13
	s_delay_alu instid0(VALU_DEP_4) | instskip(NEXT) | instid1(VALU_DEP_1)
	v_dual_add_f32 v14, v15, v16 :: v_dual_and_b32 v11, 0xffff0000, v11
	v_dual_fmac_f32 v6, v14, v14 :: v_dual_and_b32 v5, 0xffff0000, v5
	s_delay_alu instid0(VALU_DEP_1) | instskip(NEXT) | instid1(VALU_DEP_1)
	v_dual_add_f32 v5, v12, v5 :: v_dual_and_b32 v4, 0xffff0000, v4
	v_add_f32_e32 v4, v11, v4
	s_delay_alu instid0(VALU_DEP_1) | instskip(NEXT) | instid1(VALU_DEP_1)
	v_fmac_f32_e32 v6, v4, v4
	v_fmac_f32_e32 v6, v5, v5
	v_cmpx_gt_u32_e64 s14, v1
	s_xor_b32 s38, exec_lo, s38
	s_cbranch_execz .LBB80_2
; %bb.8:                                ;   in Loop: Header=BB80_5 Depth=1
	v_lshlrev_b64 v[4:5], 3, v[1:2]
	s_delay_alu instid0(VALU_DEP_1) | instskip(NEXT) | instid1(VALU_DEP_2)
	v_add_co_u32 v11, vcc_lo, s30, v4
	v_add_co_ci_u32_e32 v12, vcc_lo, s31, v5, vcc_lo
	v_add_co_u32 v4, vcc_lo, s33, v4
	v_add_co_ci_u32_e32 v5, vcc_lo, s34, v5, vcc_lo
	global_load_b64 v[11:12], v[11:12], off
	global_load_b64 v[4:5], v[4:5], off
	s_waitcnt vmcnt(0)
	v_lshlrev_b32_e32 v13, 16, v4
	v_and_b32_e32 v14, 0xffff0000, v11
	v_alignbit_b32 v15, v5, v4, 16
	v_and_b32_e32 v4, 0xffff0000, v4
	v_lshlrev_b32_e32 v1, 16, v11
	v_alignbit_b32 v11, v12, v11, 16
	v_and_b32_e32 v12, 0xffff0000, v12
	s_delay_alu instid0(VALU_DEP_3) | instskip(NEXT) | instid1(VALU_DEP_1)
	v_dual_add_f32 v4, v14, v4 :: v_dual_add_f32 v1, v1, v13
	v_dual_fmac_f32 v6, v1, v1 :: v_dual_and_b32 v13, 0xffff0000, v15
	s_delay_alu instid0(VALU_DEP_4) | instskip(SKIP_1) | instid1(VALU_DEP_2)
	v_and_b32_e32 v11, 0xffff0000, v11
	v_add3_u32 v1, v10, v7, v3
	v_dual_fmac_f32 v6, v4, v4 :: v_dual_add_f32 v11, v11, v13
	v_and_b32_e32 v5, 0xffff0000, v5
	s_delay_alu instid0(VALU_DEP_3) | instskip(NEXT) | instid1(VALU_DEP_2)
	v_cmp_le_u32_e32 vcc_lo, s14, v1
	v_dual_fmac_f32 v6, v11, v11 :: v_dual_add_f32 v3, v12, v5
	s_or_not1_b32 s39, vcc_lo, exec_lo
	s_delay_alu instid0(VALU_DEP_1)
	v_fmac_f32_e32 v6, v3, v3
	s_branch .LBB80_2
.LBB80_9:
	s_or_b32 exec_lo, exec_lo, s13
.LBB80_10:
	s_delay_alu instid0(SALU_CYCLE_1) | instskip(SKIP_4) | instid1(VALU_DEP_2)
	s_or_b32 exec_lo, exec_lo, s3
	v_mbcnt_lo_u32_b32 v1, -1, 0
	s_load_b32 s3, s[22:23], 0xc
	v_and_b32_e32 v7, 0x3e0, v0
	s_mov_b32 s13, exec_lo
	v_cmp_ne_u32_e32 vcc_lo, 31, v1
	v_add_nc_u32_e32 v3, 1, v1
	v_add_co_ci_u32_e32 v2, vcc_lo, 0, v1, vcc_lo
	v_cmp_gt_u32_e32 vcc_lo, 30, v1
	s_delay_alu instid0(VALU_DEP_2)
	v_lshlrev_b32_e32 v2, 2, v2
	v_cndmask_b32_e64 v5, 0, 1, vcc_lo
	ds_bpermute_b32 v4, v2, v6
	s_waitcnt lgkmcnt(0)
	s_and_b32 s3, s3, 0xffff
	v_lshlrev_b32_e32 v5, 1, v5
	v_sub_nc_u32_e64 v12, s3, v7 clamp
	s_delay_alu instid0(VALU_DEP_1) | instskip(SKIP_1) | instid1(VALU_DEP_4)
	v_cmp_lt_u32_e32 vcc_lo, v3, v12
	v_add_f32_e32 v7, v6, v4
	v_add_lshl_u32 v4, v5, v1, 2
	s_delay_alu instid0(VALU_DEP_2) | instskip(SKIP_2) | instid1(VALU_DEP_1)
	v_cndmask_b32_e32 v7, v6, v7, vcc_lo
	v_cmp_gt_u32_e32 vcc_lo, 28, v1
	v_cndmask_b32_e64 v5, 0, 1, vcc_lo
	v_lshlrev_b32_e32 v8, 2, v5
	ds_bpermute_b32 v6, v4, v7
	v_add_nc_u32_e32 v5, 2, v1
	s_delay_alu instid0(VALU_DEP_1) | instskip(SKIP_3) | instid1(VALU_DEP_2)
	v_cmp_lt_u32_e32 vcc_lo, v5, v12
	s_waitcnt lgkmcnt(0)
	v_add_f32_e32 v9, v7, v6
	v_add_lshl_u32 v6, v8, v1, 2
	v_cndmask_b32_e32 v9, v7, v9, vcc_lo
	v_cmp_gt_u32_e32 vcc_lo, 24, v1
	ds_bpermute_b32 v8, v6, v9
	v_cndmask_b32_e64 v7, 0, 1, vcc_lo
	s_delay_alu instid0(VALU_DEP_1) | instskip(SKIP_1) | instid1(VALU_DEP_1)
	v_lshlrev_b32_e32 v10, 3, v7
	v_add_nc_u32_e32 v7, 4, v1
	v_cmp_lt_u32_e32 vcc_lo, v7, v12
	s_waitcnt lgkmcnt(0)
	v_add_f32_e32 v11, v9, v8
	v_add_lshl_u32 v8, v10, v1, 2
	s_delay_alu instid0(VALU_DEP_2) | instskip(SKIP_3) | instid1(VALU_DEP_1)
	v_cndmask_b32_e32 v11, v9, v11, vcc_lo
	v_cmp_gt_u32_e32 vcc_lo, 16, v1
	ds_bpermute_b32 v10, v8, v11
	v_cndmask_b32_e64 v9, 0, 1, vcc_lo
	v_lshlrev_b32_e32 v13, 4, v9
	v_add_nc_u32_e32 v9, 8, v1
	s_delay_alu instid0(VALU_DEP_1) | instskip(SKIP_3) | instid1(VALU_DEP_2)
	v_cmp_lt_u32_e32 vcc_lo, v9, v12
	s_waitcnt lgkmcnt(0)
	v_add_f32_e32 v14, v11, v10
	v_add_lshl_u32 v10, v13, v1, 2
	v_cndmask_b32_e32 v13, v11, v14, vcc_lo
	v_add_nc_u32_e32 v11, 16, v1
	ds_bpermute_b32 v14, v10, v13
	v_cmp_lt_u32_e32 vcc_lo, v11, v12
	s_waitcnt lgkmcnt(0)
	v_add_f32_e32 v14, v13, v14
	s_delay_alu instid0(VALU_DEP_1)
	v_cndmask_b32_e32 v12, v13, v14, vcc_lo
	v_cmpx_eq_u32_e32 0, v1
	s_cbranch_execz .LBB80_12
; %bb.11:
	v_lshrrev_b32_e32 v13, 3, v0
	s_delay_alu instid0(VALU_DEP_1)
	v_and_b32_e32 v13, 0x7c, v13
	ds_store_b32 v13, v12 offset:4096
.LBB80_12:
	s_or_b32 exec_lo, exec_lo, s13
	s_delay_alu instid0(SALU_CYCLE_1)
	s_mov_b32 s13, exec_lo
	s_waitcnt lgkmcnt(0)
	s_barrier
	buffer_gl0_inv
	v_cmpx_gt_u32_e32 32, v0
	s_cbranch_execz .LBB80_14
; %bb.13:
	v_lshlrev_b32_e32 v1, 2, v1
	s_add_i32 s3, s3, 31
	s_delay_alu instid0(SALU_CYCLE_1) | instskip(NEXT) | instid1(SALU_CYCLE_1)
	s_lshr_b32 s3, s3, 5
	v_cmp_gt_u32_e32 vcc_lo, s3, v3
	ds_load_b32 v1, v1 offset:4096
	s_waitcnt lgkmcnt(0)
	ds_bpermute_b32 v2, v2, v1
	s_waitcnt lgkmcnt(0)
	v_add_f32_e32 v2, v1, v2
	s_delay_alu instid0(VALU_DEP_1) | instskip(SKIP_4) | instid1(VALU_DEP_1)
	v_cndmask_b32_e32 v1, v1, v2, vcc_lo
	v_cmp_gt_u32_e32 vcc_lo, s3, v5
	ds_bpermute_b32 v2, v4, v1
	s_waitcnt lgkmcnt(0)
	v_add_f32_e32 v2, v1, v2
	v_cndmask_b32_e32 v1, v1, v2, vcc_lo
	v_cmp_gt_u32_e32 vcc_lo, s3, v7
	ds_bpermute_b32 v2, v6, v1
	s_waitcnt lgkmcnt(0)
	v_add_f32_e32 v2, v1, v2
	s_delay_alu instid0(VALU_DEP_1) | instskip(SKIP_4) | instid1(VALU_DEP_1)
	v_cndmask_b32_e32 v1, v1, v2, vcc_lo
	v_cmp_gt_u32_e32 vcc_lo, s3, v9
	ds_bpermute_b32 v2, v8, v1
	s_waitcnt lgkmcnt(0)
	v_add_f32_e32 v2, v1, v2
	v_cndmask_b32_e32 v1, v1, v2, vcc_lo
	v_cmp_gt_u32_e32 vcc_lo, s3, v11
	ds_bpermute_b32 v2, v10, v1
	s_waitcnt lgkmcnt(0)
	v_add_f32_e32 v2, v1, v2
	s_delay_alu instid0(VALU_DEP_1)
	v_cndmask_b32_e32 v12, v1, v2, vcc_lo
.LBB80_14:
	s_or_b32 exec_lo, exec_lo, s13
	s_delay_alu instid0(SALU_CYCLE_1)
	s_mov_b32 s3, exec_lo
	v_cmpx_eq_u32_e32 0, v0
	s_cbranch_execz .LBB80_16
; %bb.15:
	v_cvt_f32_i32_e32 v1, s20
	s_delay_alu instid0(VALU_DEP_1) | instskip(SKIP_1) | instid1(VALU_DEP_2)
	v_div_scale_f32 v2, null, v1, v1, v12
	v_div_scale_f32 v5, vcc_lo, v12, v1, v12
	v_rcp_f32_e32 v3, v2
	s_waitcnt_depctr 0xfff
	v_fma_f32 v4, -v2, v3, 1.0
	s_delay_alu instid0(VALU_DEP_1) | instskip(NEXT) | instid1(VALU_DEP_1)
	v_fmac_f32_e32 v3, v4, v3
	v_mul_f32_e32 v4, v5, v3
	s_delay_alu instid0(VALU_DEP_1) | instskip(NEXT) | instid1(VALU_DEP_1)
	v_fma_f32 v6, -v2, v4, v5
	v_fmac_f32_e32 v4, v6, v3
	s_delay_alu instid0(VALU_DEP_1) | instskip(NEXT) | instid1(VALU_DEP_1)
	v_fma_f32 v2, -v2, v4, v5
	v_div_fmas_f32 v2, v2, v3, v4
	s_delay_alu instid0(VALU_DEP_1) | instskip(NEXT) | instid1(VALU_DEP_1)
	v_div_fixup_f32 v1, v2, v1, v12
	v_add_f32_e32 v1, s12, v1
	s_delay_alu instid0(VALU_DEP_1) | instskip(SKIP_1) | instid1(VALU_DEP_2)
	v_mul_f32_e32 v2, 0x4b800000, v1
	v_cmp_gt_f32_e32 vcc_lo, 0x800000, v1
	v_cndmask_b32_e32 v1, v1, v2, vcc_lo
	s_delay_alu instid0(VALU_DEP_1) | instskip(SKIP_2) | instid1(VALU_DEP_1)
	v_rsq_f32_e32 v1, v1
	s_waitcnt_depctr 0xfff
	v_mul_f32_e32 v2, 0x45800000, v1
	v_dual_cndmask_b32 v1, v1, v2 :: v_dual_mov_b32 v2, 0
	ds_store_b32 v2, v1 offset:4224
.LBB80_16:
	s_or_b32 exec_lo, exec_lo, s3
	s_ashr_i32 s3, s20, 31
	v_mov_b32_e32 v4, 0
	s_lshr_b32 s3, s3, 26
	s_waitcnt lgkmcnt(0)
	s_add_i32 s3, s20, s3
	s_barrier
	s_ashr_i32 s12, s3, 6
	s_cmp_lt_u32 s16, s36
	buffer_gl0_inv
	s_cselect_b32 s13, 12, 18
	ds_load_b32 v28, v4 offset:4224
	s_add_u32 s22, s22, s13
	s_addc_u32 s23, s23, 0
	s_abs_i32 s13, s12
	global_load_u16 v1, v4, s[22:23]
	v_cvt_f32_u32_e32 v2, s13
	s_sub_i32 s22, 0, s13
	s_ashr_i32 s3, s3, 31
	s_delay_alu instid0(VALU_DEP_1) | instskip(SKIP_2) | instid1(VALU_DEP_1)
	v_rcp_iflag_f32_e32 v2, v2
	s_waitcnt_depctr 0xfff
	v_mul_f32_e32 v2, 0x4f7ffffe, v2
	v_cvt_u32_f32_e32 v2, v2
	s_delay_alu instid0(VALU_DEP_1) | instskip(NEXT) | instid1(VALU_DEP_1)
	v_readfirstlane_b32 s15, v2
	s_mul_i32 s22, s22, s15
	s_delay_alu instid0(SALU_CYCLE_1) | instskip(NEXT) | instid1(SALU_CYCLE_1)
	s_mul_hi_u32 s22, s15, s22
	s_add_i32 s15, s15, s22
	s_waitcnt vmcnt(0)
	v_readfirstlane_b32 s35, v1
	s_delay_alu instid0(VALU_DEP_1) | instskip(NEXT) | instid1(SALU_CYCLE_1)
	s_mul_hi_u32 s15, s35, s15
	s_mul_i32 s22, s15, s13
	s_add_i32 s23, s15, 1
	s_sub_i32 s22, s35, s22
	s_delay_alu instid0(SALU_CYCLE_1)
	s_sub_i32 s37, s22, s13
	s_cmp_ge_u32 s22, s13
	s_cselect_b32 s15, s23, s15
	s_cselect_b32 s22, s37, s22
	s_add_i32 s23, s15, 1
	s_cmp_ge_u32 s22, s13
	s_cselect_b32 s13, s23, s15
	s_ashr_i32 s15, s14, 31
	s_xor_b32 s13, s13, s3
	s_delay_alu instid0(SALU_CYCLE_1) | instskip(NEXT) | instid1(SALU_CYCLE_1)
	s_sub_i32 s22, s13, s3
	s_abs_i32 s3, s22
	s_ashr_i32 s23, s22, 31
	v_cvt_f32_u32_e32 v1, s3
	s_sub_i32 s13, 0, s3
	s_delay_alu instid0(VALU_DEP_1) | instskip(SKIP_2) | instid1(VALU_DEP_1)
	v_rcp_iflag_f32_e32 v1, v1
	s_waitcnt_depctr 0xfff
	v_mul_f32_e32 v1, 0x4f7ffffe, v1
	v_cvt_u32_f32_e32 v1, v1
	s_delay_alu instid0(VALU_DEP_1) | instskip(SKIP_1) | instid1(VALU_DEP_1)
	v_mul_lo_u32 v2, s13, v1
	s_mov_b32 s13, exec_lo
	v_mul_hi_u32 v2, v1, v2
	s_delay_alu instid0(VALU_DEP_1) | instskip(NEXT) | instid1(VALU_DEP_1)
	v_add_nc_u32_e32 v1, v1, v2
	v_mul_hi_u32 v1, v0, v1
	s_delay_alu instid0(VALU_DEP_1) | instskip(SKIP_1) | instid1(VALU_DEP_2)
	v_mul_lo_u32 v2, v1, s3
	v_add_nc_u32_e32 v3, 1, v1
	v_sub_nc_u32_e32 v2, v0, v2
	s_delay_alu instid0(VALU_DEP_1) | instskip(SKIP_1) | instid1(VALU_DEP_2)
	v_subrev_nc_u32_e32 v5, s3, v2
	v_cmp_le_u32_e32 vcc_lo, s3, v2
	v_dual_cndmask_b32 v2, v2, v5 :: v_dual_cndmask_b32 v1, v1, v3
	s_delay_alu instid0(VALU_DEP_1) | instskip(NEXT) | instid1(VALU_DEP_2)
	v_cmp_le_u32_e32 vcc_lo, s3, v2
	v_add_nc_u32_e32 v3, 1, v1
	s_delay_alu instid0(VALU_DEP_1) | instskip(NEXT) | instid1(VALU_DEP_1)
	v_cndmask_b32_e32 v1, v1, v3, vcc_lo
	v_xor_b32_e32 v1, s23, v1
	s_delay_alu instid0(VALU_DEP_1) | instskip(NEXT) | instid1(VALU_DEP_1)
	v_subrev_nc_u32_e32 v1, s23, v1
	v_ashrrev_i32_e32 v2, 31, v1
	v_mul_lo_u32 v3, v1, s22
	s_delay_alu instid0(VALU_DEP_2) | instskip(NEXT) | instid1(VALU_DEP_2)
	v_lshlrev_b64 v[7:8], 4, v[1:2]
	v_sub_nc_u32_e32 v3, v0, v3
	s_delay_alu instid0(VALU_DEP_2) | instskip(NEXT) | instid1(VALU_DEP_3)
	v_add_co_u32 v5, vcc_lo, v7, 16
	v_add_co_ci_u32_e32 v6, vcc_lo, 0, v8, vcc_lo
	s_delay_alu instid0(VALU_DEP_1) | instskip(SKIP_4) | instid1(VALU_DEP_3)
	v_cmp_gt_i64_e32 vcc_lo, s[14:15], v[5:6]
	v_cndmask_b32_e32 v6, s15, v6, vcc_lo
	v_cndmask_b32_e32 v5, s14, v5, vcc_lo
	v_add_co_u32 v7, vcc_lo, v7, v3
	v_add_co_ci_u32_e32 v8, vcc_lo, 0, v8, vcc_lo
	v_ashrrev_i32_e32 v10, 31, v5
	v_mov_b32_e32 v9, v5
	s_delay_alu instid0(VALU_DEP_1)
	v_cmpx_lt_i64_e64 v[7:8], v[9:10]
	s_cbranch_execz .LBB80_26
; %bb.17:
	v_lshlrev_b64 v[13:14], 7, v[1:2]
	v_lshlrev_b64 v[11:12], 3, v[3:4]
	s_mul_i32 s3, s22, 24
	s_mul_hi_i32 s15, s22, 24
	s_add_u32 s37, s8, s3
	s_delay_alu instid0(VALU_DEP_2) | instskip(SKIP_2) | instid1(VALU_DEP_2)
	v_add_co_u32 v4, vcc_lo, s24, v13
	v_add_co_ci_u32_e32 v15, vcc_lo, s25, v14, vcc_lo
	s_addc_u32 s24, s9, s15
	v_add_co_u32 v17, vcc_lo, s37, v4
	s_lshl_b64 s[38:39], s[22:23], 4
	s_delay_alu instid0(VALU_DEP_2)
	v_add_co_ci_u32_e32 v18, vcc_lo, s24, v15, vcc_lo
	s_lshl_b64 s[24:25], s[22:23], 5
	s_add_u32 s37, s8, s38
	s_addc_u32 s42, s9, s39
	s_lshl_b64 s[40:41], s[22:23], 3
	v_add_co_u32 v19, vcc_lo, s37, v4
	s_add_u32 s37, s8, s40
	v_add_co_ci_u32_e32 v20, vcc_lo, s42, v15, vcc_lo
	s_addc_u32 s42, s9, s41
	v_add_co_u32 v21, vcc_lo, s37, v4
	v_add_co_ci_u32_e32 v22, vcc_lo, s42, v15, vcc_lo
	v_add_co_u32 v23, vcc_lo, s8, v4
	s_add_u32 s8, s10, s3
	v_add_co_ci_u32_e32 v24, vcc_lo, s9, v15, vcc_lo
	s_addc_u32 s9, s11, s15
	v_add_co_u32 v25, vcc_lo, s8, v13
	s_add_u32 s8, s10, s38
	v_add_co_ci_u32_e32 v26, vcc_lo, s9, v14, vcc_lo
	s_addc_u32 s9, s11, s39
	;; [unrolled: 4-line block ×3, first 2 shown]
	v_add_co_u32 v30, vcc_lo, s8, v13
	v_add_co_ci_u32_e32 v31, vcc_lo, s9, v14, vcc_lo
	v_add_co_u32 v32, vcc_lo, s10, v13
	v_add_co_ci_u32_e32 v33, vcc_lo, s11, v14, vcc_lo
	;; [unrolled: 2-line block ×3, first 2 shown]
	s_add_u32 s3, s26, s3
	s_addc_u32 s8, s27, s15
	s_delay_alu instid0(VALU_DEP_2)
	v_add_co_u32 v34, vcc_lo, s3, v4
	s_add_u32 s3, s26, s38
	v_add_co_ci_u32_e32 v35, vcc_lo, s8, v13, vcc_lo
	s_addc_u32 s8, s27, s39
	v_add_co_u32 v36, vcc_lo, s3, v4
	s_add_u32 s3, s26, s40
	v_add_co_ci_u32_e32 v37, vcc_lo, s8, v13, vcc_lo
	s_addc_u32 s8, s27, s41
	v_add_co_u32 v38, vcc_lo, s3, v4
	v_add_co_ci_u32_e32 v39, vcc_lo, s8, v13, vcc_lo
	v_add_co_u32 v40, vcc_lo, s26, v4
	v_add_co_ci_u32_e32 v41, vcc_lo, s27, v13, vcc_lo
	v_mov_b32_e32 v14, v8
	v_dual_mov_b32 v4, 0 :: v_dual_mov_b32 v13, v7
	s_mul_hi_i32 s15, s22, 3
	s_mul_i32 s26, s22, 3
	s_lshl_b64 s[8:9], s[22:23], 1
	s_mov_b32 s27, 0
                                        ; implicit-def: $sgpr28
	s_branch .LBB80_21
.LBB80_18:                              ;   in Loop: Header=BB80_21 Depth=1
	s_or_b32 exec_lo, exec_lo, s38
	s_delay_alu instid0(SALU_CYCLE_1)
	s_or_not1_b32 s3, s3, exec_lo
.LBB80_19:                              ;   in Loop: Header=BB80_21 Depth=1
	s_or_b32 exec_lo, exec_lo, s37
	s_delay_alu instid0(SALU_CYCLE_1) | instskip(SKIP_1) | instid1(SALU_CYCLE_1)
	s_and_not1_b32 s28, s28, exec_lo
	s_and_b32 s3, s3, exec_lo
	s_or_b32 s28, s28, s3
.LBB80_20:                              ;   in Loop: Header=BB80_21 Depth=1
	s_or_b32 exec_lo, exec_lo, s29
	s_delay_alu instid0(SALU_CYCLE_1) | instskip(NEXT) | instid1(SALU_CYCLE_1)
	s_and_b32 s3, exec_lo, s28
	s_or_b32 s27, s3, s27
	s_delay_alu instid0(SALU_CYCLE_1)
	s_and_not1_b32 exec_lo, exec_lo, s27
	s_cbranch_execz .LBB80_25
.LBB80_21:                              ; =>This Inner Loop Header: Depth=1
	v_add_co_u32 v15, vcc_lo, v23, v11
	v_add_co_ci_u32_e32 v16, vcc_lo, v24, v12, vcc_lo
	v_add_co_u32 v42, vcc_lo, v32, v11
	v_add_co_ci_u32_e32 v43, vcc_lo, v33, v12, vcc_lo
	;; [unrolled: 2-line block ×3, first 2 shown]
	global_load_b64 v[15:16], v[15:16], off
	global_load_b64 v[42:43], v[42:43], off
	;; [unrolled: 1-line block ×3, first 2 shown]
	s_or_b32 s28, s28, exec_lo
	s_mov_b32 s29, exec_lo
	s_waitcnt vmcnt(2)
	v_lshlrev_b32_e32 v48, 16, v15
	s_waitcnt vmcnt(0)
	v_and_b32_e32 v50, 0xffff0000, v44
	v_lshlrev_b32_e32 v49, 16, v44
	v_alignbit_b32 v44, v45, v44, 16
	s_delay_alu instid0(VALU_DEP_1) | instskip(SKIP_2) | instid1(VALU_DEP_1)
	v_and_b32_e32 v44, 0xffff0000, v44
	v_and_b32_e32 v46, 0xffff0000, v15
	v_alignbit_b32 v15, v16, v15, 16
	v_and_b32_e32 v15, 0xffff0000, v15
	s_delay_alu instid0(VALU_DEP_1) | instskip(SKIP_2) | instid1(VALU_DEP_2)
	v_dual_add_f32 v15, v15, v44 :: v_dual_add_f32 v46, v46, v50
	v_dual_add_f32 v48, v48, v49 :: v_dual_and_b32 v47, 0xffff0000, v42
	s_waitcnt lgkmcnt(0)
	v_dual_mul_f32 v15, v28, v15 :: v_dual_and_b32 v16, 0xffff0000, v16
	s_delay_alu instid0(VALU_DEP_3) | instskip(NEXT) | instid1(VALU_DEP_3)
	v_dual_mul_f32 v46, v28, v46 :: v_dual_and_b32 v45, 0xffff0000, v45
	v_mul_f32_e32 v48, v28, v48
	s_delay_alu instid0(VALU_DEP_3) | instskip(NEXT) | instid1(VALU_DEP_3)
	v_bfe_u32 v51, v15, 16, 1
	v_dual_add_f32 v16, v16, v45 :: v_dual_lshlrev_b32 v45, 16, v42
	s_delay_alu instid0(VALU_DEP_3) | instskip(SKIP_1) | instid1(VALU_DEP_3)
	v_bfe_u32 v44, v48, 16, 1
	v_alignbit_b32 v42, v43, v42, 16
	v_dual_mul_f32 v16, v28, v16 :: v_dual_and_b32 v43, 0xffff0000, v43
	v_bfe_u32 v49, v46, 16, 1
	s_delay_alu instid0(VALU_DEP_4)
	v_add3_u32 v44, v48, v44, 0x7fff
	v_cmp_o_f32_e32 vcc_lo, v48, v48
	v_and_b32_e32 v42, 0xffff0000, v42
	v_bfe_u32 v50, v16, 16, 1
	v_add3_u32 v49, v46, v49, 0x7fff
	v_and_b32_e32 v44, 0xffff0000, v44
	v_add3_u32 v51, v15, v51, 0x7fff
	s_delay_alu instid0(VALU_DEP_4) | instskip(NEXT) | instid1(VALU_DEP_4)
	v_add3_u32 v50, v16, v50, 0x7fff
	v_and_b32_e32 v49, 0xffff0000, v49
	s_delay_alu instid0(VALU_DEP_4)
	v_cndmask_b32_e32 v44, 0x7fc00000, v44, vcc_lo
	v_cmp_o_f32_e32 vcc_lo, v46, v46
	v_and_b32_e32 v48, 0xffff0000, v51
	v_and_b32_e32 v50, 0xffff0000, v50
	v_cndmask_b32_e32 v46, 0x7fc00000, v49, vcc_lo
	v_cmp_o_f32_e32 vcc_lo, v16, v16
	s_delay_alu instid0(VALU_DEP_3) | instskip(SKIP_1) | instid1(VALU_DEP_4)
	v_cndmask_b32_e32 v16, 0x7fc00000, v50, vcc_lo
	v_cmp_o_f32_e32 vcc_lo, v15, v15
	v_dual_mul_f32 v44, v44, v45 :: v_dual_mul_f32 v45, v46, v47
	s_delay_alu instid0(VALU_DEP_3) | instskip(SKIP_1) | instid1(VALU_DEP_3)
	v_mul_f32_e32 v43, v16, v43
	v_cndmask_b32_e32 v15, 0x7fc00000, v48, vcc_lo
	v_bfe_u32 v46, v44, 16, 1
	s_delay_alu instid0(VALU_DEP_4) | instskip(SKIP_1) | instid1(VALU_DEP_4)
	v_bfe_u32 v16, v45, 16, 1
	v_cmp_o_f32_e32 vcc_lo, v44, v44
	v_mul_f32_e32 v42, v15, v42
	s_delay_alu instid0(VALU_DEP_4) | instskip(NEXT) | instid1(VALU_DEP_4)
	v_add3_u32 v15, v44, v46, 0x7fff
	v_add3_u32 v16, v45, v16, 0x7fff
	v_bfe_u32 v46, v43, 16, 1
	s_delay_alu instid0(VALU_DEP_4) | instskip(NEXT) | instid1(VALU_DEP_4)
	v_bfe_u32 v47, v42, 16, 1
	v_and_b32_e32 v15, 0xffff0000, v15
	s_delay_alu instid0(VALU_DEP_4) | instskip(NEXT) | instid1(VALU_DEP_4)
	v_and_b32_e32 v16, 0xffff0000, v16
	v_add3_u32 v46, v43, v46, 0x7fff
	s_delay_alu instid0(VALU_DEP_4) | instskip(NEXT) | instid1(VALU_DEP_4)
	v_add3_u32 v47, v42, v47, 0x7fff
	v_cndmask_b32_e64 v44, 0x7fc00000, |v15|, vcc_lo
	v_cmp_o_f32_e32 vcc_lo, v45, v45
	s_delay_alu instid0(VALU_DEP_4) | instskip(NEXT) | instid1(VALU_DEP_4)
	v_and_b32_e32 v46, 0xffff0000, v46
	v_and_b32_e32 v47, 0xffff0000, v47
	v_cndmask_b32_e64 v45, 0x7fc00000, |v16|, vcc_lo
	v_add_co_u32 v15, vcc_lo, v13, s22
	v_add_co_ci_u32_e32 v16, vcc_lo, s23, v14, vcc_lo
	v_cmp_o_f32_e32 vcc_lo, v42, v42
	s_delay_alu instid0(VALU_DEP_4) | instskip(SKIP_3) | instid1(VALU_DEP_1)
	v_max3_f32 v4, v4, v44, v45
	v_cndmask_b32_e64 v42, 0x7fc00000, |v47|, vcc_lo
	v_cmp_o_f32_e32 vcc_lo, v43, v43
	v_cndmask_b32_e64 v43, 0x7fc00000, |v46|, vcc_lo
	v_max3_f32 v4, v4, v42, v43
	v_cmpx_lt_i64_e64 v[15:16], v[9:10]
	s_cbranch_execz .LBB80_20
; %bb.22:                               ;   in Loop: Header=BB80_21 Depth=1
	v_add_co_u32 v42, vcc_lo, v21, v11
	v_add_co_ci_u32_e32 v43, vcc_lo, v22, v12, vcc_lo
	v_add_co_u32 v44, vcc_lo, v30, v11
	v_add_co_ci_u32_e32 v45, vcc_lo, v31, v12, vcc_lo
	;; [unrolled: 2-line block ×3, first 2 shown]
	global_load_b64 v[42:43], v[42:43], off
	global_load_b64 v[44:45], v[44:45], off
	;; [unrolled: 1-line block ×3, first 2 shown]
	s_mov_b32 s3, -1
	s_mov_b32 s37, exec_lo
	s_waitcnt vmcnt(2)
	v_lshlrev_b32_e32 v50, 16, v42
	s_waitcnt vmcnt(0)
	v_lshlrev_b32_e32 v51, 16, v46
	v_and_b32_e32 v52, 0xffff0000, v46
	v_alignbit_b32 v46, v47, v46, 16
	v_and_b32_e32 v47, 0xffff0000, v47
	v_and_b32_e32 v48, 0xffff0000, v42
	v_alignbit_b32 v42, v43, v42, 16
	v_and_b32_e32 v43, 0xffff0000, v43
	s_delay_alu instid0(VALU_DEP_1) | instskip(NEXT) | instid1(VALU_DEP_4)
	v_dual_add_f32 v43, v43, v47 :: v_dual_and_b32 v46, 0xffff0000, v46
	v_add_f32_e32 v48, v48, v52
	v_lshlrev_b32_e32 v47, 16, v44
	s_delay_alu instid0(VALU_DEP_3) | instskip(NEXT) | instid1(VALU_DEP_3)
	v_mul_f32_e32 v43, v28, v43
	v_mul_f32_e32 v48, v28, v48
	v_dual_add_f32 v50, v50, v51 :: v_dual_and_b32 v49, 0xffff0000, v44
	v_alignbit_b32 v44, v45, v44, 16
	v_and_b32_e32 v45, 0xffff0000, v45
	v_and_b32_e32 v42, 0xffff0000, v42
	v_bfe_u32 v51, v48, 16, 1
	v_mul_f32_e32 v50, v28, v50
	v_bfe_u32 v52, v43, 16, 1
	v_and_b32_e32 v44, 0xffff0000, v44
	v_add_f32_e32 v42, v42, v46
	v_add3_u32 v51, v48, v51, 0x7fff
	v_bfe_u32 v46, v50, 16, 1
	v_cmp_o_f32_e32 vcc_lo, v50, v50
	v_add3_u32 v52, v43, v52, 0x7fff
	s_delay_alu instid0(VALU_DEP_4) | instskip(NEXT) | instid1(VALU_DEP_4)
	v_dual_mul_f32 v42, v28, v42 :: v_dual_and_b32 v51, 0xffff0000, v51
	v_add3_u32 v46, v50, v46, 0x7fff
	s_delay_alu instid0(VALU_DEP_3) | instskip(NEXT) | instid1(VALU_DEP_3)
	v_and_b32_e32 v52, 0xffff0000, v52
	v_bfe_u32 v53, v42, 16, 1
	s_delay_alu instid0(VALU_DEP_3) | instskip(NEXT) | instid1(VALU_DEP_2)
	v_and_b32_e32 v46, 0xffff0000, v46
	v_add3_u32 v53, v42, v53, 0x7fff
	s_delay_alu instid0(VALU_DEP_2) | instskip(SKIP_1) | instid1(VALU_DEP_3)
	v_cndmask_b32_e32 v46, 0x7fc00000, v46, vcc_lo
	v_cmp_o_f32_e32 vcc_lo, v48, v48
	v_and_b32_e32 v50, 0xffff0000, v53
	s_delay_alu instid0(VALU_DEP_3) | instskip(SKIP_2) | instid1(VALU_DEP_2)
	v_mul_f32_e32 v46, v46, v47
	v_cndmask_b32_e32 v48, 0x7fc00000, v51, vcc_lo
	v_cmp_o_f32_e32 vcc_lo, v43, v43
	v_mul_f32_e32 v47, v48, v49
	v_cndmask_b32_e32 v43, 0x7fc00000, v52, vcc_lo
	v_cmp_o_f32_e32 vcc_lo, v42, v42
	v_bfe_u32 v48, v46, 16, 1
	s_delay_alu instid0(VALU_DEP_3) | instskip(SKIP_2) | instid1(VALU_DEP_2)
	v_dual_mul_f32 v45, v43, v45 :: v_dual_cndmask_b32 v42, 0x7fc00000, v50
	v_bfe_u32 v43, v47, 16, 1
	v_cmp_o_f32_e32 vcc_lo, v46, v46
	v_add3_u32 v43, v47, v43, 0x7fff
	s_delay_alu instid0(VALU_DEP_4) | instskip(SKIP_2) | instid1(VALU_DEP_4)
	v_mul_f32_e32 v44, v42, v44
	v_add3_u32 v42, v46, v48, 0x7fff
	v_bfe_u32 v48, v45, 16, 1
	v_and_b32_e32 v43, 0xffff0000, v43
	s_delay_alu instid0(VALU_DEP_4) | instskip(NEXT) | instid1(VALU_DEP_4)
	v_bfe_u32 v49, v44, 16, 1
	v_and_b32_e32 v42, 0xffff0000, v42
	s_delay_alu instid0(VALU_DEP_4) | instskip(NEXT) | instid1(VALU_DEP_3)
	v_add3_u32 v48, v45, v48, 0x7fff
	v_add3_u32 v49, v44, v49, 0x7fff
	s_delay_alu instid0(VALU_DEP_3) | instskip(SKIP_1) | instid1(VALU_DEP_4)
	v_cndmask_b32_e64 v46, 0x7fc00000, |v42|, vcc_lo
	v_cmp_o_f32_e32 vcc_lo, v47, v47
	v_and_b32_e32 v48, 0xffff0000, v48
	s_delay_alu instid0(VALU_DEP_4) | instskip(SKIP_4) | instid1(VALU_DEP_4)
	v_and_b32_e32 v49, 0xffff0000, v49
	v_cndmask_b32_e64 v47, 0x7fc00000, |v43|, vcc_lo
	v_add_co_u32 v42, vcc_lo, s8, v13
	v_add_co_ci_u32_e32 v43, vcc_lo, s9, v14, vcc_lo
	v_cmp_o_f32_e32 vcc_lo, v44, v44
	v_max3_f32 v4, v4, v46, v47
	v_cndmask_b32_e64 v44, 0x7fc00000, |v49|, vcc_lo
	v_cmp_o_f32_e32 vcc_lo, v45, v45
	v_cndmask_b32_e64 v45, 0x7fc00000, |v48|, vcc_lo
	s_delay_alu instid0(VALU_DEP_1)
	v_max3_f32 v4, v4, v44, v45
	v_cmpx_lt_i64_e64 v[42:43], v[9:10]
	s_cbranch_execz .LBB80_19
; %bb.23:                               ;   in Loop: Header=BB80_21 Depth=1
	v_add_co_u32 v42, vcc_lo, v19, v11
	v_add_co_ci_u32_e32 v43, vcc_lo, v20, v12, vcc_lo
	v_add_co_u32 v44, vcc_lo, v27, v11
	v_add_co_ci_u32_e32 v45, vcc_lo, v29, v12, vcc_lo
	;; [unrolled: 2-line block ×3, first 2 shown]
	global_load_b64 v[42:43], v[42:43], off
	global_load_b64 v[44:45], v[44:45], off
	;; [unrolled: 1-line block ×3, first 2 shown]
	s_waitcnt vmcnt(2)
	v_lshlrev_b32_e32 v50, 16, v42
	s_waitcnt vmcnt(0)
	v_lshlrev_b32_e32 v51, 16, v46
	v_and_b32_e32 v52, 0xffff0000, v46
	v_alignbit_b32 v46, v47, v46, 16
	v_and_b32_e32 v47, 0xffff0000, v47
	v_and_b32_e32 v48, 0xffff0000, v42
	v_alignbit_b32 v42, v43, v42, 16
	v_and_b32_e32 v43, 0xffff0000, v43
	s_delay_alu instid0(VALU_DEP_1) | instskip(NEXT) | instid1(VALU_DEP_4)
	v_dual_add_f32 v43, v43, v47 :: v_dual_and_b32 v46, 0xffff0000, v46
	v_add_f32_e32 v48, v48, v52
	v_lshlrev_b32_e32 v47, 16, v44
	s_delay_alu instid0(VALU_DEP_3) | instskip(NEXT) | instid1(VALU_DEP_3)
	v_mul_f32_e32 v43, v28, v43
	v_mul_f32_e32 v48, v28, v48
	v_dual_add_f32 v50, v50, v51 :: v_dual_and_b32 v49, 0xffff0000, v44
	v_alignbit_b32 v44, v45, v44, 16
	v_and_b32_e32 v45, 0xffff0000, v45
	v_and_b32_e32 v42, 0xffff0000, v42
	v_bfe_u32 v51, v48, 16, 1
	v_mul_f32_e32 v50, v28, v50
	v_bfe_u32 v52, v43, 16, 1
	v_and_b32_e32 v44, 0xffff0000, v44
	v_add_f32_e32 v42, v42, v46
	v_add3_u32 v51, v48, v51, 0x7fff
	v_bfe_u32 v46, v50, 16, 1
	v_cmp_o_f32_e32 vcc_lo, v50, v50
	v_add3_u32 v52, v43, v52, 0x7fff
	s_delay_alu instid0(VALU_DEP_4) | instskip(NEXT) | instid1(VALU_DEP_4)
	v_dual_mul_f32 v42, v28, v42 :: v_dual_and_b32 v51, 0xffff0000, v51
	v_add3_u32 v46, v50, v46, 0x7fff
	s_delay_alu instid0(VALU_DEP_3) | instskip(NEXT) | instid1(VALU_DEP_3)
	v_and_b32_e32 v52, 0xffff0000, v52
	v_bfe_u32 v53, v42, 16, 1
	s_delay_alu instid0(VALU_DEP_3) | instskip(NEXT) | instid1(VALU_DEP_2)
	v_and_b32_e32 v46, 0xffff0000, v46
	v_add3_u32 v53, v42, v53, 0x7fff
	s_delay_alu instid0(VALU_DEP_2) | instskip(SKIP_1) | instid1(VALU_DEP_3)
	v_cndmask_b32_e32 v46, 0x7fc00000, v46, vcc_lo
	v_cmp_o_f32_e32 vcc_lo, v48, v48
	v_and_b32_e32 v50, 0xffff0000, v53
	s_delay_alu instid0(VALU_DEP_3) | instskip(SKIP_2) | instid1(VALU_DEP_2)
	v_mul_f32_e32 v46, v46, v47
	v_cndmask_b32_e32 v48, 0x7fc00000, v51, vcc_lo
	v_cmp_o_f32_e32 vcc_lo, v43, v43
	v_mul_f32_e32 v47, v48, v49
	v_cndmask_b32_e32 v43, 0x7fc00000, v52, vcc_lo
	v_cmp_o_f32_e32 vcc_lo, v42, v42
	v_bfe_u32 v48, v46, 16, 1
	s_delay_alu instid0(VALU_DEP_3) | instskip(SKIP_2) | instid1(VALU_DEP_2)
	v_dual_mul_f32 v43, v43, v45 :: v_dual_cndmask_b32 v42, 0x7fc00000, v50
	v_bfe_u32 v45, v47, 16, 1
	v_cmp_o_f32_e32 vcc_lo, v46, v46
	v_add3_u32 v45, v47, v45, 0x7fff
	s_delay_alu instid0(VALU_DEP_4) | instskip(SKIP_2) | instid1(VALU_DEP_4)
	v_mul_f32_e32 v42, v42, v44
	v_add3_u32 v44, v46, v48, 0x7fff
	v_bfe_u32 v48, v43, 16, 1
	v_and_b32_e32 v45, 0xffff0000, v45
	s_delay_alu instid0(VALU_DEP_4) | instskip(NEXT) | instid1(VALU_DEP_4)
	v_bfe_u32 v49, v42, 16, 1
	v_and_b32_e32 v44, 0xffff0000, v44
	s_delay_alu instid0(VALU_DEP_4) | instskip(NEXT) | instid1(VALU_DEP_3)
	v_add3_u32 v48, v43, v48, 0x7fff
	v_add3_u32 v49, v42, v49, 0x7fff
	s_delay_alu instid0(VALU_DEP_3) | instskip(SKIP_1) | instid1(VALU_DEP_4)
	v_cndmask_b32_e64 v44, 0x7fc00000, |v44|, vcc_lo
	v_cmp_o_f32_e32 vcc_lo, v47, v47
	v_and_b32_e32 v47, 0xffff0000, v48
	s_delay_alu instid0(VALU_DEP_4) | instskip(SKIP_4) | instid1(VALU_DEP_4)
	v_and_b32_e32 v46, 0xffff0000, v49
	v_cndmask_b32_e64 v45, 0x7fc00000, |v45|, vcc_lo
	v_add_co_u32 v13, vcc_lo, s26, v13
	v_add_co_ci_u32_e32 v14, vcc_lo, s15, v14, vcc_lo
	v_cmp_o_f32_e32 vcc_lo, v42, v42
	v_max3_f32 v4, v4, v44, v45
	v_cndmask_b32_e64 v42, 0x7fc00000, |v46|, vcc_lo
	v_cmp_o_f32_e32 vcc_lo, v43, v43
	v_cndmask_b32_e64 v43, 0x7fc00000, |v47|, vcc_lo
	v_cmp_lt_i64_e32 vcc_lo, v[13:14], v[9:10]
                                        ; implicit-def: $vgpr13_vgpr14
	s_delay_alu instid0(VALU_DEP_2) | instskip(SKIP_1) | instid1(SALU_CYCLE_1)
	v_max3_f32 v4, v4, v42, v43
	s_and_saveexec_b32 s38, vcc_lo
	s_xor_b32 s38, exec_lo, s38
	s_cbranch_execz .LBB80_18
; %bb.24:                               ;   in Loop: Header=BB80_21 Depth=1
	v_add_co_u32 v13, vcc_lo, v17, v11
	v_add_co_ci_u32_e32 v14, vcc_lo, v18, v12, vcc_lo
	v_add_co_u32 v42, vcc_lo, v25, v11
	v_add_co_ci_u32_e32 v43, vcc_lo, v26, v12, vcc_lo
	;; [unrolled: 2-line block ×3, first 2 shown]
	global_load_b64 v[13:14], v[13:14], off
	global_load_b64 v[42:43], v[42:43], off
	;; [unrolled: 1-line block ×3, first 2 shown]
	v_add_co_u32 v17, vcc_lo, v17, s24
	v_add_co_ci_u32_e32 v18, vcc_lo, s25, v18, vcc_lo
	v_add_co_u32 v19, vcc_lo, v19, s24
	v_add_co_ci_u32_e32 v20, vcc_lo, s25, v20, vcc_lo
	;; [unrolled: 2-line block ×10, first 2 shown]
	s_add_u32 s3, s22, s22
	s_addc_u32 s39, s23, s23
	s_add_u32 s3, s3, s22
	s_addc_u32 s39, s39, s23
	s_waitcnt vmcnt(2)
	v_lshlrev_b32_e32 v48, 16, v13
	s_waitcnt vmcnt(0)
	v_and_b32_e32 v50, 0xffff0000, v44
	v_lshlrev_b32_e32 v49, 16, v44
	v_alignbit_b32 v44, v45, v44, 16
	s_delay_alu instid0(VALU_DEP_1) | instskip(SKIP_2) | instid1(VALU_DEP_1)
	v_and_b32_e32 v44, 0xffff0000, v44
	v_and_b32_e32 v46, 0xffff0000, v13
	v_alignbit_b32 v13, v14, v13, 16
	v_and_b32_e32 v13, 0xffff0000, v13
	s_delay_alu instid0(VALU_DEP_1) | instskip(SKIP_1) | instid1(VALU_DEP_2)
	v_dual_add_f32 v13, v13, v44 :: v_dual_add_f32 v46, v46, v50
	v_dual_add_f32 v48, v48, v49 :: v_dual_and_b32 v47, 0xffff0000, v42
	v_dual_mul_f32 v13, v28, v13 :: v_dual_and_b32 v14, 0xffff0000, v14
	s_delay_alu instid0(VALU_DEP_3) | instskip(NEXT) | instid1(VALU_DEP_3)
	v_dual_mul_f32 v46, v28, v46 :: v_dual_and_b32 v45, 0xffff0000, v45
	v_mul_f32_e32 v48, v28, v48
	s_delay_alu instid0(VALU_DEP_3) | instskip(NEXT) | instid1(VALU_DEP_3)
	v_bfe_u32 v51, v13, 16, 1
	v_dual_add_f32 v14, v14, v45 :: v_dual_lshlrev_b32 v45, 16, v42
	s_delay_alu instid0(VALU_DEP_3) | instskip(SKIP_2) | instid1(VALU_DEP_4)
	v_bfe_u32 v44, v48, 16, 1
	v_bfe_u32 v49, v46, 16, 1
	v_alignbit_b32 v42, v43, v42, 16
	v_dual_mul_f32 v14, v28, v14 :: v_dual_and_b32 v43, 0xffff0000, v43
	s_delay_alu instid0(VALU_DEP_4) | instskip(NEXT) | instid1(VALU_DEP_4)
	v_add3_u32 v44, v48, v44, 0x7fff
	v_add3_u32 v49, v46, v49, 0x7fff
	v_cmp_o_f32_e32 vcc_lo, v48, v48
	s_delay_alu instid0(VALU_DEP_4)
	v_bfe_u32 v50, v14, 16, 1
	v_and_b32_e32 v42, 0xffff0000, v42
	v_and_b32_e32 v44, 0xffff0000, v44
	v_and_b32_e32 v49, 0xffff0000, v49
	v_add3_u32 v51, v13, v51, 0x7fff
	v_add3_u32 v50, v14, v50, 0x7fff
	s_delay_alu instid0(VALU_DEP_4) | instskip(SKIP_1) | instid1(VALU_DEP_4)
	v_cndmask_b32_e32 v44, 0x7fc00000, v44, vcc_lo
	v_cmp_o_f32_e32 vcc_lo, v46, v46
	v_and_b32_e32 v48, 0xffff0000, v51
	s_delay_alu instid0(VALU_DEP_4) | instskip(SKIP_2) | instid1(VALU_DEP_3)
	v_and_b32_e32 v50, 0xffff0000, v50
	v_cndmask_b32_e32 v46, 0x7fc00000, v49, vcc_lo
	v_cmp_o_f32_e32 vcc_lo, v14, v14
	v_cndmask_b32_e32 v14, 0x7fc00000, v50, vcc_lo
	v_cmp_o_f32_e32 vcc_lo, v13, v13
	s_delay_alu instid0(VALU_DEP_4) | instskip(NEXT) | instid1(VALU_DEP_3)
	v_dual_mul_f32 v44, v44, v45 :: v_dual_mul_f32 v45, v46, v47
	v_mul_f32_e32 v43, v14, v43
	v_cndmask_b32_e32 v13, 0x7fc00000, v48, vcc_lo
	s_delay_alu instid0(VALU_DEP_3) | instskip(NEXT) | instid1(VALU_DEP_4)
	v_bfe_u32 v14, v44, 16, 1
	v_bfe_u32 v46, v45, 16, 1
	v_cmp_o_f32_e32 vcc_lo, v44, v44
	s_delay_alu instid0(VALU_DEP_4) | instskip(NEXT) | instid1(VALU_DEP_4)
	v_mul_f32_e32 v42, v13, v42
	v_add3_u32 v14, v44, v14, 0x7fff
	v_bfe_u32 v13, v43, 16, 1
	v_add3_u32 v46, v45, v46, 0x7fff
	s_delay_alu instid0(VALU_DEP_4) | instskip(NEXT) | instid1(VALU_DEP_4)
	v_bfe_u32 v47, v42, 16, 1
	v_and_b32_e32 v14, 0xffff0000, v14
	s_delay_alu instid0(VALU_DEP_4) | instskip(NEXT) | instid1(VALU_DEP_4)
	v_add3_u32 v13, v43, v13, 0x7fff
	v_and_b32_e32 v46, 0xffff0000, v46
	s_delay_alu instid0(VALU_DEP_4) | instskip(NEXT) | instid1(VALU_DEP_4)
	v_add3_u32 v47, v42, v47, 0x7fff
	v_cndmask_b32_e64 v44, 0x7fc00000, |v14|, vcc_lo
	v_cmp_o_f32_e32 vcc_lo, v45, v45
	v_and_b32_e32 v48, 0xffff0000, v13
	v_cndmask_b32_e64 v45, 0x7fc00000, |v46|, vcc_lo
	v_add_co_u32 v13, vcc_lo, s3, v15
	v_add_co_ci_u32_e32 v14, vcc_lo, s39, v16, vcc_lo
	v_cmp_o_f32_e32 vcc_lo, v43, v43
	v_and_b32_e32 v15, 0xffff0000, v47
	v_max3_f32 v4, v4, v44, v45
	v_add_co_u32 v40, s3, v40, s24
	v_cndmask_b32_e64 v16, 0x7fc00000, |v48|, vcc_lo
	v_cmp_o_f32_e32 vcc_lo, v42, v42
	v_add_co_ci_u32_e64 v41, s3, s25, v41, s3
	v_cndmask_b32_e64 v15, 0x7fc00000, |v15|, vcc_lo
	v_add_co_u32 v38, vcc_lo, v38, s24
	v_add_co_ci_u32_e32 v39, vcc_lo, s25, v39, vcc_lo
	v_cmp_ge_i64_e32 vcc_lo, v[13:14], v[9:10]
	s_delay_alu instid0(VALU_DEP_4)
	v_max3_f32 v4, v4, v15, v16
	s_or_not1_b32 s3, vcc_lo, exec_lo
	s_branch .LBB80_18
.LBB80_25:
	s_or_b32 exec_lo, exec_lo, s27
.LBB80_26:
	s_delay_alu instid0(SALU_CYCLE_1)
	s_or_b32 exec_lo, exec_lo, s13
	s_lshr_b32 s15, s35, 5
	v_lshlrev_b32_e32 v29, 2, v0
	v_cvt_f32_u32_e32 v9, s15
	s_sub_i32 s8, 0, s15
	s_add_i32 s9, s12, s15
	s_delay_alu instid0(SALU_CYCLE_1) | instskip(NEXT) | instid1(VALU_DEP_1)
	s_add_i32 s9, s9, -1
	v_rcp_iflag_f32_e32 v9, v9
	s_abs_i32 s13, s9
	s_ashr_i32 s9, s9, 31
	ds_store_b32 v29, v4
	s_waitcnt lgkmcnt(0)
	s_barrier
	buffer_gl0_inv
	v_mul_f32_e32 v9, 0x4f7ffffe, v9
	s_delay_alu instid0(VALU_DEP_1) | instskip(NEXT) | instid1(VALU_DEP_1)
	v_cvt_u32_f32_e32 v9, v9
	v_readfirstlane_b32 s3, v9
	s_delay_alu instid0(VALU_DEP_1) | instskip(NEXT) | instid1(SALU_CYCLE_1)
	s_mul_i32 s8, s8, s3
	s_mul_hi_u32 s8, s3, s8
	s_delay_alu instid0(SALU_CYCLE_1) | instskip(NEXT) | instid1(SALU_CYCLE_1)
	s_add_i32 s3, s3, s8
	s_mul_hi_u32 s3, s13, s3
	s_delay_alu instid0(SALU_CYCLE_1) | instskip(NEXT) | instid1(SALU_CYCLE_1)
	s_mul_i32 s8, s3, s15
	s_sub_i32 s8, s13, s8
	s_add_i32 s13, s3, 1
	s_sub_i32 s24, s8, s15
	s_cmp_ge_u32 s8, s15
	s_cselect_b32 s3, s13, s3
	s_cselect_b32 s8, s24, s8
	s_add_i32 s13, s3, 1
	s_cmp_ge_u32 s8, s15
	s_cselect_b32 s3, s13, s3
	s_delay_alu instid0(SALU_CYCLE_1) | instskip(NEXT) | instid1(SALU_CYCLE_1)
	s_xor_b32 s3, s3, s9
	s_sub_i32 s8, s3, s9
	s_delay_alu instid0(SALU_CYCLE_1) | instskip(NEXT) | instid1(SALU_CYCLE_1)
	s_ashr_i32 s9, s8, 31
	v_cmp_lt_i64_e64 s3, s[8:9], 1
	s_delay_alu instid0(VALU_DEP_1)
	s_and_b32 vcc_lo, exec_lo, s3
	s_cbranch_vccnz .LBB80_46
; %bb.27:
	v_lshrrev_b32_e32 v9, 5, v0
	v_and_b32_e32 v4, 31, v0
	s_ashr_i32 s13, s12, 31
	s_mov_b64 s[24:25], 0
	s_mov_b64 s[26:27], src_shared_base
	v_mul_lo_u32 v19, s22, v9
	v_add_co_u32 v11, s3, v4, 16
	s_delay_alu instid0(VALU_DEP_1) | instskip(SKIP_1) | instid1(VALU_DEP_1)
	v_add_co_ci_u32_e64 v12, null, 0, 0, s3
	v_add_co_u32 v13, s3, v4, 8
	v_add_co_ci_u32_e64 v14, null, 0, 0, s3
	v_add_co_u32 v15, s3, v4, 4
	v_dual_mov_b32 v10, 0 :: v_dual_lshlrev_b32 v21, 2, v19
	v_lshlrev_b32_e32 v22, 2, v4
	v_add_co_ci_u32_e64 v16, null, 0, 0, s3
	v_add_co_u32 v17, s3, v4, 2
	s_delay_alu instid0(VALU_DEP_1) | instskip(SKIP_1) | instid1(VALU_DEP_1)
	v_add_co_ci_u32_e64 v18, null, 0, 0, s3
	v_add_co_u32 v19, s3, v4, 1
	v_add_co_ci_u32_e64 v20, null, 0, 0, s3
	v_add3_u32 v30, v21, v22, 0x80
	s_mul_i32 s3, s22, s15
	s_delay_alu instid0(SALU_CYCLE_1)
	s_lshl_b32 s28, s3, 2
	s_branch .LBB80_30
.LBB80_28:                              ;   in Loop: Header=BB80_30 Depth=1
	s_or_b32 exec_lo, exec_lo, s3
	v_mov_b32_e32 v22, s27
	flat_load_b32 v21, v[21:22] glc dlc
	s_waitcnt vmcnt(0)
.LBB80_29:                              ;   in Loop: Header=BB80_30 Depth=1
	s_or_b32 exec_lo, exec_lo, s26
	s_add_u32 s24, s24, 1
	v_add_nc_u32_e32 v30, s28, v30
	s_addc_u32 s25, s25, 0
	s_delay_alu instid0(SALU_CYCLE_1)
	s_cmp_eq_u64 s[24:25], s[8:9]
	s_cbranch_scc1 .LBB80_46
.LBB80_30:                              ; =>This Loop Header: Depth=1
                                        ;     Child Loop BB80_33 Depth 2
	s_waitcnt lgkmcnt(0)
	v_mad_u64_u32 v[21:22], null, s24, s15, v[9:10]
	s_mov_b32 s26, exec_lo
	s_delay_alu instid0(VALU_DEP_1) | instskip(NEXT) | instid1(VALU_DEP_1)
	v_mad_u64_u32 v[23:24], null, s25, s15, v[22:23]
	v_mov_b32_e32 v22, v23
	s_delay_alu instid0(VALU_DEP_1)
	v_cmpx_gt_i64_e64 s[12:13], v[21:22]
	s_cbranch_execz .LBB80_29
; %bb.31:                               ;   in Loop: Header=BB80_30 Depth=1
	v_mul_lo_u32 v24, v22, s22
	v_mul_lo_u32 v25, v21, s23
	v_mad_u64_u32 v[22:23], null, v21, s22, 0
	s_delay_alu instid0(VALU_DEP_1) | instskip(NEXT) | instid1(VALU_DEP_2)
	v_add3_u32 v23, v23, v25, v24
	v_add_co_u32 v24, vcc_lo, v22, s22
	v_add_co_u32 v31, s3, v22, v4
	s_delay_alu instid0(VALU_DEP_3) | instskip(SKIP_2) | instid1(VALU_DEP_2)
	v_add_co_ci_u32_e32 v25, vcc_lo, s23, v23, vcc_lo
	v_add_co_ci_u32_e64 v21, s3, 0, v23, s3
	s_mov_b32 s3, exec_lo
	v_cmp_gt_i64_e32 vcc_lo, s[20:21], v[24:25]
	v_cndmask_b32_e32 v25, s21, v25, vcc_lo
	v_cndmask_b32_e32 v24, s20, v24, vcc_lo
	v_add_co_u32 v26, vcc_lo, v31, 32
	v_add_co_ci_u32_e32 v27, vcc_lo, 0, v21, vcc_lo
	v_lshlrev_b32_e32 v21, 2, v31
	s_delay_alu instid0(VALU_DEP_2)
	v_cmpx_lt_i64_e64 v[26:27], v[24:25]
	s_cbranch_execz .LBB80_34
; %bb.32:                               ;   in Loop: Header=BB80_30 Depth=1
	ds_load_b32 v33, v21
	v_mov_b32_e32 v32, v30
	s_mov_b32 s29, 0
.LBB80_33:                              ;   Parent Loop BB80_30 Depth=1
                                        ; =>  This Inner Loop Header: Depth=2
	ds_load_b32 v34, v32
	v_add_co_u32 v26, vcc_lo, v26, 32
	v_add_co_ci_u32_e32 v27, vcc_lo, 0, v27, vcc_lo
	s_waitcnt lgkmcnt(1)
	v_dual_max_f32 v33, v33, v33 :: v_dual_add_nc_u32 v32, 0x80, v32
	s_delay_alu instid0(VALU_DEP_2) | instskip(SKIP_3) | instid1(VALU_DEP_1)
	v_cmp_ge_i64_e32 vcc_lo, v[26:27], v[24:25]
	s_or_b32 s29, vcc_lo, s29
	s_waitcnt lgkmcnt(0)
	v_max_f32_e32 v34, v34, v34
	v_max_f32_e32 v33, v33, v34
	ds_store_b32 v21, v33
	s_and_not1_b32 exec_lo, exec_lo, s29
	s_cbranch_execnz .LBB80_33
.LBB80_34:                              ;   in Loop: Header=BB80_30 Depth=1
	s_or_b32 exec_lo, exec_lo, s3
	v_sub_co_u32 v22, vcc_lo, v24, v22
	v_sub_co_ci_u32_e32 v23, vcc_lo, v25, v23, vcc_lo
	s_mov_b32 s3, exec_lo
	s_delay_alu instid0(VALU_DEP_1) | instskip(SKIP_1) | instid1(VALU_DEP_1)
	v_cmp_gt_i64_e32 vcc_lo, 32, v[22:23]
	v_dual_cndmask_b32 v24, 0, v23 :: v_dual_cndmask_b32 v23, 32, v22
	v_cmpx_lt_i64_e64 v[11:12], v[23:24]
	s_cbranch_execz .LBB80_36
; %bb.35:                               ;   in Loop: Header=BB80_30 Depth=1
	v_dual_mov_b32 v22, s27 :: v_dual_add_nc_u32 v25, 64, v21
	v_mov_b32_e32 v26, s27
	flat_load_b32 v27, v[21:22] glc dlc
	s_waitcnt vmcnt(0)
	flat_load_b32 v25, v[25:26] glc dlc
	s_waitcnt vmcnt(0) lgkmcnt(0)
	v_dual_max_f32 v26, v27, v27 :: v_dual_max_f32 v25, v25, v25
	s_delay_alu instid0(VALU_DEP_1)
	v_max_f32_e32 v25, v26, v25
	flat_store_b32 v[21:22], v25 dlc
	s_waitcnt_vscnt null, 0x0
.LBB80_36:                              ;   in Loop: Header=BB80_30 Depth=1
	s_or_b32 exec_lo, exec_lo, s3
	s_delay_alu instid0(SALU_CYCLE_1)
	s_mov_b32 s3, exec_lo
	v_cmpx_lt_i64_e64 v[13:14], v[23:24]
	s_cbranch_execz .LBB80_38
; %bb.37:                               ;   in Loop: Header=BB80_30 Depth=1
	v_dual_mov_b32 v22, s27 :: v_dual_add_nc_u32 v25, 32, v21
	v_mov_b32_e32 v26, s27
	flat_load_b32 v27, v[21:22] glc dlc
	s_waitcnt vmcnt(0)
	flat_load_b32 v25, v[25:26] glc dlc
	s_waitcnt vmcnt(0) lgkmcnt(0)
	v_dual_max_f32 v26, v27, v27 :: v_dual_max_f32 v25, v25, v25
	s_delay_alu instid0(VALU_DEP_1)
	v_max_f32_e32 v25, v26, v25
	flat_store_b32 v[21:22], v25 dlc
	s_waitcnt_vscnt null, 0x0
.LBB80_38:                              ;   in Loop: Header=BB80_30 Depth=1
	s_or_b32 exec_lo, exec_lo, s3
	s_delay_alu instid0(SALU_CYCLE_1)
	s_mov_b32 s3, exec_lo
	v_cmpx_ge_i64_e64 v[15:16], v[23:24]
	s_xor_b32 s3, exec_lo, s3
; %bb.39:                               ;   in Loop: Header=BB80_30 Depth=1
                                        ; implicit-def: $vgpr21
; %bb.40:                               ;   in Loop: Header=BB80_30 Depth=1
	s_delay_alu instid0(SALU_CYCLE_1)
	s_and_not1_saveexec_b32 s3, s3
	s_cbranch_execz .LBB80_42
; %bb.41:                               ;   in Loop: Header=BB80_30 Depth=1
	v_dual_mov_b32 v22, s27 :: v_dual_add_nc_u32 v25, 16, v21
	v_mov_b32_e32 v26, s27
	flat_load_b32 v27, v[21:22] glc dlc
	s_waitcnt vmcnt(0)
	flat_load_b32 v25, v[25:26] glc dlc
	s_waitcnt vmcnt(0) lgkmcnt(0)
	v_dual_max_f32 v26, v27, v27 :: v_dual_max_f32 v25, v25, v25
	s_delay_alu instid0(VALU_DEP_1)
	v_max_f32_e32 v25, v26, v25
	flat_store_b32 v[21:22], v25 dlc
	s_waitcnt_vscnt null, 0x0
.LBB80_42:                              ;   in Loop: Header=BB80_30 Depth=1
	s_or_b32 exec_lo, exec_lo, s3
	v_lshlrev_b32_e32 v21, 2, v31
	s_mov_b32 s3, exec_lo
	v_cmpx_lt_i64_e64 v[17:18], v[23:24]
	s_cbranch_execz .LBB80_44
; %bb.43:                               ;   in Loop: Header=BB80_30 Depth=1
	s_delay_alu instid0(VALU_DEP_2)
	v_dual_mov_b32 v22, s27 :: v_dual_add_nc_u32 v25, 8, v21
	v_mov_b32_e32 v26, s27
	flat_load_b32 v27, v[21:22] glc dlc
	s_waitcnt vmcnt(0)
	flat_load_b32 v25, v[25:26] glc dlc
	s_waitcnt vmcnt(0) lgkmcnt(0)
	v_dual_max_f32 v26, v27, v27 :: v_dual_max_f32 v25, v25, v25
	s_delay_alu instid0(VALU_DEP_1)
	v_max_f32_e32 v25, v26, v25
	flat_store_b32 v[21:22], v25 dlc
	s_waitcnt_vscnt null, 0x0
.LBB80_44:                              ;   in Loop: Header=BB80_30 Depth=1
	s_or_b32 exec_lo, exec_lo, s3
	s_delay_alu instid0(SALU_CYCLE_1)
	s_mov_b32 s3, exec_lo
	v_cmpx_lt_i64_e64 v[19:20], v[23:24]
	s_cbranch_execz .LBB80_28
; %bb.45:                               ;   in Loop: Header=BB80_30 Depth=1
	v_dual_mov_b32 v22, s27 :: v_dual_add_nc_u32 v23, 4, v21
	v_mov_b32_e32 v24, s27
	flat_load_b32 v25, v[21:22] glc dlc
	s_waitcnt vmcnt(0)
	flat_load_b32 v23, v[23:24] glc dlc
	s_waitcnt vmcnt(0) lgkmcnt(0)
	v_dual_max_f32 v24, v25, v25 :: v_dual_max_f32 v23, v23, v23
	s_delay_alu instid0(VALU_DEP_1)
	v_max_f32_e32 v23, v24, v23
	flat_store_b32 v[21:22], v23 dlc
	s_waitcnt_vscnt null, 0x0
	s_branch .LBB80_28
.LBB80_46:
	s_load_b64 s[8:9], s[0:1], 0x40
	v_cmp_lt_i64_e32 vcc_lo, v[7:8], v[5:6]
	v_cmp_eq_u32_e64 s3, 0, v3
	s_waitcnt lgkmcnt(0)
	s_barrier
	buffer_gl0_inv
	s_and_b32 s12, s3, vcc_lo
	s_delay_alu instid0(SALU_CYCLE_1)
	s_and_saveexec_b32 s3, s12
	s_cbranch_execz .LBB80_53
; %bb.47:
	s_load_b64 s[0:1], s[0:1], 0x20
	ds_load_b32 v5, v29
	s_waitcnt lgkmcnt(0)
	s_cmp_eq_u64 s[0:1], 0
	s_cbranch_scc1 .LBB80_49
; %bb.48:
	s_load_b32 s0, s[0:1], 0x0
	v_max_f32_e32 v3, v5, v5
	s_waitcnt lgkmcnt(0)
	v_max_f32_e64 v4, s0, s0
	s_delay_alu instid0(VALU_DEP_1)
	v_min_f32_e32 v5, v3, v4
.LBB80_49:
	s_add_u32 s0, s8, s36
	s_addc_u32 s1, s9, 0
	s_add_u32 s12, s0, -1
	s_addc_u32 s13, s1, -1
	s_delay_alu instid0(SALU_CYCLE_1) | instskip(SKIP_1) | instid1(SALU_CYCLE_1)
	s_or_b64 s[20:21], s[12:13], s[8:9]
	s_mov_b32 s20, 0
	s_cmp_lg_u64 s[20:21], 0
	s_cbranch_scc0 .LBB80_66
; %bb.50:
	s_ashr_i32 s0, s9, 31
	s_delay_alu instid0(SALU_CYCLE_1) | instskip(SKIP_2) | instid1(SALU_CYCLE_1)
	s_add_u32 s22, s8, s0
	s_mov_b32 s1, s0
	s_addc_u32 s23, s9, s0
	s_xor_b64 s[0:1], s[22:23], s[0:1]
	s_delay_alu instid0(SALU_CYCLE_1) | instskip(SKIP_3) | instid1(VALU_DEP_1)
	v_cvt_f32_u32_e32 v3, s0
	v_cvt_f32_u32_e32 v4, s1
	s_sub_u32 s22, 0, s0
	s_subb_u32 s23, 0, s1
	v_fmamk_f32 v3, v4, 0x4f800000, v3
	s_delay_alu instid0(VALU_DEP_1) | instskip(SKIP_2) | instid1(VALU_DEP_1)
	v_rcp_f32_e32 v3, v3
	s_waitcnt_depctr 0xfff
	v_mul_f32_e32 v3, 0x5f7ffffc, v3
	v_mul_f32_e32 v4, 0x2f800000, v3
	s_delay_alu instid0(VALU_DEP_1) | instskip(NEXT) | instid1(VALU_DEP_1)
	v_trunc_f32_e32 v4, v4
	v_fmamk_f32 v3, v4, 0xcf800000, v3
	v_cvt_u32_f32_e32 v4, v4
	s_delay_alu instid0(VALU_DEP_2) | instskip(NEXT) | instid1(VALU_DEP_2)
	v_cvt_u32_f32_e32 v3, v3
	v_readfirstlane_b32 s15, v4
	s_delay_alu instid0(VALU_DEP_2) | instskip(NEXT) | instid1(VALU_DEP_2)
	v_readfirstlane_b32 s21, v3
	s_mul_i32 s24, s22, s15
	s_delay_alu instid0(VALU_DEP_1)
	s_mul_hi_u32 s26, s22, s21
	s_mul_i32 s25, s23, s21
	s_add_i32 s24, s26, s24
	s_mul_i32 s27, s22, s21
	s_add_i32 s24, s24, s25
	s_mul_hi_u32 s26, s21, s27
	s_mul_hi_u32 s28, s15, s27
	s_mul_i32 s25, s15, s27
	s_mul_hi_u32 s27, s21, s24
	s_mul_i32 s21, s21, s24
	s_mul_hi_u32 s29, s15, s24
	s_add_u32 s21, s26, s21
	s_addc_u32 s26, 0, s27
	s_add_u32 s21, s21, s25
	s_mul_i32 s24, s15, s24
	s_addc_u32 s21, s26, s28
	s_addc_u32 s25, s29, 0
	s_add_u32 s21, s21, s24
	s_addc_u32 s24, 0, s25
	v_add_co_u32 v3, s21, v3, s21
	s_delay_alu instid0(VALU_DEP_1) | instskip(SKIP_1) | instid1(VALU_DEP_1)
	s_cmp_lg_u32 s21, 0
	s_addc_u32 s15, s15, s24
	v_readfirstlane_b32 s21, v3
	s_mul_i32 s24, s22, s15
	s_delay_alu instid0(VALU_DEP_1)
	s_mul_hi_u32 s25, s22, s21
	s_mul_i32 s23, s23, s21
	s_add_i32 s24, s25, s24
	s_mul_i32 s22, s22, s21
	s_add_i32 s24, s24, s23
	s_mul_hi_u32 s25, s15, s22
	s_mul_i32 s26, s15, s22
	s_mul_hi_u32 s22, s21, s22
	s_mul_hi_u32 s27, s21, s24
	s_mul_i32 s21, s21, s24
	s_mul_hi_u32 s23, s15, s24
	s_add_u32 s21, s22, s21
	s_addc_u32 s22, 0, s27
	s_add_u32 s21, s21, s26
	s_mul_i32 s24, s15, s24
	s_addc_u32 s21, s22, s25
	s_addc_u32 s22, s23, 0
	s_add_u32 s21, s21, s24
	s_addc_u32 s22, 0, s22
	v_add_co_u32 v3, s21, v3, s21
	s_delay_alu instid0(VALU_DEP_1) | instskip(SKIP_2) | instid1(VALU_DEP_1)
	s_cmp_lg_u32 s21, 0
	s_addc_u32 s15, s15, s22
	s_ashr_i32 s22, s13, 31
	v_readfirstlane_b32 s21, v3
	s_add_u32 s24, s12, s22
	s_mov_b32 s23, s22
	s_addc_u32 s25, s13, s22
	s_delay_alu instid0(SALU_CYCLE_1) | instskip(NEXT) | instid1(SALU_CYCLE_1)
	s_xor_b64 s[24:25], s[24:25], s[22:23]
	s_mul_i32 s26, s24, s15
	s_mul_hi_u32 s27, s24, s21
	s_mul_hi_u32 s23, s24, s15
	;; [unrolled: 1-line block ×3, first 2 shown]
	s_mul_i32 s21, s25, s21
	s_add_u32 s26, s27, s26
	s_addc_u32 s23, 0, s23
	s_mul_hi_u32 s28, s25, s15
	s_add_u32 s21, s26, s21
	s_mul_i32 s15, s25, s15
	s_addc_u32 s21, s23, s29
	s_addc_u32 s23, s28, 0
	s_add_u32 s15, s21, s15
	s_addc_u32 s21, 0, s23
	s_mul_hi_u32 s23, s0, s15
	s_mul_i32 s21, s0, s21
	s_mul_i32 s26, s1, s15
	;; [unrolled: 1-line block ×3, first 2 shown]
	s_add_i32 s21, s23, s21
	v_sub_co_u32 v3, s15, s24, s15
	s_add_i32 s21, s21, s26
	s_delay_alu instid0(SALU_CYCLE_1) | instskip(SKIP_1) | instid1(VALU_DEP_1)
	s_sub_i32 s23, s25, s21
	s_cmp_lg_u32 s15, 0
	v_sub_co_u32 v4, s24, v3, s0
	s_subb_u32 s23, s23, s1
	s_cmp_lg_u32 s24, 0
	s_subb_u32 s26, s23, 0
	s_delay_alu instid0(VALU_DEP_1)
	v_cmp_le_u32_e32 vcc_lo, s0, v4
	s_cmp_ge_u32 s26, s1
	s_cselect_b32 s27, -1, 0
	s_cmp_eq_u32 s26, s1
	v_cndmask_b32_e64 v6, 0, -1, vcc_lo
	s_cselect_b32 vcc_lo, -1, 0
	s_cmp_lg_u32 s24, 0
	v_sub_co_u32 v7, s24, v4, s0
	s_subb_u32 s23, s23, s1
	s_cmp_lg_u32 s24, 0
	v_cndmask_b32_e32 v6, s27, v6, vcc_lo
	s_subb_u32 s23, s23, 0
	s_cmp_lg_u32 s15, 0
	v_cmp_le_u32_e32 vcc_lo, s0, v3
	s_subb_u32 s15, s25, s21
	s_delay_alu instid0(SALU_CYCLE_1)
	s_cmp_ge_u32 s15, s1
	v_cndmask_b32_e64 v8, 0, -1, vcc_lo
	s_cselect_b32 s21, -1, 0
	s_cmp_eq_u32 s15, s1
	v_cmp_ne_u32_e32 vcc_lo, 0, v6
	v_mov_b32_e32 v6, s23
	s_cselect_b32 s0, -1, 0
	s_delay_alu instid0(SALU_CYCLE_1) | instskip(SKIP_1) | instid1(VALU_DEP_3)
	v_cndmask_b32_e64 v8, s21, v8, s0
	v_cndmask_b32_e32 v4, v4, v7, vcc_lo
	v_cndmask_b32_e32 v6, s26, v6, vcc_lo
	s_delay_alu instid0(VALU_DEP_3) | instskip(NEXT) | instid1(VALU_DEP_3)
	v_cmp_ne_u32_e32 vcc_lo, 0, v8
	v_cndmask_b32_e32 v3, v3, v4, vcc_lo
	s_delay_alu instid0(VALU_DEP_3) | instskip(NEXT) | instid1(VALU_DEP_2)
	v_cndmask_b32_e32 v6, s15, v6, vcc_lo
	v_xor_b32_e32 v3, s22, v3
	s_delay_alu instid0(VALU_DEP_2) | instskip(NEXT) | instid1(VALU_DEP_2)
	v_xor_b32_e32 v4, s22, v6
	v_sub_co_u32 v3, vcc_lo, v3, s22
	s_delay_alu instid0(VALU_DEP_2)
	v_subrev_co_ci_u32_e32 v4, vcc_lo, s22, v4, vcc_lo
	s_and_not1_b32 vcc_lo, exec_lo, s20
	s_cbranch_vccnz .LBB80_52
.LBB80_51:
	v_cvt_f32_u32_e32 v3, s8
	s_sub_i32 s0, 0, s8
	s_delay_alu instid0(VALU_DEP_1) | instskip(SKIP_2) | instid1(VALU_DEP_1)
	v_rcp_iflag_f32_e32 v3, v3
	s_waitcnt_depctr 0xfff
	v_mul_f32_e32 v3, 0x4f7ffffe, v3
	v_cvt_u32_f32_e32 v3, v3
	s_delay_alu instid0(VALU_DEP_1) | instskip(NEXT) | instid1(VALU_DEP_1)
	v_mul_lo_u32 v4, s0, v3
	v_mul_hi_u32 v4, v3, v4
	s_delay_alu instid0(VALU_DEP_1) | instskip(NEXT) | instid1(VALU_DEP_1)
	v_add_nc_u32_e32 v3, v3, v4
	v_mul_hi_u32 v3, s12, v3
	s_delay_alu instid0(VALU_DEP_1) | instskip(NEXT) | instid1(VALU_DEP_1)
	v_mul_lo_u32 v3, v3, s8
	v_sub_nc_u32_e32 v3, s12, v3
	s_delay_alu instid0(VALU_DEP_1) | instskip(SKIP_1) | instid1(VALU_DEP_2)
	v_subrev_nc_u32_e32 v4, s8, v3
	v_cmp_le_u32_e32 vcc_lo, s8, v3
	v_cndmask_b32_e32 v3, v3, v4, vcc_lo
	s_delay_alu instid0(VALU_DEP_1) | instskip(SKIP_1) | instid1(VALU_DEP_2)
	v_subrev_nc_u32_e32 v4, s8, v3
	v_cmp_le_u32_e32 vcc_lo, s8, v3
	v_dual_cndmask_b32 v3, v3, v4 :: v_dual_mov_b32 v4, 0
.LBB80_52:
	v_div_scale_f32 v6, null, 0x42fe0000, 0x42fe0000, v5
	v_div_scale_f32 v9, vcc_lo, v5, 0x42fe0000, v5
	s_delay_alu instid0(VALU_DEP_3) | instskip(NEXT) | instid1(VALU_DEP_3)
	v_sub_co_u32 v10, s0, s12, v3
	v_rcp_f32_e32 v7, v6
	v_sub_co_ci_u32_e64 v3, s0, s13, v4, s0
	s_lshl_b64 s[0:1], s[16:17], 2
	s_delay_alu instid0(SALU_CYCLE_1) | instskip(NEXT) | instid1(VALU_DEP_1)
	s_add_u32 s0, s0, s6
	v_mul_lo_u32 v11, v3, v1
	s_addc_u32 s1, s1, s7
	s_waitcnt_depctr 0xfff
	v_fma_f32 v8, -v6, v7, 1.0
	s_delay_alu instid0(VALU_DEP_1) | instskip(NEXT) | instid1(VALU_DEP_1)
	v_fmac_f32_e32 v7, v8, v7
	v_mul_f32_e32 v8, v9, v7
	s_delay_alu instid0(VALU_DEP_1) | instskip(NEXT) | instid1(VALU_DEP_1)
	v_fma_f32 v4, -v6, v8, v9
	v_fmac_f32_e32 v8, v4, v7
	v_mul_lo_u32 v4, v10, v2
	v_mad_u64_u32 v[2:3], null, v10, v1, 0
	s_delay_alu instid0(VALU_DEP_3) | instskip(NEXT) | instid1(VALU_DEP_2)
	v_fma_f32 v1, -v6, v8, v9
	v_add3_u32 v3, v3, v4, v11
	s_delay_alu instid0(VALU_DEP_2) | instskip(NEXT) | instid1(VALU_DEP_1)
	v_div_fmas_f32 v1, v1, v7, v8
	v_div_fixup_f32 v4, v1, 0x42fe0000, v5
	s_delay_alu instid0(VALU_DEP_3) | instskip(NEXT) | instid1(VALU_DEP_2)
	v_lshlrev_b64 v[1:2], 2, v[2:3]
	v_max_f32_e32 v3, 0x34000000, v4
	s_delay_alu instid0(VALU_DEP_2) | instskip(NEXT) | instid1(VALU_DEP_3)
	v_add_co_u32 v1, vcc_lo, s0, v1
	v_add_co_ci_u32_e32 v2, vcc_lo, s1, v2, vcc_lo
	global_store_b32 v[1:2], v3, off
.LBB80_53:
	s_or_b32 exec_lo, exec_lo, s3
	s_waitcnt_vscnt null, 0x0
	s_barrier
	buffer_gl0_inv
	s_and_saveexec_b32 s0, s2
	s_cbranch_execz .LBB80_65
; %bb.54:
	s_add_u32 s0, s8, s36
	s_addc_u32 s1, s9, 0
	s_add_u32 s2, s0, -1
	s_addc_u32 s3, s1, -1
	s_delay_alu instid0(SALU_CYCLE_1) | instskip(SKIP_1) | instid1(SALU_CYCLE_1)
	s_or_b64 s[12:13], s[2:3], s[8:9]
	s_mov_b32 s12, 0
	s_cmp_lg_u64 s[12:13], 0
	s_cbranch_scc0 .LBB80_67
; %bb.55:
	s_ashr_i32 s0, s9, 31
	s_delay_alu instid0(SALU_CYCLE_1) | instskip(SKIP_2) | instid1(SALU_CYCLE_1)
	s_add_u32 s20, s8, s0
	s_mov_b32 s1, s0
	s_addc_u32 s21, s9, s0
	s_xor_b64 s[0:1], s[20:21], s[0:1]
	s_delay_alu instid0(SALU_CYCLE_1) | instskip(SKIP_3) | instid1(VALU_DEP_1)
	v_cvt_f32_u32_e32 v1, s0
	v_cvt_f32_u32_e32 v2, s1
	s_sub_u32 s15, 0, s0
	s_subb_u32 s20, 0, s1
	v_fmamk_f32 v1, v2, 0x4f800000, v1
	s_delay_alu instid0(VALU_DEP_1) | instskip(SKIP_2) | instid1(VALU_DEP_1)
	v_rcp_f32_e32 v1, v1
	s_waitcnt_depctr 0xfff
	v_mul_f32_e32 v1, 0x5f7ffffc, v1
	v_mul_f32_e32 v2, 0x2f800000, v1
	s_delay_alu instid0(VALU_DEP_1) | instskip(NEXT) | instid1(VALU_DEP_1)
	v_trunc_f32_e32 v2, v2
	v_fmamk_f32 v1, v2, 0xcf800000, v1
	v_cvt_u32_f32_e32 v2, v2
	s_delay_alu instid0(VALU_DEP_2) | instskip(NEXT) | instid1(VALU_DEP_2)
	v_cvt_u32_f32_e32 v1, v1
	v_readfirstlane_b32 s9, v2
	s_delay_alu instid0(VALU_DEP_2) | instskip(NEXT) | instid1(VALU_DEP_2)
	v_readfirstlane_b32 s13, v1
	s_mul_i32 s21, s15, s9
	s_delay_alu instid0(VALU_DEP_1)
	s_mul_hi_u32 s23, s15, s13
	s_mul_i32 s22, s20, s13
	s_add_i32 s21, s23, s21
	s_mul_i32 s24, s15, s13
	s_add_i32 s21, s21, s22
	s_mul_hi_u32 s23, s13, s24
	s_mul_hi_u32 s25, s9, s24
	s_mul_i32 s22, s9, s24
	s_mul_hi_u32 s24, s13, s21
	s_mul_i32 s13, s13, s21
	s_mul_hi_u32 s26, s9, s21
	s_add_u32 s13, s23, s13
	s_addc_u32 s23, 0, s24
	s_add_u32 s13, s13, s22
	s_mul_i32 s21, s9, s21
	s_addc_u32 s13, s23, s25
	s_addc_u32 s22, s26, 0
	s_add_u32 s13, s13, s21
	s_addc_u32 s21, 0, s22
	v_add_co_u32 v1, s13, v1, s13
	s_delay_alu instid0(VALU_DEP_1) | instskip(SKIP_1) | instid1(VALU_DEP_1)
	s_cmp_lg_u32 s13, 0
	s_addc_u32 s9, s9, s21
	v_readfirstlane_b32 s13, v1
	s_mul_i32 s21, s15, s9
	s_delay_alu instid0(VALU_DEP_1)
	s_mul_hi_u32 s22, s15, s13
	s_mul_i32 s20, s20, s13
	s_add_i32 s21, s22, s21
	s_mul_i32 s15, s15, s13
	s_add_i32 s21, s21, s20
	s_mul_hi_u32 s22, s9, s15
	s_mul_i32 s23, s9, s15
	s_mul_hi_u32 s15, s13, s15
	s_mul_hi_u32 s24, s13, s21
	s_mul_i32 s13, s13, s21
	s_mul_hi_u32 s20, s9, s21
	s_add_u32 s13, s15, s13
	s_addc_u32 s15, 0, s24
	s_add_u32 s13, s13, s23
	s_mul_i32 s21, s9, s21
	s_addc_u32 s13, s15, s22
	s_addc_u32 s15, s20, 0
	s_add_u32 s13, s13, s21
	s_addc_u32 s15, 0, s15
	v_add_co_u32 v1, s13, v1, s13
	s_delay_alu instid0(VALU_DEP_1) | instskip(SKIP_2) | instid1(VALU_DEP_1)
	s_cmp_lg_u32 s13, 0
	s_addc_u32 s9, s9, s15
	s_ashr_i32 s20, s3, 31
	v_readfirstlane_b32 s13, v1
	s_add_u32 s22, s2, s20
	s_mov_b32 s21, s20
	s_addc_u32 s23, s3, s20
	s_delay_alu instid0(SALU_CYCLE_1) | instskip(NEXT) | instid1(SALU_CYCLE_1)
	s_xor_b64 s[22:23], s[22:23], s[20:21]
	s_mul_i32 s21, s22, s9
	s_mul_hi_u32 s24, s22, s13
	s_mul_hi_u32 s15, s22, s9
	;; [unrolled: 1-line block ×3, first 2 shown]
	s_mul_i32 s13, s23, s13
	s_add_u32 s21, s24, s21
	s_addc_u32 s15, 0, s15
	s_mul_hi_u32 s25, s23, s9
	s_add_u32 s13, s21, s13
	s_mul_i32 s9, s23, s9
	s_addc_u32 s13, s15, s26
	s_addc_u32 s15, s25, 0
	s_add_u32 s9, s13, s9
	s_addc_u32 s13, 0, s15
	s_mul_hi_u32 s15, s0, s9
	s_mul_i32 s13, s0, s13
	s_mul_i32 s21, s1, s9
	;; [unrolled: 1-line block ×3, first 2 shown]
	s_add_i32 s13, s15, s13
	v_sub_co_u32 v1, s9, s22, s9
	s_add_i32 s13, s13, s21
	s_delay_alu instid0(SALU_CYCLE_1) | instskip(SKIP_1) | instid1(VALU_DEP_1)
	s_sub_i32 s15, s23, s13
	s_cmp_lg_u32 s9, 0
	v_sub_co_u32 v2, s21, v1, s0
	s_subb_u32 s15, s15, s1
	s_cmp_lg_u32 s21, 0
	s_subb_u32 s22, s15, 0
	s_delay_alu instid0(VALU_DEP_1)
	v_cmp_le_u32_e32 vcc_lo, s0, v2
	s_cmp_ge_u32 s22, s1
	s_cselect_b32 s24, -1, 0
	s_cmp_eq_u32 s22, s1
	v_cndmask_b32_e64 v3, 0, -1, vcc_lo
	s_cselect_b32 vcc_lo, -1, 0
	s_cmp_lg_u32 s21, 0
	v_sub_co_u32 v4, s21, v2, s0
	s_subb_u32 s15, s15, s1
	s_cmp_lg_u32 s21, 0
	v_cndmask_b32_e32 v3, s24, v3, vcc_lo
	s_subb_u32 s15, s15, 0
	s_cmp_lg_u32 s9, 0
	v_cmp_le_u32_e32 vcc_lo, s0, v1
	s_subb_u32 s9, s23, s13
	s_delay_alu instid0(SALU_CYCLE_1)
	s_cmp_ge_u32 s9, s1
	v_cndmask_b32_e64 v5, 0, -1, vcc_lo
	s_cselect_b32 s13, -1, 0
	s_cmp_eq_u32 s9, s1
	v_cmp_ne_u32_e32 vcc_lo, 0, v3
	v_mov_b32_e32 v3, s15
	s_cselect_b32 s0, -1, 0
	s_delay_alu instid0(SALU_CYCLE_1) | instskip(SKIP_1) | instid1(VALU_DEP_3)
	v_cndmask_b32_e64 v5, s13, v5, s0
	v_cndmask_b32_e32 v2, v2, v4, vcc_lo
	v_cndmask_b32_e32 v3, s22, v3, vcc_lo
	s_delay_alu instid0(VALU_DEP_3) | instskip(NEXT) | instid1(VALU_DEP_3)
	v_cmp_ne_u32_e32 vcc_lo, 0, v5
	v_cndmask_b32_e32 v1, v1, v2, vcc_lo
	s_delay_alu instid0(VALU_DEP_3) | instskip(NEXT) | instid1(VALU_DEP_2)
	v_cndmask_b32_e32 v3, s9, v3, vcc_lo
	v_xor_b32_e32 v1, s20, v1
	s_delay_alu instid0(VALU_DEP_2) | instskip(NEXT) | instid1(VALU_DEP_2)
	v_xor_b32_e32 v2, s20, v3
	v_sub_co_u32 v1, vcc_lo, v1, s20
	s_delay_alu instid0(VALU_DEP_2)
	v_subrev_co_ci_u32_e32 v2, vcc_lo, s20, v2, vcc_lo
	s_and_not1_b32 vcc_lo, exec_lo, s12
	s_cbranch_vccnz .LBB80_57
.LBB80_56:
	v_cvt_f32_u32_e32 v1, s8
	s_sub_i32 s0, 0, s8
	s_delay_alu instid0(VALU_DEP_1) | instskip(SKIP_2) | instid1(VALU_DEP_1)
	v_rcp_iflag_f32_e32 v1, v1
	s_waitcnt_depctr 0xfff
	v_mul_f32_e32 v1, 0x4f7ffffe, v1
	v_cvt_u32_f32_e32 v1, v1
	s_delay_alu instid0(VALU_DEP_1) | instskip(NEXT) | instid1(VALU_DEP_1)
	v_mul_lo_u32 v2, s0, v1
	v_mul_hi_u32 v2, v1, v2
	s_delay_alu instid0(VALU_DEP_1) | instskip(NEXT) | instid1(VALU_DEP_1)
	v_add_nc_u32_e32 v1, v1, v2
	v_mul_hi_u32 v1, s2, v1
	s_delay_alu instid0(VALU_DEP_1) | instskip(NEXT) | instid1(VALU_DEP_1)
	v_mul_lo_u32 v1, v1, s8
	v_sub_nc_u32_e32 v1, s2, v1
	s_delay_alu instid0(VALU_DEP_1) | instskip(SKIP_1) | instid1(VALU_DEP_2)
	v_subrev_nc_u32_e32 v2, s8, v1
	v_cmp_le_u32_e32 vcc_lo, s8, v1
	v_cndmask_b32_e32 v1, v1, v2, vcc_lo
	s_delay_alu instid0(VALU_DEP_1) | instskip(SKIP_1) | instid1(VALU_DEP_2)
	v_subrev_nc_u32_e32 v2, s8, v1
	v_cmp_le_u32_e32 vcc_lo, s8, v1
	v_dual_cndmask_b32 v1, v1, v2 :: v_dual_mov_b32 v2, 0
.LBB80_57:
	s_delay_alu instid0(VALU_DEP_1)
	v_sub_co_u32 v5, vcc_lo, s2, v1
	s_add_u32 s1, s4, s18
	s_addc_u32 s4, s5, s19
	s_lshl_b64 s[8:9], s[16:17], 2
	v_sub_co_ci_u32_e32 v6, vcc_lo, s3, v2, vcc_lo
	v_mov_b32_e32 v1, 0
	s_add_u32 s5, s6, s8
	s_addc_u32 s6, s7, s9
	s_mul_i32 s2, s35, 3
	s_lshl_b32 s3, s35, 1
	s_mov_b32 s7, 0
	s_add_i32 s8, s35, s35
                                        ; implicit-def: $sgpr9
	s_branch .LBB80_61
.LBB80_58:                              ;   in Loop: Header=BB80_61 Depth=1
	s_or_b32 exec_lo, exec_lo, s15
	s_delay_alu instid0(SALU_CYCLE_1)
	s_or_not1_b32 s0, s0, exec_lo
.LBB80_59:                              ;   in Loop: Header=BB80_61 Depth=1
	s_or_b32 exec_lo, exec_lo, s13
	s_delay_alu instid0(SALU_CYCLE_1) | instskip(SKIP_1) | instid1(SALU_CYCLE_1)
	s_and_not1_b32 s9, s9, exec_lo
	s_and_b32 s0, s0, exec_lo
	s_or_b32 s9, s9, s0
.LBB80_60:                              ;   in Loop: Header=BB80_61 Depth=1
	s_or_b32 exec_lo, exec_lo, s12
	s_delay_alu instid0(SALU_CYCLE_1) | instskip(NEXT) | instid1(SALU_CYCLE_1)
	s_and_b32 s0, exec_lo, s9
	s_or_b32 s7, s0, s7
	s_delay_alu instid0(SALU_CYCLE_1)
	s_and_not1_b32 exec_lo, exec_lo, s7
	s_cbranch_execz .LBB80_65
.LBB80_61:                              ; =>This Inner Loop Header: Depth=1
	v_lshlrev_b64 v[2:3], 3, v[0:1]
	v_bfe_u32 v17, v0, 4, 26
	s_or_b32 s9, s9, exec_lo
	s_mov_b32 s12, exec_lo
	s_delay_alu instid0(VALU_DEP_2) | instskip(NEXT) | instid1(VALU_DEP_3)
	v_add_co_u32 v7, vcc_lo, s30, v2
	v_add_co_ci_u32_e32 v8, vcc_lo, s31, v3, vcc_lo
	v_add_co_u32 v9, vcc_lo, s10, v2
	v_add_co_ci_u32_e32 v10, vcc_lo, s11, v3, vcc_lo
	global_load_b64 v[7:8], v[7:8], off
	v_add_co_u32 v11, vcc_lo, s33, v2
	v_add_co_ci_u32_e32 v12, vcc_lo, s34, v3, vcc_lo
	global_load_b64 v[2:3], v[9:10], off
	v_mad_u64_u32 v[9:10], null, v5, v17, 0
	global_load_b64 v[13:14], v[11:12], off
	v_mov_b32_e32 v4, v10
	s_delay_alu instid0(VALU_DEP_1) | instskip(SKIP_1) | instid1(VALU_DEP_1)
	v_mad_u64_u32 v[15:16], null, v6, v17, v[4:5]
	s_waitcnt vmcnt(2)
	v_dual_mov_b32 v10, v15 :: v_dual_lshlrev_b32 v17, 16, v7
	s_delay_alu instid0(VALU_DEP_1) | instskip(SKIP_2) | instid1(VALU_DEP_3)
	v_lshlrev_b64 v[9:10], 2, v[9:10]
	v_and_b32_e32 v15, 0xffff0000, v7
	v_alignbit_b32 v7, v8, v7, 16
	v_add_co_u32 v9, vcc_lo, s5, v9
	s_delay_alu instid0(VALU_DEP_4)
	v_add_co_ci_u32_e32 v10, vcc_lo, s6, v10, vcc_lo
	s_waitcnt vmcnt(0)
	v_and_b32_e32 v18, 0xffff0000, v13
	v_and_b32_e32 v8, 0xffff0000, v8
	;; [unrolled: 1-line block ×3, first 2 shown]
	global_load_b32 v4, v[9:10], off
	v_lshlrev_b64 v[9:10], 2, v[0:1]
	v_add_f32_e32 v15, v15, v18
	v_lshlrev_b32_e32 v19, 16, v13
	v_alignbit_b32 v13, v14, v13, 16
	s_delay_alu instid0(VALU_DEP_3) | instskip(NEXT) | instid1(VALU_DEP_2)
	v_mul_f32_e32 v21, v28, v15
	v_and_b32_e32 v13, 0xffff0000, v13
	v_and_b32_e32 v14, 0xffff0000, v14
	s_delay_alu instid0(VALU_DEP_3) | instskip(NEXT) | instid1(VALU_DEP_2)
	v_bfe_u32 v25, v21, 16, 1
	v_dual_add_f32 v7, v7, v13 :: v_dual_add_f32 v8, v8, v14
	v_dual_add_f32 v17, v17, v19 :: v_dual_and_b32 v16, 0xffff0000, v2
	v_lshlrev_b32_e32 v20, 16, v2
	v_bfe_u32 v14, v15, 16, 1
	s_delay_alu instid0(VALU_DEP_4) | instskip(SKIP_3) | instid1(VALU_DEP_4)
	v_bfe_u32 v18, v8, 16, 1
	v_alignbit_b32 v2, v3, v2, 16
	v_mul_f32_e32 v19, v28, v17
	v_dual_mul_f32 v22, v28, v8 :: v_dual_and_b32 v3, 0xffff0000, v3
	v_add3_u32 v18, v8, v18, 0x7fff
	v_add3_u32 v14, v15, v14, 0x7fff
	s_delay_alu instid0(VALU_DEP_4)
	v_bfe_u32 v24, v19, 16, 1
	v_mul_f32_e32 v26, v28, v7
	v_cmp_o_f32_e32 vcc_lo, v8, v8
	v_and_b32_e32 v18, 0xffff0000, v18
	v_and_b32_e32 v14, 0xffff0000, v14
	v_add3_u32 v24, v19, v24, 0x7fff
	v_add3_u32 v25, v21, v25, 0x7fff
	v_bfe_u32 v29, v26, 16, 1
	v_cndmask_b32_e32 v8, 0x7fc00000, v18, vcc_lo
	v_cmp_o_f32_e32 vcc_lo, v15, v15
	v_and_b32_e32 v18, 0xffff0000, v24
	v_and_b32_e32 v24, 0xffff0000, v25
	v_add3_u32 v25, v26, v29, 0x7fff
	v_bfe_u32 v27, v22, 16, 1
	v_cndmask_b32_e32 v14, 0x7fc00000, v14, vcc_lo
	v_cmp_o_f32_e32 vcc_lo, v19, v19
	v_cmp_o_f32_e64 s0, v26, v26
	v_bfe_u32 v13, v17, 16, 1
	v_add3_u32 v27, v22, v27, 0x7fff
	v_bfe_u32 v23, v7, 16, 1
	v_cndmask_b32_e32 v18, 0x7fc00000, v18, vcc_lo
	v_cmp_o_f32_e32 vcc_lo, v21, v21
	v_and_b32_e32 v21, 0xffff0000, v25
	v_add3_u32 v13, v17, v13, 0x7fff
	v_add3_u32 v23, v7, v23, 0x7fff
	v_mul_f32_e32 v18, v18, v20
	s_delay_alu instid0(VALU_DEP_4) | instskip(SKIP_2) | instid1(VALU_DEP_4)
	v_cndmask_b32_e64 v21, 0x7fc00000, v21, s0
	v_cndmask_b32_e32 v19, 0x7fc00000, v24, vcc_lo
	v_cmp_o_f32_e32 vcc_lo, v22, v22
	v_bfe_u32 v20, v18, 16, 1
	v_lshrrev_b32_e32 v13, 16, v13
	v_lshrrev_b32_e32 v23, 16, v23
	s_delay_alu instid0(VALU_DEP_3) | instskip(NEXT) | instid1(VALU_DEP_1)
	v_add3_u32 v20, v18, v20, 0x7fff
	v_and_b32_e32 v20, 0xffff0000, v20
	s_waitcnt vmcnt(0)
	v_div_scale_f32 v30, null, v4, v4, 1.0
	s_delay_alu instid0(VALU_DEP_1) | instskip(SKIP_2) | instid1(VALU_DEP_1)
	v_rcp_f32_e32 v15, v30
	s_waitcnt_depctr 0xfff
	v_fma_f32 v24, -v30, v15, 1.0
	v_dual_fmac_f32 v15, v24, v15 :: v_dual_and_b32 v2, 0xffff0000, v2
	s_delay_alu instid0(VALU_DEP_1) | instskip(SKIP_1) | instid1(VALU_DEP_2)
	v_dual_mul_f32 v2, v21, v2 :: v_dual_and_b32 v27, 0xffff0000, v27
	v_mul_f32_e32 v16, v19, v16
	v_bfe_u32 v26, v2, 16, 1
	s_delay_alu instid0(VALU_DEP_3) | instskip(SKIP_1) | instid1(VALU_DEP_4)
	v_cndmask_b32_e32 v22, 0x7fc00000, v27, vcc_lo
	v_div_scale_f32 v25, vcc_lo, 1.0, v4, 1.0
	v_bfe_u32 v21, v16, 16, 1
	s_delay_alu instid0(VALU_DEP_3) | instskip(NEXT) | instid1(VALU_DEP_3)
	v_mul_f32_e32 v3, v22, v3
	v_mul_f32_e32 v19, v25, v15
	s_delay_alu instid0(VALU_DEP_3) | instskip(NEXT) | instid1(VALU_DEP_3)
	v_add3_u32 v21, v16, v21, 0x7fff
	v_bfe_u32 v24, v3, 16, 1
	s_delay_alu instid0(VALU_DEP_3) | instskip(NEXT) | instid1(VALU_DEP_1)
	v_fma_f32 v22, -v30, v19, v25
	v_fmac_f32_e32 v19, v22, v15
	s_delay_alu instid0(VALU_DEP_3) | instskip(SKIP_1) | instid1(VALU_DEP_3)
	v_add3_u32 v22, v3, v24, 0x7fff
	v_add3_u32 v24, v2, v26, 0x7fff
	v_fma_f32 v25, -v30, v19, v25
	s_delay_alu instid0(VALU_DEP_3) | instskip(NEXT) | instid1(VALU_DEP_3)
	v_and_b32_e32 v22, 0xffff0000, v22
	v_and_b32_e32 v24, 0xffff0000, v24
	s_delay_alu instid0(VALU_DEP_3) | instskip(SKIP_1) | instid1(VALU_DEP_2)
	v_div_fmas_f32 v15, v25, v15, v19
	v_cmp_o_f32_e32 vcc_lo, v18, v18
	v_div_fixup_f32 v4, v15, v4, 1.0
	v_cndmask_b32_e32 v18, 0x7fc00000, v20, vcc_lo
	v_cmp_o_f32_e32 vcc_lo, v2, v2
	v_and_b32_e32 v21, 0xffff0000, v21
	v_cndmask_b32_e32 v2, 0x7fc00000, v24, vcc_lo
	v_cmp_o_f32_e32 vcc_lo, v16, v16
	v_mul_f32_e32 v16, v4, v18
	s_delay_alu instid0(VALU_DEP_3) | instskip(SKIP_1) | instid1(VALU_DEP_2)
	v_dual_mul_f32 v2, v4, v2 :: v_dual_cndmask_b32 v15, 0x7fc00000, v21
	v_cmp_o_f32_e32 vcc_lo, v3, v3
	v_rndne_f32_e32 v2, v2
	s_delay_alu instid0(VALU_DEP_3) | instskip(SKIP_2) | instid1(VALU_DEP_3)
	v_mul_f32_e32 v15, v4, v15
	v_cndmask_b32_e32 v3, 0x7fc00000, v22, vcc_lo
	v_cmp_o_f32_e32 vcc_lo, v17, v17
	v_rndne_f32_e32 v15, v15
	s_delay_alu instid0(VALU_DEP_3) | instskip(SKIP_3) | instid1(VALU_DEP_4)
	v_mul_f32_e32 v3, v4, v3
	v_cndmask_b32_e32 v13, 0x7fc0, v13, vcc_lo
	v_cmp_o_f32_e32 vcc_lo, v7, v7
	v_rndne_f32_e32 v7, v16
	v_rndne_f32_e32 v3, v3
	s_delay_alu instid0(VALU_DEP_4) | instskip(SKIP_2) | instid1(VALU_DEP_2)
	v_or_b32_e32 v13, v13, v14
	v_cndmask_b32_e32 v4, 0x7fc0, v23, vcc_lo
	v_cmp_nlt_f32_e32 vcc_lo, 0x42fe0000, v2
	v_or3_b32 v4, 0, v4, v8
	v_cndmask_b32_e32 v16, 0x42fe0000, v2, vcc_lo
	v_cmp_nlt_f32_e32 vcc_lo, 0x42fe0000, v7
	v_cndmask_b32_e32 v17, 0x42fe0000, v7, vcc_lo
	v_cmp_nlt_f32_e32 vcc_lo, 0x42fe0000, v15
	v_cndmask_b32_e32 v18, 0x42fe0000, v15, vcc_lo
	v_cmp_ngt_f32_e32 vcc_lo, 0xc3000000, v2
	v_cndmask_b32_e32 v2, 0xc3000000, v16, vcc_lo
	v_cmp_nlt_f32_e32 vcc_lo, 0x42fe0000, v3
	s_delay_alu instid0(VALU_DEP_2) | instskip(SKIP_2) | instid1(VALU_DEP_3)
	v_cvt_i32_f32_e32 v2, v2
	v_cndmask_b32_e32 v16, 0x42fe0000, v3, vcc_lo
	v_cmp_ngt_f32_e32 vcc_lo, 0xc3000000, v15
	v_and_b32_e32 v2, 0xff, v2
	v_cndmask_b32_e32 v15, 0xc3000000, v18, vcc_lo
	v_cmp_ngt_f32_e32 vcc_lo, 0xc3000000, v7
	s_delay_alu instid0(VALU_DEP_3) | instskip(NEXT) | instid1(VALU_DEP_3)
	v_lshlrev_b32_e32 v2, 16, v2
	v_cvt_i32_f32_e32 v15, v15
	v_cndmask_b32_e32 v7, 0xc3000000, v17, vcc_lo
	v_cmp_ngt_f32_e32 vcc_lo, 0xc3000000, v3
	s_delay_alu instid0(VALU_DEP_3) | instskip(NEXT) | instid1(VALU_DEP_3)
	v_and_b32_e32 v15, 0xff, v15
	v_cvt_i32_f32_e32 v7, v7
	v_cndmask_b32_e32 v3, 0xc3000000, v16, vcc_lo
	s_delay_alu instid0(VALU_DEP_3) | instskip(NEXT) | instid1(VALU_DEP_2)
	v_lshlrev_b32_e32 v15, 8, v15
	v_cvt_i32_f32_e32 v14, v3
	v_or3_b32 v3, v13, 0, 0
	v_and_b32_e32 v13, 0xff, v7
	v_add_co_u32 v7, vcc_lo, s1, v9
	s_delay_alu instid0(VALU_DEP_4)
	v_lshl_or_b32 v14, v14, 24, v2
	v_add_nc_u32_e32 v2, s35, v0
	v_add_co_ci_u32_e32 v8, vcc_lo, s4, v10, vcc_lo
	global_store_b64 v[11:12], v[3:4], off
	v_or3_b32 v9, v14, v15, v13
	global_store_b32 v[7:8], v9, off
	v_cmpx_gt_u32_e64 s14, v2
	s_cbranch_execz .LBB80_60
; %bb.62:                               ;   in Loop: Header=BB80_61 Depth=1
	v_bfe_u32 v19, v2, 4, 26
	s_mov_b32 s13, exec_lo
	s_delay_alu instid0(VALU_DEP_1) | instskip(NEXT) | instid1(VALU_DEP_1)
	v_mad_u64_u32 v[13:14], null, v5, v19, 0
	v_dual_mov_b32 v3, v1 :: v_dual_mov_b32 v4, v14
	s_delay_alu instid0(VALU_DEP_1) | instskip(NEXT) | instid1(VALU_DEP_2)
	v_lshlrev_b64 v[7:8], 3, v[2:3]
	v_mad_u64_u32 v[17:18], null, v6, v19, v[4:5]
	s_delay_alu instid0(VALU_DEP_2) | instskip(NEXT) | instid1(VALU_DEP_3)
	v_add_co_u32 v9, vcc_lo, s30, v7
	v_add_co_ci_u32_e32 v10, vcc_lo, s31, v8, vcc_lo
	v_add_co_u32 v11, vcc_lo, s10, v7
	v_add_co_ci_u32_e32 v12, vcc_lo, s11, v8, vcc_lo
	;; [unrolled: 2-line block ×3, first 2 shown]
	global_load_b64 v[9:10], v[9:10], off
	global_load_b64 v[11:12], v[11:12], off
	v_mov_b32_e32 v14, v17
	global_load_b64 v[15:16], v[7:8], off
	v_lshlrev_b64 v[13:14], 2, v[13:14]
	s_delay_alu instid0(VALU_DEP_1) | instskip(NEXT) | instid1(VALU_DEP_2)
	v_add_co_u32 v13, vcc_lo, s5, v13
	v_add_co_ci_u32_e32 v14, vcc_lo, s6, v14, vcc_lo
	global_load_b32 v4, v[13:14], off
	v_lshlrev_b64 v[13:14], 2, v[2:3]
	s_waitcnt vmcnt(3)
	v_and_b32_e32 v3, 0xffff0000, v9
	s_waitcnt vmcnt(1)
	v_and_b32_e32 v19, 0xffff0000, v15
	v_lshlrev_b32_e32 v18, 16, v9
	v_alignbit_b32 v9, v10, v9, 16
	v_lshlrev_b32_e32 v20, 16, v15
	v_alignbit_b32 v15, v16, v15, 16
	s_delay_alu instid0(VALU_DEP_3) | instskip(NEXT) | instid1(VALU_DEP_2)
	v_and_b32_e32 v9, 0xffff0000, v9
	v_and_b32_e32 v15, 0xffff0000, v15
	s_delay_alu instid0(VALU_DEP_1) | instskip(SKIP_3) | instid1(VALU_DEP_2)
	v_dual_add_f32 v9, v9, v15 :: v_dual_and_b32 v10, 0xffff0000, v10
	v_and_b32_e32 v16, 0xffff0000, v16
	s_waitcnt vmcnt(0)
	v_div_scale_f32 v31, null, v4, v4, 1.0
	v_dual_mul_f32 v27, v28, v9 :: v_dual_add_f32 v10, v10, v16
	v_add_f32_e32 v3, v3, v19
	v_bfe_u32 v24, v9, 16, 1
	s_delay_alu instid0(VALU_DEP_3) | instskip(NEXT) | instid1(VALU_DEP_4)
	v_bfe_u32 v30, v27, 16, 1
	v_bfe_u32 v19, v10, 16, 1
	v_mul_f32_e32 v23, v28, v10
	v_dual_add_f32 v18, v18, v20 :: v_dual_and_b32 v17, 0xffff0000, v11
	v_cmp_o_f32_e32 vcc_lo, v10, v10
	s_delay_alu instid0(VALU_DEP_4)
	v_add3_u32 v19, v10, v19, 0x7fff
	v_lshlrev_b32_e32 v21, 16, v11
	v_bfe_u32 v16, v3, 16, 1
	v_mul_f32_e32 v20, v28, v18
	v_mul_f32_e32 v22, v28, v3
	v_and_b32_e32 v19, 0xffff0000, v19
	v_alignbit_b32 v11, v12, v11, 16
	v_add3_u32 v16, v3, v16, 0x7fff
	v_bfe_u32 v25, v20, 16, 1
	v_bfe_u32 v26, v22, 16, 1
	v_cndmask_b32_e32 v10, 0x7fc00000, v19, vcc_lo
	v_rcp_f32_e32 v19, v31
	v_and_b32_e32 v16, 0xffff0000, v16
	v_add3_u32 v25, v20, v25, 0x7fff
	v_cmp_o_f32_e32 vcc_lo, v3, v3
	v_cmp_o_f32_e64 s0, v20, v20
	v_bfe_u32 v29, v23, 16, 1
	v_add3_u32 v26, v22, v26, 0x7fff
	v_bfe_u32 v15, v18, 16, 1
	v_cndmask_b32_e32 v3, 0x7fc00000, v16, vcc_lo
	v_add3_u32 v24, v9, v24, 0x7fff
	v_fma_f32 v20, -v31, v19, 1.0
	v_and_b32_e32 v12, 0xffff0000, v12
	v_add3_u32 v29, v23, v29, 0x7fff
	v_add3_u32 v15, v18, v15, 0x7fff
	v_lshrrev_b32_e32 v24, 16, v24
	v_dual_fmac_f32 v19, v20, v19 :: v_dual_and_b32 v16, 0xffff0000, v25
	v_and_b32_e32 v25, 0xffff0000, v26
	v_add3_u32 v26, v27, v30, 0x7fff
	v_and_b32_e32 v29, 0xffff0000, v29
	v_div_scale_f32 v30, vcc_lo, 1.0, v4, 1.0
	v_cndmask_b32_e64 v16, 0x7fc00000, v16, s0
	v_cmp_o_f32_e64 s0, v22, v22
	v_lshrrev_b32_e32 v15, 16, v15
	s_delay_alu instid0(VALU_DEP_3) | instskip(NEXT) | instid1(VALU_DEP_3)
	v_mul_f32_e32 v16, v16, v21
	v_cndmask_b32_e64 v22, 0x7fc00000, v25, s0
	v_cmp_o_f32_e64 s0, v23, v23
	v_and_b32_e32 v25, 0xffff0000, v26
	v_mul_f32_e32 v21, v30, v19
	s_delay_alu instid0(VALU_DEP_4) | instskip(NEXT) | instid1(VALU_DEP_4)
	v_mul_f32_e32 v17, v22, v17
	v_cndmask_b32_e64 v23, 0x7fc00000, v29, s0
	v_cmp_o_f32_e64 s0, v27, v27
	v_and_b32_e32 v11, 0xffff0000, v11
	s_delay_alu instid0(VALU_DEP_4) | instskip(NEXT) | instid1(VALU_DEP_4)
	v_bfe_u32 v22, v17, 16, 1
	v_mul_f32_e32 v12, v23, v12
	s_delay_alu instid0(VALU_DEP_4)
	v_cndmask_b32_e64 v20, 0x7fc00000, v25, s0
	v_fma_f32 v23, -v31, v21, v30
	s_mov_b32 s0, -1
	v_add3_u32 v22, v17, v22, 0x7fff
	v_bfe_u32 v25, v12, 16, 1
	v_mul_f32_e32 v11, v20, v11
	v_bfe_u32 v20, v16, 16, 1
	s_delay_alu instid0(VALU_DEP_4) | instskip(NEXT) | instid1(VALU_DEP_4)
	v_dual_fmac_f32 v21, v23, v19 :: v_dual_and_b32 v22, 0xffff0000, v22
	v_add3_u32 v23, v12, v25, 0x7fff
	s_delay_alu instid0(VALU_DEP_3) | instskip(NEXT) | instid1(VALU_DEP_2)
	v_add3_u32 v20, v16, v20, 0x7fff
	v_and_b32_e32 v23, 0xffff0000, v23
	s_delay_alu instid0(VALU_DEP_2) | instskip(SKIP_1) | instid1(VALU_DEP_1)
	v_and_b32_e32 v20, 0xffff0000, v20
	v_bfe_u32 v26, v11, 16, 1
	v_add3_u32 v25, v11, v26, 0x7fff
	v_fma_f32 v26, -v31, v21, v30
	s_delay_alu instid0(VALU_DEP_2) | instskip(NEXT) | instid1(VALU_DEP_2)
	v_and_b32_e32 v25, 0xffff0000, v25
	v_div_fmas_f32 v19, v26, v19, v21
	v_cmp_o_f32_e32 vcc_lo, v16, v16
	s_delay_alu instid0(VALU_DEP_2) | instskip(SKIP_4) | instid1(VALU_DEP_2)
	v_div_fixup_f32 v4, v19, v4, 1.0
	v_cndmask_b32_e32 v16, 0x7fc00000, v20, vcc_lo
	v_cmp_o_f32_e32 vcc_lo, v11, v11
	v_cndmask_b32_e32 v11, 0x7fc00000, v25, vcc_lo
	v_cmp_o_f32_e32 vcc_lo, v17, v17
	v_mul_f32_e32 v11, v4, v11
	v_cndmask_b32_e32 v17, 0x7fc00000, v22, vcc_lo
	v_cmp_o_f32_e32 vcc_lo, v12, v12
	v_mul_f32_e32 v16, v4, v16
	s_delay_alu instid0(VALU_DEP_4) | instskip(NEXT) | instid1(VALU_DEP_4)
	v_rndne_f32_e32 v11, v11
	v_dual_mul_f32 v17, v4, v17 :: v_dual_cndmask_b32 v12, 0x7fc00000, v23
	v_cmp_o_f32_e32 vcc_lo, v18, v18
	s_delay_alu instid0(VALU_DEP_2) | instskip(SKIP_3) | instid1(VALU_DEP_4)
	v_dual_mul_f32 v4, v4, v12 :: v_dual_cndmask_b32 v15, 0x7fc0, v15
	v_cmp_o_f32_e32 vcc_lo, v9, v9
	v_rndne_f32_e32 v12, v16
	v_rndne_f32_e32 v16, v17
	;; [unrolled: 1-line block ×3, first 2 shown]
	v_or_b32_e32 v3, v15, v3
	v_cndmask_b32_e32 v9, 0x7fc0, v24, vcc_lo
	v_cmp_nlt_f32_e32 vcc_lo, 0x42fe0000, v11
	s_delay_alu instid0(VALU_DEP_2)
	v_or3_b32 v10, 0, v9, v10
	v_cndmask_b32_e32 v17, 0x42fe0000, v11, vcc_lo
	v_cmp_nlt_f32_e32 vcc_lo, 0x42fe0000, v12
	v_or3_b32 v9, v3, 0, 0
	v_add_nc_u32_e32 v3, s3, v0
	v_cndmask_b32_e32 v18, 0x42fe0000, v12, vcc_lo
	v_cmp_nlt_f32_e32 vcc_lo, 0x42fe0000, v16
	global_store_b64 v[7:8], v[9:10], off
	v_cndmask_b32_e32 v19, 0x42fe0000, v16, vcc_lo
	v_cmp_ngt_f32_e32 vcc_lo, 0xc3000000, v11
	v_cndmask_b32_e32 v11, 0xc3000000, v17, vcc_lo
	v_cmp_nlt_f32_e32 vcc_lo, 0x42fe0000, v4
	s_delay_alu instid0(VALU_DEP_2) | instskip(SKIP_2) | instid1(VALU_DEP_3)
	v_cvt_i32_f32_e32 v11, v11
	v_cndmask_b32_e32 v17, 0x42fe0000, v4, vcc_lo
	v_cmp_ngt_f32_e32 vcc_lo, 0xc3000000, v16
	v_and_b32_e32 v11, 0xff, v11
	v_cndmask_b32_e32 v16, 0xc3000000, v19, vcc_lo
	v_cmp_ngt_f32_e32 vcc_lo, 0xc3000000, v12
	s_delay_alu instid0(VALU_DEP_3) | instskip(NEXT) | instid1(VALU_DEP_3)
	v_lshlrev_b32_e32 v11, 16, v11
	v_cvt_i32_f32_e32 v16, v16
	s_delay_alu instid0(VALU_DEP_1) | instskip(SKIP_2) | instid1(VALU_DEP_3)
	v_and_b32_e32 v15, 0xff, v16
	v_cndmask_b32_e32 v12, 0xc3000000, v18, vcc_lo
	v_cmp_ngt_f32_e32 vcc_lo, 0xc3000000, v4
	v_lshlrev_b32_e32 v15, 8, v15
	s_delay_alu instid0(VALU_DEP_3) | instskip(SKIP_1) | instid1(VALU_DEP_2)
	v_cvt_i32_f32_e32 v12, v12
	v_cndmask_b32_e32 v4, 0xc3000000, v17, vcc_lo
	v_and_b32_e32 v16, 0xff, v12
	s_delay_alu instid0(VALU_DEP_2) | instskip(NEXT) | instid1(VALU_DEP_1)
	v_cvt_i32_f32_e32 v4, v4
	v_lshl_or_b32 v4, v4, 24, v11
	v_add_co_u32 v11, vcc_lo, s1, v13
	v_add_co_ci_u32_e32 v12, vcc_lo, s4, v14, vcc_lo
	s_delay_alu instid0(VALU_DEP_3)
	v_or3_b32 v4, v4, v15, v16
	global_store_b32 v[11:12], v4, off
	v_cmpx_gt_u32_e64 s14, v3
	s_cbranch_execz .LBB80_59
; %bb.63:                               ;   in Loop: Header=BB80_61 Depth=1
	v_mov_b32_e32 v4, v1
	v_bfe_u32 v19, v3, 4, 26
	v_add_nc_u32_e32 v0, s2, v0
	s_mov_b32 s15, exec_lo
	s_delay_alu instid0(VALU_DEP_3) | instskip(NEXT) | instid1(VALU_DEP_3)
	v_lshlrev_b64 v[7:8], 3, v[3:4]
	v_mad_u64_u32 v[13:14], null, v5, v19, 0
	s_delay_alu instid0(VALU_DEP_2) | instskip(NEXT) | instid1(VALU_DEP_3)
	v_add_co_u32 v9, vcc_lo, s30, v7
	v_add_co_ci_u32_e32 v10, vcc_lo, s31, v8, vcc_lo
	v_add_co_u32 v11, vcc_lo, s10, v7
	v_add_co_ci_u32_e32 v12, vcc_lo, s11, v8, vcc_lo
	;; [unrolled: 2-line block ×3, first 2 shown]
	global_load_b64 v[9:10], v[9:10], off
	global_load_b64 v[11:12], v[11:12], off
	global_load_b64 v[15:16], v[7:8], off
	s_waitcnt vmcnt(0)
	v_mad_u64_u32 v[17:18], null, v6, v19, v[14:15]
	v_lshlrev_b32_e32 v18, 16, v9
	s_delay_alu instid0(VALU_DEP_2)
	v_dual_mov_b32 v14, v17 :: v_dual_and_b32 v19, 0xffff0000, v15
	v_and_b32_e32 v17, 0xffff0000, v11
	v_lshlrev_b32_e32 v20, 16, v15
	v_alignbit_b32 v15, v16, v15, 16
	v_and_b32_e32 v16, 0xffff0000, v16
	v_lshlrev_b64 v[13:14], 2, v[13:14]
	v_lshlrev_b64 v[3:4], 2, v[3:4]
	s_delay_alu instid0(VALU_DEP_4) | instskip(NEXT) | instid1(VALU_DEP_3)
	v_and_b32_e32 v15, 0xffff0000, v15
	v_add_co_u32 v13, vcc_lo, s5, v13
	s_delay_alu instid0(VALU_DEP_4) | instskip(SKIP_3) | instid1(VALU_DEP_1)
	v_add_co_ci_u32_e32 v14, vcc_lo, s6, v14, vcc_lo
	global_load_b32 v13, v[13:14], off
	v_and_b32_e32 v14, 0xffff0000, v9
	v_alignbit_b32 v9, v10, v9, 16
	v_and_b32_e32 v9, 0xffff0000, v9
	s_delay_alu instid0(VALU_DEP_1) | instskip(NEXT) | instid1(VALU_DEP_4)
	v_add_f32_e32 v9, v9, v15
	v_add_f32_e32 v14, v14, v19
	s_delay_alu instid0(VALU_DEP_2) | instskip(SKIP_1) | instid1(VALU_DEP_2)
	v_dual_mul_f32 v27, v28, v9 :: v_dual_and_b32 v10, 0xffff0000, v10
	v_bfe_u32 v24, v9, 16, 1
	v_add_f32_e32 v10, v10, v16
	s_delay_alu instid0(VALU_DEP_4) | instskip(NEXT) | instid1(VALU_DEP_4)
	v_bfe_u32 v16, v14, 16, 1
	v_bfe_u32 v30, v27, 16, 1
	s_delay_alu instid0(VALU_DEP_4) | instskip(NEXT) | instid1(VALU_DEP_4)
	v_add3_u32 v24, v9, v24, 0x7fff
	v_bfe_u32 v19, v10, 16, 1
	v_mul_f32_e32 v23, v28, v10
	v_dual_add_f32 v18, v18, v20 :: v_dual_lshlrev_b32 v21, 16, v11
	v_alignbit_b32 v11, v12, v11, 16
	s_delay_alu instid0(VALU_DEP_4) | instskip(SKIP_2) | instid1(VALU_DEP_4)
	v_add3_u32 v19, v10, v19, 0x7fff
	v_mul_f32_e32 v22, v28, v14
	v_cmp_o_f32_e32 vcc_lo, v10, v10
	v_dual_mul_f32 v20, v28, v18 :: v_dual_and_b32 v11, 0xffff0000, v11
	s_delay_alu instid0(VALU_DEP_4) | instskip(SKIP_2) | instid1(VALU_DEP_4)
	v_and_b32_e32 v19, 0xffff0000, v19
	v_add3_u32 v16, v14, v16, 0x7fff
	v_bfe_u32 v26, v22, 16, 1
	v_bfe_u32 v25, v20, 16, 1
	v_cmp_o_f32_e64 s0, v20, v20
	v_cndmask_b32_e32 v10, 0x7fc00000, v19, vcc_lo
	v_and_b32_e32 v16, 0xffff0000, v16
	v_cmp_o_f32_e32 vcc_lo, v14, v14
	v_add3_u32 v25, v20, v25, 0x7fff
	v_bfe_u32 v29, v23, 16, 1
	v_add3_u32 v26, v22, v26, 0x7fff
	v_bfe_u32 v15, v18, 16, 1
	v_lshrrev_b32_e32 v24, 16, v24
	s_delay_alu instid0(VALU_DEP_4) | instskip(NEXT) | instid1(VALU_DEP_3)
	v_add3_u32 v29, v23, v29, 0x7fff
	v_add3_u32 v15, v18, v15, 0x7fff
	s_delay_alu instid0(VALU_DEP_1) | instskip(SKIP_2) | instid1(VALU_DEP_1)
	v_lshrrev_b32_e32 v15, 16, v15
	s_waitcnt vmcnt(0)
	v_div_scale_f32 v31, null, v13, v13, 1.0
	v_rcp_f32_e32 v19, v31
	s_waitcnt_depctr 0xfff
	v_fma_f32 v20, -v31, v19, 1.0
	s_delay_alu instid0(VALU_DEP_1) | instskip(SKIP_1) | instid1(VALU_DEP_1)
	v_dual_fmac_f32 v19, v20, v19 :: v_dual_cndmask_b32 v14, 0x7fc00000, v16
	v_and_b32_e32 v16, 0xffff0000, v25
	v_cndmask_b32_e64 v16, 0x7fc00000, v16, s0
	v_and_b32_e32 v25, 0xffff0000, v26
	v_add3_u32 v26, v27, v30, 0x7fff
	v_div_scale_f32 v30, vcc_lo, 1.0, v13, 1.0
	s_delay_alu instid0(VALU_DEP_4) | instskip(SKIP_1) | instid1(VALU_DEP_3)
	v_mul_f32_e32 v16, v16, v21
	v_cmp_o_f32_e64 s0, v22, v22
	v_dual_mul_f32 v21, v30, v19 :: v_dual_and_b32 v12, 0xffff0000, v12
	v_and_b32_e32 v29, 0xffff0000, v29
	s_delay_alu instid0(VALU_DEP_3) | instskip(SKIP_2) | instid1(VALU_DEP_3)
	v_cndmask_b32_e64 v22, 0x7fc00000, v25, s0
	v_cmp_o_f32_e64 s0, v23, v23
	v_and_b32_e32 v25, 0xffff0000, v26
	v_mul_f32_e32 v17, v22, v17
	s_delay_alu instid0(VALU_DEP_3) | instskip(SKIP_1) | instid1(VALU_DEP_3)
	v_cndmask_b32_e64 v23, 0x7fc00000, v29, s0
	v_cmp_o_f32_e64 s0, v27, v27
	v_bfe_u32 v22, v17, 16, 1
	s_delay_alu instid0(VALU_DEP_3) | instskip(NEXT) | instid1(VALU_DEP_3)
	v_mul_f32_e32 v12, v23, v12
	v_cndmask_b32_e64 v20, 0x7fc00000, v25, s0
	v_fma_f32 v23, -v31, v21, v30
	s_mov_b32 s0, -1
	v_add3_u32 v22, v17, v22, 0x7fff
	v_bfe_u32 v25, v12, 16, 1
	v_mul_f32_e32 v11, v20, v11
	v_bfe_u32 v20, v16, 16, 1
	s_delay_alu instid0(VALU_DEP_4) | instskip(NEXT) | instid1(VALU_DEP_4)
	v_dual_fmac_f32 v21, v23, v19 :: v_dual_and_b32 v22, 0xffff0000, v22
	v_add3_u32 v23, v12, v25, 0x7fff
	s_delay_alu instid0(VALU_DEP_4) | instskip(NEXT) | instid1(VALU_DEP_4)
	v_bfe_u32 v26, v11, 16, 1
	v_add3_u32 v20, v16, v20, 0x7fff
	s_delay_alu instid0(VALU_DEP_2) | instskip(SKIP_1) | instid1(VALU_DEP_3)
	v_add3_u32 v25, v11, v26, 0x7fff
	v_fma_f32 v26, -v31, v21, v30
	v_and_b32_e32 v20, 0xffff0000, v20
	s_delay_alu instid0(VALU_DEP_3) | instskip(NEXT) | instid1(VALU_DEP_3)
	v_and_b32_e32 v25, 0xffff0000, v25
	v_div_fmas_f32 v19, v26, v19, v21
	v_cmp_o_f32_e32 vcc_lo, v16, v16
	s_delay_alu instid0(VALU_DEP_2) | instskip(SKIP_2) | instid1(VALU_DEP_2)
	v_div_fixup_f32 v13, v19, v13, 1.0
	v_cndmask_b32_e32 v16, 0x7fc00000, v20, vcc_lo
	v_cmp_o_f32_e32 vcc_lo, v11, v11
	v_dual_mul_f32 v16, v13, v16 :: v_dual_and_b32 v23, 0xffff0000, v23
	v_cndmask_b32_e32 v11, 0x7fc00000, v25, vcc_lo
	v_cmp_o_f32_e32 vcc_lo, v17, v17
	s_delay_alu instid0(VALU_DEP_2) | instskip(SKIP_2) | instid1(VALU_DEP_3)
	v_mul_f32_e32 v11, v13, v11
	v_cndmask_b32_e32 v17, 0x7fc00000, v22, vcc_lo
	v_cmp_o_f32_e32 vcc_lo, v12, v12
	v_rndne_f32_e32 v11, v11
	s_delay_alu instid0(VALU_DEP_3) | instskip(SKIP_1) | instid1(VALU_DEP_2)
	v_dual_mul_f32 v17, v13, v17 :: v_dual_cndmask_b32 v12, 0x7fc00000, v23
	v_cmp_o_f32_e32 vcc_lo, v18, v18
	v_dual_mul_f32 v12, v13, v12 :: v_dual_cndmask_b32 v15, 0x7fc0, v15
	v_cmp_o_f32_e32 vcc_lo, v9, v9
	v_rndne_f32_e32 v13, v16
	v_rndne_f32_e32 v16, v17
	s_delay_alu instid0(VALU_DEP_4) | instskip(SKIP_3) | instid1(VALU_DEP_2)
	v_rndne_f32_e32 v12, v12
	v_or_b32_e32 v14, v15, v14
	v_cndmask_b32_e32 v9, 0x7fc0, v24, vcc_lo
	v_cmp_nlt_f32_e32 vcc_lo, 0x42fe0000, v11
	v_or3_b32 v10, 0, v9, v10
	v_cndmask_b32_e32 v17, 0x42fe0000, v11, vcc_lo
	v_cmp_nlt_f32_e32 vcc_lo, 0x42fe0000, v13
	v_or3_b32 v9, v14, 0, 0
	v_cndmask_b32_e32 v18, 0x42fe0000, v13, vcc_lo
	v_cmp_nlt_f32_e32 vcc_lo, 0x42fe0000, v16
	global_store_b64 v[7:8], v[9:10], off
	v_cndmask_b32_e32 v19, 0x42fe0000, v16, vcc_lo
	v_cmp_ngt_f32_e32 vcc_lo, 0xc3000000, v11
	v_cndmask_b32_e32 v11, 0xc3000000, v17, vcc_lo
	v_cmp_nlt_f32_e32 vcc_lo, 0x42fe0000, v12
	s_delay_alu instid0(VALU_DEP_2) | instskip(SKIP_2) | instid1(VALU_DEP_3)
	v_cvt_i32_f32_e32 v11, v11
	v_cndmask_b32_e32 v17, 0x42fe0000, v12, vcc_lo
	v_cmp_ngt_f32_e32 vcc_lo, 0xc3000000, v16
	v_and_b32_e32 v11, 0xff, v11
	v_cndmask_b32_e32 v16, 0xc3000000, v19, vcc_lo
	v_cmp_ngt_f32_e32 vcc_lo, 0xc3000000, v13
	s_delay_alu instid0(VALU_DEP_3) | instskip(NEXT) | instid1(VALU_DEP_3)
	v_lshlrev_b32_e32 v11, 16, v11
	v_cvt_i32_f32_e32 v16, v16
	v_cndmask_b32_e32 v13, 0xc3000000, v18, vcc_lo
	v_cmp_ngt_f32_e32 vcc_lo, 0xc3000000, v12
	s_delay_alu instid0(VALU_DEP_3) | instskip(NEXT) | instid1(VALU_DEP_3)
	v_and_b32_e32 v15, 0xff, v16
	v_cvt_i32_f32_e32 v13, v13
	v_cndmask_b32_e32 v12, 0xc3000000, v17, vcc_lo
	v_add_co_u32 v3, vcc_lo, s1, v3
	s_delay_alu instid0(VALU_DEP_4) | instskip(NEXT) | instid1(VALU_DEP_4)
	v_lshlrev_b32_e32 v14, 8, v15
	v_and_b32_e32 v13, 0xff, v13
	s_delay_alu instid0(VALU_DEP_4) | instskip(SKIP_1) | instid1(VALU_DEP_2)
	v_cvt_i32_f32_e32 v12, v12
	v_add_co_ci_u32_e32 v4, vcc_lo, s4, v4, vcc_lo
	v_lshl_or_b32 v11, v12, 24, v11
	s_delay_alu instid0(VALU_DEP_1)
	v_or3_b32 v11, v11, v14, v13
	global_store_b32 v[3:4], v11, off
	v_cmpx_gt_u32_e64 s14, v0
	s_cbranch_execz .LBB80_58
; %bb.64:                               ;   in Loop: Header=BB80_61 Depth=1
	v_lshlrev_b64 v[3:4], 3, v[0:1]
	v_bfe_u32 v17, v0, 4, 26
	s_delay_alu instid0(VALU_DEP_1) | instskip(NEXT) | instid1(VALU_DEP_3)
	v_mad_u64_u32 v[11:12], null, v5, v17, 0
	v_add_co_u32 v7, vcc_lo, s30, v3
	s_delay_alu instid0(VALU_DEP_4)
	v_add_co_ci_u32_e32 v8, vcc_lo, s31, v4, vcc_lo
	v_add_co_u32 v9, vcc_lo, s10, v3
	v_add_co_ci_u32_e32 v10, vcc_lo, s11, v4, vcc_lo
	v_add_co_u32 v3, vcc_lo, s33, v3
	v_add_co_ci_u32_e32 v4, vcc_lo, s34, v4, vcc_lo
	global_load_b64 v[7:8], v[7:8], off
	global_load_b64 v[9:10], v[9:10], off
	;; [unrolled: 1-line block ×3, first 2 shown]
	s_waitcnt vmcnt(1)
	v_lshlrev_b32_e32 v20, 16, v9
	s_waitcnt vmcnt(0)
	v_mad_u64_u32 v[15:16], null, v6, v17, v[12:13]
	v_and_b32_e32 v18, 0xffff0000, v13
	v_lshlrev_b32_e32 v19, 16, v13
	v_lshlrev_b32_e32 v17, 16, v7
	v_alignbit_b32 v13, v14, v13, 16
	s_delay_alu instid0(VALU_DEP_1) | instskip(NEXT) | instid1(VALU_DEP_1)
	v_dual_mov_b32 v12, v15 :: v_dual_and_b32 v13, 0xffff0000, v13
	v_lshlrev_b64 v[11:12], 2, v[11:12]
	s_delay_alu instid0(VALU_DEP_1) | instskip(NEXT) | instid1(VALU_DEP_2)
	v_add_co_u32 v11, vcc_lo, s5, v11
	v_add_co_ci_u32_e32 v12, vcc_lo, s6, v12, vcc_lo
	global_load_b32 v15, v[11:12], off
	v_lshlrev_b64 v[11:12], 2, v[0:1]
	v_add3_u32 v0, s8, s35, v2
	v_and_b32_e32 v2, 0xffff0000, v7
	v_alignbit_b32 v7, v8, v7, 16
	s_delay_alu instid0(VALU_DEP_1) | instskip(NEXT) | instid1(VALU_DEP_1)
	v_and_b32_e32 v7, 0xffff0000, v7
	v_dual_add_f32 v7, v7, v13 :: v_dual_add_f32 v2, v2, v18
	v_dual_add_f32 v17, v17, v19 :: v_dual_and_b32 v16, 0xffff0000, v9
	v_alignbit_b32 v9, v10, v9, 16
	v_and_b32_e32 v8, 0xffff0000, v8
	s_delay_alu instid0(VALU_DEP_4)
	v_mul_f32_e32 v26, v28, v7
	v_mul_f32_e32 v21, v28, v2
	;; [unrolled: 1-line block ×3, first 2 shown]
	v_and_b32_e32 v9, 0xffff0000, v9
	v_and_b32_e32 v14, 0xffff0000, v14
	v_bfe_u32 v29, v26, 16, 1
	v_bfe_u32 v25, v21, 16, 1
	;; [unrolled: 1-line block ×3, first 2 shown]
	v_and_b32_e32 v10, 0xffff0000, v10
	v_add_f32_e32 v8, v8, v14
	v_bfe_u32 v14, v2, 16, 1
	v_add3_u32 v25, v21, v25, 0x7fff
	v_add3_u32 v24, v19, v24, 0x7fff
	v_cmp_o_f32_e64 s0, v26, v26
	v_bfe_u32 v18, v8, 16, 1
	v_add3_u32 v14, v2, v14, 0x7fff
	v_cmp_o_f32_e32 vcc_lo, v8, v8
	v_mul_f32_e32 v22, v28, v8
	v_bfe_u32 v13, v17, 16, 1
	v_add3_u32 v18, v8, v18, 0x7fff
	v_and_b32_e32 v14, 0xffff0000, v14
	v_bfe_u32 v23, v7, 16, 1
	v_bfe_u32 v27, v22, 16, 1
	v_add3_u32 v13, v17, v13, 0x7fff
	v_and_b32_e32 v18, 0xffff0000, v18
	s_delay_alu instid0(VALU_DEP_4) | instskip(NEXT) | instid1(VALU_DEP_4)
	v_add3_u32 v23, v7, v23, 0x7fff
	v_add3_u32 v27, v22, v27, 0x7fff
	s_delay_alu instid0(VALU_DEP_4) | instskip(NEXT) | instid1(VALU_DEP_4)
	v_lshrrev_b32_e32 v13, 16, v13
	v_cndmask_b32_e32 v8, 0x7fc00000, v18, vcc_lo
	v_cmp_o_f32_e32 vcc_lo, v2, v2
	v_and_b32_e32 v18, 0xffff0000, v24
	v_and_b32_e32 v24, 0xffff0000, v25
	v_add3_u32 v25, v26, v29, 0x7fff
	v_lshrrev_b32_e32 v23, 16, v23
	v_cndmask_b32_e32 v2, 0x7fc00000, v14, vcc_lo
	v_cmp_o_f32_e32 vcc_lo, v19, v19
	v_cndmask_b32_e32 v18, 0x7fc00000, v18, vcc_lo
	v_cmp_o_f32_e32 vcc_lo, v21, v21
	v_cndmask_b32_e32 v19, 0x7fc00000, v24, vcc_lo
	v_cmp_o_f32_e32 vcc_lo, v22, v22
	s_delay_alu instid0(VALU_DEP_4) | instskip(NEXT) | instid1(VALU_DEP_3)
	v_dual_mul_f32 v18, v18, v20 :: v_dual_and_b32 v21, 0xffff0000, v25
	v_mul_f32_e32 v16, v19, v16
	s_delay_alu instid0(VALU_DEP_2) | instskip(NEXT) | instid1(VALU_DEP_3)
	v_cndmask_b32_e64 v21, 0x7fc00000, v21, s0
	v_bfe_u32 v20, v18, 16, 1
	s_delay_alu instid0(VALU_DEP_2) | instskip(NEXT) | instid1(VALU_DEP_2)
	v_mul_f32_e32 v9, v21, v9
	v_add3_u32 v20, v18, v20, 0x7fff
	v_bfe_u32 v21, v16, 16, 1
	s_delay_alu instid0(VALU_DEP_3) | instskip(NEXT) | instid1(VALU_DEP_3)
	v_bfe_u32 v26, v9, 16, 1
	v_and_b32_e32 v20, 0xffff0000, v20
	s_delay_alu instid0(VALU_DEP_3) | instskip(NEXT) | instid1(VALU_DEP_1)
	v_add3_u32 v21, v16, v21, 0x7fff
	v_and_b32_e32 v21, 0xffff0000, v21
	s_waitcnt vmcnt(0)
	v_div_scale_f32 v30, null, v15, v15, 1.0
	s_delay_alu instid0(VALU_DEP_1) | instskip(SKIP_2) | instid1(VALU_DEP_1)
	v_rcp_f32_e32 v14, v30
	s_waitcnt_depctr 0xfff
	v_fma_f32 v24, -v30, v14, 1.0
	v_dual_fmac_f32 v14, v24, v14 :: v_dual_and_b32 v27, 0xffff0000, v27
	s_delay_alu instid0(VALU_DEP_1) | instskip(SKIP_1) | instid1(VALU_DEP_2)
	v_cndmask_b32_e32 v22, 0x7fc00000, v27, vcc_lo
	v_div_scale_f32 v25, vcc_lo, 1.0, v15, 1.0
	v_mul_f32_e32 v10, v22, v10
	s_delay_alu instid0(VALU_DEP_2) | instskip(NEXT) | instid1(VALU_DEP_2)
	v_mul_f32_e32 v19, v25, v14
	v_bfe_u32 v24, v10, 16, 1
	s_delay_alu instid0(VALU_DEP_2) | instskip(NEXT) | instid1(VALU_DEP_1)
	v_fma_f32 v22, -v30, v19, v25
	v_fmac_f32_e32 v19, v22, v14
	s_delay_alu instid0(VALU_DEP_3) | instskip(SKIP_1) | instid1(VALU_DEP_3)
	v_add3_u32 v22, v10, v24, 0x7fff
	v_add3_u32 v24, v9, v26, 0x7fff
	v_fma_f32 v25, -v30, v19, v25
	s_delay_alu instid0(VALU_DEP_3) | instskip(NEXT) | instid1(VALU_DEP_3)
	v_and_b32_e32 v22, 0xffff0000, v22
	v_and_b32_e32 v24, 0xffff0000, v24
	s_delay_alu instid0(VALU_DEP_3) | instskip(SKIP_1) | instid1(VALU_DEP_2)
	v_div_fmas_f32 v14, v25, v14, v19
	v_cmp_o_f32_e32 vcc_lo, v18, v18
	v_div_fixup_f32 v14, v14, v15, 1.0
	v_cndmask_b32_e32 v18, 0x7fc00000, v20, vcc_lo
	v_cmp_o_f32_e32 vcc_lo, v9, v9
	v_cndmask_b32_e32 v9, 0x7fc00000, v24, vcc_lo
	v_cmp_o_f32_e32 vcc_lo, v16, v16
	s_delay_alu instid0(VALU_DEP_4) | instskip(NEXT) | instid1(VALU_DEP_3)
	v_mul_f32_e32 v16, v14, v18
	v_mul_f32_e32 v9, v14, v9
	v_cndmask_b32_e32 v15, 0x7fc00000, v21, vcc_lo
	v_cmp_o_f32_e32 vcc_lo, v10, v10
	s_delay_alu instid0(VALU_DEP_3) | instskip(NEXT) | instid1(VALU_DEP_3)
	v_rndne_f32_e32 v9, v9
	v_dual_mul_f32 v15, v14, v15 :: v_dual_cndmask_b32 v10, 0x7fc00000, v22
	v_cmp_o_f32_e32 vcc_lo, v17, v17
	s_delay_alu instid0(VALU_DEP_2) | instskip(NEXT) | instid1(VALU_DEP_3)
	v_rndne_f32_e32 v15, v15
	v_dual_mul_f32 v10, v14, v10 :: v_dual_cndmask_b32 v13, 0x7fc0, v13
	v_cmp_o_f32_e32 vcc_lo, v7, v7
	v_rndne_f32_e32 v14, v16
	s_delay_alu instid0(VALU_DEP_3) | instskip(NEXT) | instid1(VALU_DEP_4)
	v_rndne_f32_e32 v10, v10
	v_or_b32_e32 v2, v13, v2
	v_cndmask_b32_e32 v7, 0x7fc0, v23, vcc_lo
	v_cmp_nlt_f32_e32 vcc_lo, 0x42fe0000, v9
	v_cndmask_b32_e32 v16, 0x42fe0000, v9, vcc_lo
	v_cmp_nlt_f32_e32 vcc_lo, 0x42fe0000, v14
	;; [unrolled: 2-line block ×3, first 2 shown]
	v_cndmask_b32_e32 v18, 0x42fe0000, v15, vcc_lo
	v_cmp_ngt_f32_e32 vcc_lo, 0xc3000000, v9
	v_cndmask_b32_e32 v9, 0xc3000000, v16, vcc_lo
	v_cmp_nlt_f32_e32 vcc_lo, 0x42fe0000, v10
	s_delay_alu instid0(VALU_DEP_2) | instskip(SKIP_2) | instid1(VALU_DEP_3)
	v_cvt_i32_f32_e32 v9, v9
	v_cndmask_b32_e32 v16, 0x42fe0000, v10, vcc_lo
	v_cmp_ngt_f32_e32 vcc_lo, 0xc3000000, v15
	v_and_b32_e32 v9, 0xff, v9
	v_cndmask_b32_e32 v15, 0xc3000000, v18, vcc_lo
	v_cmp_ngt_f32_e32 vcc_lo, 0xc3000000, v14
	s_delay_alu instid0(VALU_DEP_3) | instskip(SKIP_1) | instid1(VALU_DEP_4)
	v_lshlrev_b32_e32 v9, 16, v9
	v_or3_b32 v8, 0, v7, v8
	v_cvt_i32_f32_e32 v15, v15
	v_cndmask_b32_e32 v14, 0xc3000000, v17, vcc_lo
	v_cmp_ngt_f32_e32 vcc_lo, 0xc3000000, v10
	v_or3_b32 v7, v2, 0, 0
	s_delay_alu instid0(VALU_DEP_3)
	v_cvt_i32_f32_e32 v13, v14
	v_cndmask_b32_e32 v10, 0xc3000000, v16, vcc_lo
	v_and_b32_e32 v14, 0xff, v15
	global_store_b64 v[3:4], v[7:8], off
	v_and_b32_e32 v2, 0xff, v13
	v_cvt_i32_f32_e32 v10, v10
	v_lshlrev_b32_e32 v13, 8, v14
	s_delay_alu instid0(VALU_DEP_2) | instskip(SKIP_3) | instid1(VALU_DEP_4)
	v_lshl_or_b32 v14, v10, 24, v9
	v_add_co_u32 v9, vcc_lo, s1, v11
	v_add_co_ci_u32_e32 v10, vcc_lo, s4, v12, vcc_lo
	v_cmp_le_u32_e32 vcc_lo, s14, v0
	v_or3_b32 v2, v14, v13, v2
	s_or_not1_b32 s0, vcc_lo, exec_lo
	global_store_b32 v[9:10], v2, off
	s_branch .LBB80_58
.LBB80_65:
	s_nop 0
	s_sendmsg sendmsg(MSG_DEALLOC_VGPRS)
	s_endpgm
.LBB80_66:
                                        ; implicit-def: $vgpr3_vgpr4
	s_branch .LBB80_51
.LBB80_67:
                                        ; implicit-def: $vgpr1_vgpr2
	s_branch .LBB80_56
	.section	.rodata,"a",@progbits
	.p2align	6, 0x0
	.amdhsa_kernel _ZN4vllm31rms_norm_per_block_quant_kernelIN3c108BFloat16EaLb1ELb1ELi64EEEvPT0_PfPKT_S8_PKffiiPS6_l
		.amdhsa_group_segment_fixed_size 4228
		.amdhsa_private_segment_fixed_size 0
		.amdhsa_kernarg_size 328
		.amdhsa_user_sgpr_count 15
		.amdhsa_user_sgpr_dispatch_ptr 0
		.amdhsa_user_sgpr_queue_ptr 0
		.amdhsa_user_sgpr_kernarg_segment_ptr 1
		.amdhsa_user_sgpr_dispatch_id 0
		.amdhsa_user_sgpr_private_segment_size 0
		.amdhsa_wavefront_size32 1
		.amdhsa_uses_dynamic_stack 0
		.amdhsa_enable_private_segment 0
		.amdhsa_system_sgpr_workgroup_id_x 1
		.amdhsa_system_sgpr_workgroup_id_y 0
		.amdhsa_system_sgpr_workgroup_id_z 0
		.amdhsa_system_sgpr_workgroup_info 0
		.amdhsa_system_vgpr_workitem_id 0
		.amdhsa_next_free_vgpr 54
		.amdhsa_next_free_sgpr 43
		.amdhsa_reserve_vcc 1
		.amdhsa_float_round_mode_32 0
		.amdhsa_float_round_mode_16_64 0
		.amdhsa_float_denorm_mode_32 3
		.amdhsa_float_denorm_mode_16_64 3
		.amdhsa_dx10_clamp 1
		.amdhsa_ieee_mode 1
		.amdhsa_fp16_overflow 0
		.amdhsa_workgroup_processor_mode 1
		.amdhsa_memory_ordered 1
		.amdhsa_forward_progress 0
		.amdhsa_shared_vgpr_count 0
		.amdhsa_exception_fp_ieee_invalid_op 0
		.amdhsa_exception_fp_denorm_src 0
		.amdhsa_exception_fp_ieee_div_zero 0
		.amdhsa_exception_fp_ieee_overflow 0
		.amdhsa_exception_fp_ieee_underflow 0
		.amdhsa_exception_fp_ieee_inexact 0
		.amdhsa_exception_int_div_zero 0
	.end_amdhsa_kernel
	.section	.text._ZN4vllm31rms_norm_per_block_quant_kernelIN3c108BFloat16EaLb1ELb1ELi64EEEvPT0_PfPKT_S8_PKffiiPS6_l,"axG",@progbits,_ZN4vllm31rms_norm_per_block_quant_kernelIN3c108BFloat16EaLb1ELb1ELi64EEEvPT0_PfPKT_S8_PKffiiPS6_l,comdat
.Lfunc_end80:
	.size	_ZN4vllm31rms_norm_per_block_quant_kernelIN3c108BFloat16EaLb1ELb1ELi64EEEvPT0_PfPKT_S8_PKffiiPS6_l, .Lfunc_end80-_ZN4vllm31rms_norm_per_block_quant_kernelIN3c108BFloat16EaLb1ELb1ELi64EEEvPT0_PfPKT_S8_PKffiiPS6_l
                                        ; -- End function
	.section	.AMDGPU.csdata,"",@progbits
; Kernel info:
; codeLenInByte = 13928
; NumSgprs: 45
; NumVgprs: 54
; ScratchSize: 0
; MemoryBound: 0
; FloatMode: 240
; IeeeMode: 1
; LDSByteSize: 4228 bytes/workgroup (compile time only)
; SGPRBlocks: 5
; VGPRBlocks: 6
; NumSGPRsForWavesPerEU: 45
; NumVGPRsForWavesPerEU: 54
; Occupancy: 16
; WaveLimiterHint : 0
; COMPUTE_PGM_RSRC2:SCRATCH_EN: 0
; COMPUTE_PGM_RSRC2:USER_SGPR: 15
; COMPUTE_PGM_RSRC2:TRAP_HANDLER: 0
; COMPUTE_PGM_RSRC2:TGID_X_EN: 1
; COMPUTE_PGM_RSRC2:TGID_Y_EN: 0
; COMPUTE_PGM_RSRC2:TGID_Z_EN: 0
; COMPUTE_PGM_RSRC2:TIDIG_COMP_CNT: 0
	.section	.text._ZN4vllm31rms_norm_per_block_quant_kernelIN3c108BFloat16ENS1_13Float8_e4m3fnELb1ELb0ELi64EEEvPT0_PfPKT_S9_PKffiiPS7_l,"axG",@progbits,_ZN4vllm31rms_norm_per_block_quant_kernelIN3c108BFloat16ENS1_13Float8_e4m3fnELb1ELb0ELi64EEEvPT0_PfPKT_S9_PKffiiPS7_l,comdat
	.protected	_ZN4vllm31rms_norm_per_block_quant_kernelIN3c108BFloat16ENS1_13Float8_e4m3fnELb1ELb0ELi64EEEvPT0_PfPKT_S9_PKffiiPS7_l ; -- Begin function _ZN4vllm31rms_norm_per_block_quant_kernelIN3c108BFloat16ENS1_13Float8_e4m3fnELb1ELb0ELi64EEEvPT0_PfPKT_S9_PKffiiPS7_l
	.globl	_ZN4vllm31rms_norm_per_block_quant_kernelIN3c108BFloat16ENS1_13Float8_e4m3fnELb1ELb0ELi64EEEvPT0_PfPKT_S9_PKffiiPS7_l
	.p2align	8
	.type	_ZN4vllm31rms_norm_per_block_quant_kernelIN3c108BFloat16ENS1_13Float8_e4m3fnELb1ELb0ELi64EEEvPT0_PfPKT_S9_PKffiiPS7_l,@function
_ZN4vllm31rms_norm_per_block_quant_kernelIN3c108BFloat16ENS1_13Float8_e4m3fnELb1ELb0ELi64EEEvPT0_PfPKT_S9_PKffiiPS7_l: ; @_ZN4vllm31rms_norm_per_block_quant_kernelIN3c108BFloat16ENS1_13Float8_e4m3fnELb1ELb0ELi64EEEvPT0_PfPKT_S9_PKffiiPS7_l
; %bb.0:
	s_clause 0x2
	s_load_b128 s[16:19], s[0:1], 0x28
	s_load_b256 s[4:11], s[0:1], 0x0
	s_load_b64 s[26:27], s[0:1], 0x38
	v_mov_b32_e32 v6, 0
	s_waitcnt lgkmcnt(0)
	s_ashr_i32 s3, s18, 31
	s_mul_hi_u32 s12, s18, s15
	s_mul_i32 s3, s3, s15
	s_ashr_i32 s21, s17, 31
	s_mul_i32 s2, s18, s15
	s_add_i32 s3, s12, s3
	s_mul_hi_u32 s13, s17, s15
	s_mul_i32 s12, s21, s15
	s_lshl_b64 s[24:25], s[2:3], 1
	s_mul_i32 s18, s17, s15
	s_add_i32 s19, s13, s12
	s_add_u32 s14, s8, s24
	s_addc_u32 s30, s9, s25
	s_lshl_b64 s[28:29], s[18:19], 1
	s_mov_b32 s3, 0
	s_add_u32 s31, s26, s28
	s_addc_u32 s33, s27, s29
	s_ashr_i32 s12, s17, 2
	s_add_u32 s22, s0, 0x48
	v_cmp_gt_u32_e64 s2, s12, v0
	s_mov_b32 s20, s17
	s_addc_u32 s23, s1, 0
	s_delay_alu instid0(VALU_DEP_1)
	s_and_saveexec_b32 s13, s2
	s_cbranch_execz .LBB81_10
; %bb.1:
	s_load_b32 s17, s[22:23], 0x0
	v_dual_mov_b32 v2, 0 :: v_dual_mov_b32 v1, v0
	s_waitcnt lgkmcnt(0)
	s_cmp_lt_u32 s15, s17
	s_cselect_b32 s17, 12, 18
	s_delay_alu instid0(SALU_CYCLE_1)
	s_add_u32 s34, s22, s17
	s_addc_u32 s35, s23, 0
                                        ; implicit-def: $sgpr17
	global_load_u16 v7, v2, s[34:35]
	s_waitcnt vmcnt(0)
	v_lshlrev_b32_e32 v9, 1, v7
	v_mul_lo_u32 v8, v7, 3
	v_add_nc_u32_e32 v10, v7, v7
	v_mov_b32_e32 v6, v2
	s_branch .LBB81_5
.LBB81_2:                               ;   in Loop: Header=BB81_5 Depth=1
	s_or_b32 exec_lo, exec_lo, s36
	s_delay_alu instid0(SALU_CYCLE_1)
	s_or_not1_b32 s36, s37, exec_lo
.LBB81_3:                               ;   in Loop: Header=BB81_5 Depth=1
	s_or_b32 exec_lo, exec_lo, s35
	s_delay_alu instid0(SALU_CYCLE_1) | instskip(SKIP_1) | instid1(SALU_CYCLE_1)
	s_and_not1_b32 s17, s17, exec_lo
	s_and_b32 s35, s36, exec_lo
	s_or_b32 s17, s17, s35
.LBB81_4:                               ;   in Loop: Header=BB81_5 Depth=1
	s_or_b32 exec_lo, exec_lo, s34
	s_delay_alu instid0(SALU_CYCLE_1) | instskip(NEXT) | instid1(SALU_CYCLE_1)
	s_and_b32 s34, exec_lo, s17
	s_or_b32 s3, s34, s3
	s_delay_alu instid0(SALU_CYCLE_1)
	s_and_not1_b32 exec_lo, exec_lo, s3
	s_cbranch_execz .LBB81_9
.LBB81_5:                               ; =>This Inner Loop Header: Depth=1
	v_lshlrev_b64 v[3:4], 3, v[1:2]
	s_or_b32 s17, s17, exec_lo
	s_mov_b32 s34, exec_lo
	s_delay_alu instid0(VALU_DEP_1) | instskip(NEXT) | instid1(VALU_DEP_2)
	v_add_co_u32 v11, vcc_lo, s14, v3
	v_add_co_ci_u32_e32 v12, vcc_lo, s30, v4, vcc_lo
	v_add_co_u32 v3, vcc_lo, s31, v3
	v_add_co_ci_u32_e32 v4, vcc_lo, s33, v4, vcc_lo
	global_load_b64 v[11:12], v[11:12], off
	global_load_b64 v[3:4], v[3:4], off
	s_waitcnt vmcnt(1)
	v_lshlrev_b32_e32 v5, 16, v11
	s_waitcnt vmcnt(0)
	v_lshlrev_b32_e32 v13, 16, v3
	v_and_b32_e32 v14, 0xffff0000, v11
	v_alignbit_b32 v11, v12, v11, 16
	s_delay_alu instid0(VALU_DEP_3) | instskip(NEXT) | instid1(VALU_DEP_1)
	v_add_f32_e32 v5, v5, v13
	v_dual_fmac_f32 v6, v5, v5 :: v_dual_and_b32 v5, 0xffff0000, v12
	v_and_b32_e32 v15, 0xffff0000, v3
	v_alignbit_b32 v3, v4, v3, 16
	s_delay_alu instid0(VALU_DEP_1) | instskip(SKIP_1) | instid1(VALU_DEP_1)
	v_and_b32_e32 v3, 0xffff0000, v3
	v_and_b32_e32 v4, 0xffff0000, v4
	v_dual_add_f32 v4, v5, v4 :: v_dual_and_b32 v11, 0xffff0000, v11
	v_add_f32_e32 v13, v14, v15
	s_delay_alu instid0(VALU_DEP_1) | instskip(NEXT) | instid1(VALU_DEP_1)
	v_dual_add_f32 v3, v11, v3 :: v_dual_fmac_f32 v6, v13, v13
	v_fmac_f32_e32 v6, v3, v3
	s_delay_alu instid0(VALU_DEP_1) | instskip(NEXT) | instid1(VALU_DEP_1)
	v_dual_fmac_f32 v6, v4, v4 :: v_dual_add_nc_u32 v3, v1, v7
	v_cmpx_gt_u32_e64 s12, v3
	s_cbranch_execz .LBB81_4
; %bb.6:                                ;   in Loop: Header=BB81_5 Depth=1
	v_mov_b32_e32 v4, v2
	s_mov_b32 s36, -1
	s_mov_b32 s35, exec_lo
	s_delay_alu instid0(VALU_DEP_1) | instskip(NEXT) | instid1(VALU_DEP_1)
	v_lshlrev_b64 v[4:5], 3, v[3:4]
	v_add_co_u32 v11, vcc_lo, s14, v4
	s_delay_alu instid0(VALU_DEP_2)
	v_add_co_ci_u32_e32 v12, vcc_lo, s30, v5, vcc_lo
	v_add_co_u32 v4, vcc_lo, s31, v4
	v_add_co_ci_u32_e32 v5, vcc_lo, s33, v5, vcc_lo
	global_load_b64 v[11:12], v[11:12], off
	global_load_b64 v[4:5], v[4:5], off
	s_waitcnt vmcnt(1)
	v_lshlrev_b32_e32 v13, 16, v11
	v_and_b32_e32 v15, 0xffff0000, v11
	v_alignbit_b32 v11, v12, v11, 16
	v_and_b32_e32 v12, 0xffff0000, v12
	s_waitcnt vmcnt(0)
	v_lshlrev_b32_e32 v14, 16, v4
	v_and_b32_e32 v16, 0xffff0000, v4
	v_alignbit_b32 v4, v5, v4, 16
	s_delay_alu instid0(VALU_DEP_1) | instskip(SKIP_1) | instid1(VALU_DEP_1)
	v_and_b32_e32 v4, 0xffff0000, v4
	v_and_b32_e32 v5, 0xffff0000, v5
	v_add_f32_e32 v5, v12, v5
	v_add_f32_e32 v13, v13, v14
	s_delay_alu instid0(VALU_DEP_1) | instskip(SKIP_1) | instid1(VALU_DEP_2)
	v_dual_fmac_f32 v6, v13, v13 :: v_dual_and_b32 v11, 0xffff0000, v11
	v_add_f32_e32 v14, v15, v16
	v_add_f32_e32 v4, v11, v4
	s_delay_alu instid0(VALU_DEP_2) | instskip(NEXT) | instid1(VALU_DEP_1)
	v_fmac_f32_e32 v6, v14, v14
	v_fmac_f32_e32 v6, v4, v4
	v_add_nc_u32_e32 v4, v9, v1
	s_delay_alu instid0(VALU_DEP_2) | instskip(NEXT) | instid1(VALU_DEP_2)
	v_fmac_f32_e32 v6, v5, v5
	v_cmpx_gt_u32_e64 s12, v4
	s_cbranch_execz .LBB81_3
; %bb.7:                                ;   in Loop: Header=BB81_5 Depth=1
	v_mov_b32_e32 v5, v2
	v_add_nc_u32_e32 v1, v8, v1
	s_mov_b32 s37, -1
	s_mov_b32 s36, exec_lo
	s_delay_alu instid0(VALU_DEP_2) | instskip(NEXT) | instid1(VALU_DEP_1)
	v_lshlrev_b64 v[4:5], 3, v[4:5]
	v_add_co_u32 v11, vcc_lo, s14, v4
	s_delay_alu instid0(VALU_DEP_2)
	v_add_co_ci_u32_e32 v12, vcc_lo, s30, v5, vcc_lo
	v_add_co_u32 v4, vcc_lo, s31, v4
	v_add_co_ci_u32_e32 v5, vcc_lo, s33, v5, vcc_lo
	global_load_b64 v[11:12], v[11:12], off
	global_load_b64 v[4:5], v[4:5], off
	s_waitcnt vmcnt(1)
	v_and_b32_e32 v15, 0xffff0000, v11
	s_waitcnt vmcnt(0)
	v_lshlrev_b32_e32 v14, 16, v4
	v_and_b32_e32 v16, 0xffff0000, v4
	v_lshlrev_b32_e32 v13, 16, v11
	v_alignbit_b32 v11, v12, v11, 16
	v_alignbit_b32 v4, v5, v4, 16
	s_delay_alu instid0(VALU_DEP_3) | instskip(NEXT) | instid1(VALU_DEP_1)
	v_dual_add_f32 v13, v13, v14 :: v_dual_and_b32 v12, 0xffff0000, v12
	v_fmac_f32_e32 v6, v13, v13
	s_delay_alu instid0(VALU_DEP_4) | instskip(NEXT) | instid1(VALU_DEP_1)
	v_dual_add_f32 v14, v15, v16 :: v_dual_and_b32 v11, 0xffff0000, v11
	v_dual_fmac_f32 v6, v14, v14 :: v_dual_and_b32 v5, 0xffff0000, v5
	s_delay_alu instid0(VALU_DEP_1) | instskip(NEXT) | instid1(VALU_DEP_1)
	v_dual_add_f32 v5, v12, v5 :: v_dual_and_b32 v4, 0xffff0000, v4
	v_add_f32_e32 v4, v11, v4
	s_delay_alu instid0(VALU_DEP_1) | instskip(NEXT) | instid1(VALU_DEP_1)
	v_fmac_f32_e32 v6, v4, v4
	v_fmac_f32_e32 v6, v5, v5
	v_cmpx_gt_u32_e64 s12, v1
	s_xor_b32 s36, exec_lo, s36
	s_cbranch_execz .LBB81_2
; %bb.8:                                ;   in Loop: Header=BB81_5 Depth=1
	v_lshlrev_b64 v[4:5], 3, v[1:2]
	s_delay_alu instid0(VALU_DEP_1) | instskip(NEXT) | instid1(VALU_DEP_2)
	v_add_co_u32 v11, vcc_lo, s14, v4
	v_add_co_ci_u32_e32 v12, vcc_lo, s30, v5, vcc_lo
	v_add_co_u32 v4, vcc_lo, s31, v4
	v_add_co_ci_u32_e32 v5, vcc_lo, s33, v5, vcc_lo
	global_load_b64 v[11:12], v[11:12], off
	global_load_b64 v[4:5], v[4:5], off
	s_waitcnt vmcnt(0)
	v_lshlrev_b32_e32 v13, 16, v4
	v_and_b32_e32 v14, 0xffff0000, v11
	v_alignbit_b32 v15, v5, v4, 16
	v_and_b32_e32 v4, 0xffff0000, v4
	v_lshlrev_b32_e32 v1, 16, v11
	v_alignbit_b32 v11, v12, v11, 16
	v_and_b32_e32 v12, 0xffff0000, v12
	s_delay_alu instid0(VALU_DEP_3) | instskip(NEXT) | instid1(VALU_DEP_1)
	v_dual_add_f32 v4, v14, v4 :: v_dual_add_f32 v1, v1, v13
	v_dual_fmac_f32 v6, v1, v1 :: v_dual_and_b32 v13, 0xffff0000, v15
	s_delay_alu instid0(VALU_DEP_4) | instskip(SKIP_1) | instid1(VALU_DEP_2)
	v_and_b32_e32 v11, 0xffff0000, v11
	v_add3_u32 v1, v10, v7, v3
	v_dual_fmac_f32 v6, v4, v4 :: v_dual_add_f32 v11, v11, v13
	v_and_b32_e32 v5, 0xffff0000, v5
	s_delay_alu instid0(VALU_DEP_3) | instskip(NEXT) | instid1(VALU_DEP_2)
	v_cmp_le_u32_e32 vcc_lo, s12, v1
	v_dual_fmac_f32 v6, v11, v11 :: v_dual_add_f32 v3, v12, v5
	s_or_not1_b32 s37, vcc_lo, exec_lo
	s_delay_alu instid0(VALU_DEP_1)
	v_fmac_f32_e32 v6, v3, v3
	s_branch .LBB81_2
.LBB81_9:
	s_or_b32 exec_lo, exec_lo, s3
.LBB81_10:
	s_delay_alu instid0(SALU_CYCLE_1) | instskip(SKIP_3) | instid1(VALU_DEP_2)
	s_or_b32 exec_lo, exec_lo, s13
	v_mbcnt_lo_u32_b32 v1, -1, 0
	s_load_b32 s3, s[22:23], 0xc
	v_and_b32_e32 v7, 0x3e0, v0
	v_cmp_ne_u32_e32 vcc_lo, 31, v1
	v_add_nc_u32_e32 v3, 1, v1
	v_add_co_ci_u32_e32 v2, vcc_lo, 0, v1, vcc_lo
	v_cmp_gt_u32_e32 vcc_lo, 30, v1
	s_delay_alu instid0(VALU_DEP_2)
	v_lshlrev_b32_e32 v2, 2, v2
	v_cndmask_b32_e64 v5, 0, 1, vcc_lo
	ds_bpermute_b32 v4, v2, v6
	s_waitcnt lgkmcnt(0)
	s_and_b32 s34, s3, 0xffff
	v_lshlrev_b32_e32 v5, 1, v5
	v_sub_nc_u32_e64 v12, s34, v7 clamp
	s_mov_b32 s3, exec_lo
	s_delay_alu instid0(VALU_DEP_1) | instskip(SKIP_2) | instid1(VALU_DEP_2)
	v_cmp_lt_u32_e32 vcc_lo, v3, v12
	v_add_f32_e32 v7, v6, v4
	v_add_lshl_u32 v4, v5, v1, 2
	v_cndmask_b32_e32 v7, v6, v7, vcc_lo
	v_cmp_gt_u32_e32 vcc_lo, 28, v1
	v_cndmask_b32_e64 v5, 0, 1, vcc_lo
	s_delay_alu instid0(VALU_DEP_1) | instskip(SKIP_2) | instid1(VALU_DEP_1)
	v_lshlrev_b32_e32 v8, 2, v5
	ds_bpermute_b32 v6, v4, v7
	v_add_nc_u32_e32 v5, 2, v1
	v_cmp_lt_u32_e32 vcc_lo, v5, v12
	s_waitcnt lgkmcnt(0)
	v_add_f32_e32 v9, v7, v6
	v_add_lshl_u32 v6, v8, v1, 2
	s_delay_alu instid0(VALU_DEP_2) | instskip(SKIP_3) | instid1(VALU_DEP_1)
	v_cndmask_b32_e32 v9, v7, v9, vcc_lo
	v_cmp_gt_u32_e32 vcc_lo, 24, v1
	ds_bpermute_b32 v8, v6, v9
	v_cndmask_b32_e64 v7, 0, 1, vcc_lo
	v_lshlrev_b32_e32 v10, 3, v7
	v_add_nc_u32_e32 v7, 4, v1
	s_delay_alu instid0(VALU_DEP_1) | instskip(SKIP_3) | instid1(VALU_DEP_2)
	v_cmp_lt_u32_e32 vcc_lo, v7, v12
	s_waitcnt lgkmcnt(0)
	v_add_f32_e32 v11, v9, v8
	v_add_lshl_u32 v8, v10, v1, 2
	v_cndmask_b32_e32 v11, v9, v11, vcc_lo
	v_cmp_gt_u32_e32 vcc_lo, 16, v1
	ds_bpermute_b32 v10, v8, v11
	v_cndmask_b32_e64 v9, 0, 1, vcc_lo
	s_delay_alu instid0(VALU_DEP_1) | instskip(SKIP_1) | instid1(VALU_DEP_1)
	v_lshlrev_b32_e32 v13, 4, v9
	v_add_nc_u32_e32 v9, 8, v1
	v_cmp_lt_u32_e32 vcc_lo, v9, v12
	s_waitcnt lgkmcnt(0)
	v_add_f32_e32 v14, v11, v10
	v_add_lshl_u32 v10, v13, v1, 2
	s_delay_alu instid0(VALU_DEP_2)
	v_cndmask_b32_e32 v13, v11, v14, vcc_lo
	v_add_nc_u32_e32 v11, 16, v1
	ds_bpermute_b32 v14, v10, v13
	v_cmp_lt_u32_e32 vcc_lo, v11, v12
	s_waitcnt lgkmcnt(0)
	v_add_f32_e32 v14, v13, v14
	s_delay_alu instid0(VALU_DEP_1)
	v_cndmask_b32_e32 v12, v13, v14, vcc_lo
	v_cmpx_eq_u32_e32 0, v1
	s_cbranch_execz .LBB81_12
; %bb.11:
	v_lshrrev_b32_e32 v13, 3, v0
	s_delay_alu instid0(VALU_DEP_1)
	v_and_b32_e32 v13, 0x7c, v13
	ds_store_b32 v13, v12 offset:4096
.LBB81_12:
	s_or_b32 exec_lo, exec_lo, s3
	s_delay_alu instid0(SALU_CYCLE_1)
	s_mov_b32 s3, exec_lo
	s_waitcnt lgkmcnt(0)
	s_barrier
	buffer_gl0_inv
	v_cmpx_gt_u32_e32 32, v0
	s_cbranch_execz .LBB81_14
; %bb.13:
	v_lshlrev_b32_e32 v1, 2, v1
	s_add_i32 s13, s34, 31
	s_delay_alu instid0(SALU_CYCLE_1) | instskip(NEXT) | instid1(SALU_CYCLE_1)
	s_lshr_b32 s13, s13, 5
	v_cmp_gt_u32_e32 vcc_lo, s13, v3
	ds_load_b32 v1, v1 offset:4096
	s_waitcnt lgkmcnt(0)
	ds_bpermute_b32 v2, v2, v1
	s_waitcnt lgkmcnt(0)
	v_add_f32_e32 v2, v1, v2
	s_delay_alu instid0(VALU_DEP_1) | instskip(SKIP_4) | instid1(VALU_DEP_1)
	v_cndmask_b32_e32 v1, v1, v2, vcc_lo
	v_cmp_gt_u32_e32 vcc_lo, s13, v5
	ds_bpermute_b32 v2, v4, v1
	s_waitcnt lgkmcnt(0)
	v_add_f32_e32 v2, v1, v2
	v_cndmask_b32_e32 v1, v1, v2, vcc_lo
	v_cmp_gt_u32_e32 vcc_lo, s13, v7
	ds_bpermute_b32 v2, v6, v1
	s_waitcnt lgkmcnt(0)
	v_add_f32_e32 v2, v1, v2
	s_delay_alu instid0(VALU_DEP_1) | instskip(SKIP_4) | instid1(VALU_DEP_1)
	v_cndmask_b32_e32 v1, v1, v2, vcc_lo
	v_cmp_gt_u32_e32 vcc_lo, s13, v9
	ds_bpermute_b32 v2, v8, v1
	s_waitcnt lgkmcnt(0)
	v_add_f32_e32 v2, v1, v2
	v_cndmask_b32_e32 v1, v1, v2, vcc_lo
	v_cmp_gt_u32_e32 vcc_lo, s13, v11
	ds_bpermute_b32 v2, v10, v1
	s_waitcnt lgkmcnt(0)
	v_add_f32_e32 v2, v1, v2
	s_delay_alu instid0(VALU_DEP_1)
	v_cndmask_b32_e32 v12, v1, v2, vcc_lo
.LBB81_14:
	s_or_b32 exec_lo, exec_lo, s3
	s_delay_alu instid0(SALU_CYCLE_1)
	s_mov_b32 s3, exec_lo
	v_cmpx_eq_u32_e32 0, v0
	s_cbranch_execz .LBB81_16
; %bb.15:
	v_cvt_f32_i32_e32 v1, s20
	s_delay_alu instid0(VALU_DEP_1) | instskip(SKIP_1) | instid1(VALU_DEP_2)
	v_div_scale_f32 v2, null, v1, v1, v12
	v_div_scale_f32 v5, vcc_lo, v12, v1, v12
	v_rcp_f32_e32 v3, v2
	s_waitcnt_depctr 0xfff
	v_fma_f32 v4, -v2, v3, 1.0
	s_delay_alu instid0(VALU_DEP_1) | instskip(NEXT) | instid1(VALU_DEP_1)
	v_fmac_f32_e32 v3, v4, v3
	v_mul_f32_e32 v4, v5, v3
	s_delay_alu instid0(VALU_DEP_1) | instskip(NEXT) | instid1(VALU_DEP_1)
	v_fma_f32 v6, -v2, v4, v5
	v_fmac_f32_e32 v4, v6, v3
	s_delay_alu instid0(VALU_DEP_1) | instskip(NEXT) | instid1(VALU_DEP_1)
	v_fma_f32 v2, -v2, v4, v5
	v_div_fmas_f32 v2, v2, v3, v4
	s_delay_alu instid0(VALU_DEP_1) | instskip(NEXT) | instid1(VALU_DEP_1)
	v_div_fixup_f32 v1, v2, v1, v12
	v_add_f32_e32 v1, s16, v1
	s_delay_alu instid0(VALU_DEP_1) | instskip(SKIP_1) | instid1(VALU_DEP_2)
	v_mul_f32_e32 v2, 0x4b800000, v1
	v_cmp_gt_f32_e32 vcc_lo, 0x800000, v1
	v_cndmask_b32_e32 v1, v1, v2, vcc_lo
	s_delay_alu instid0(VALU_DEP_1) | instskip(SKIP_2) | instid1(VALU_DEP_1)
	v_rsq_f32_e32 v1, v1
	s_waitcnt_depctr 0xfff
	v_mul_f32_e32 v2, 0x45800000, v1
	v_dual_cndmask_b32 v1, v1, v2 :: v_dual_mov_b32 v2, 0
	ds_store_b32 v2, v1 offset:4224
.LBB81_16:
	s_or_b32 exec_lo, exec_lo, s3
	s_ashr_i32 s3, s20, 31
	s_waitcnt lgkmcnt(0)
	s_lshr_b32 s3, s3, 26
	s_barrier
	s_add_i32 s3, s20, s3
	buffer_gl0_inv
	s_ashr_i32 s16, s3, 6
	s_ashr_i32 s3, s3, 31
	s_abs_i32 s13, s16
	s_delay_alu instid0(SALU_CYCLE_1) | instskip(SKIP_1) | instid1(VALU_DEP_1)
	v_cvt_f32_u32_e32 v1, s13
	s_sub_i32 s22, 0, s13
	v_rcp_iflag_f32_e32 v1, v1
	s_waitcnt_depctr 0xfff
	v_mul_f32_e32 v1, 0x4f7ffffe, v1
	s_delay_alu instid0(VALU_DEP_1) | instskip(NEXT) | instid1(VALU_DEP_1)
	v_cvt_u32_f32_e32 v1, v1
	v_readfirstlane_b32 s17, v1
	s_delay_alu instid0(VALU_DEP_1) | instskip(NEXT) | instid1(SALU_CYCLE_1)
	s_mul_i32 s22, s22, s17
	s_mul_hi_u32 s22, s17, s22
	s_delay_alu instid0(SALU_CYCLE_1) | instskip(NEXT) | instid1(SALU_CYCLE_1)
	s_add_i32 s17, s17, s22
	s_mul_hi_u32 s17, s34, s17
	s_delay_alu instid0(SALU_CYCLE_1) | instskip(SKIP_2) | instid1(SALU_CYCLE_1)
	s_mul_i32 s22, s17, s13
	s_add_i32 s23, s17, 1
	s_sub_i32 s22, s34, s22
	s_sub_i32 s35, s22, s13
	s_cmp_ge_u32 s22, s13
	s_cselect_b32 s17, s23, s17
	s_cselect_b32 s22, s35, s22
	s_add_i32 s23, s17, 1
	s_cmp_ge_u32 s22, s13
	s_cselect_b32 s13, s23, s17
	s_delay_alu instid0(SALU_CYCLE_1) | instskip(NEXT) | instid1(SALU_CYCLE_1)
	s_xor_b32 s13, s13, s3
	s_sub_i32 s22, s13, s3
	s_delay_alu instid0(SALU_CYCLE_1) | instskip(SKIP_3) | instid1(VALU_DEP_1)
	s_abs_i32 s3, s22
	s_ashr_i32 s23, s22, 31
	v_cvt_f32_u32_e32 v1, s3
	s_sub_i32 s13, 0, s3
	v_rcp_iflag_f32_e32 v1, v1
	s_waitcnt_depctr 0xfff
	v_mul_f32_e32 v1, 0x4f7ffffe, v1
	s_delay_alu instid0(VALU_DEP_1) | instskip(NEXT) | instid1(VALU_DEP_1)
	v_cvt_u32_f32_e32 v1, v1
	v_mul_lo_u32 v2, s13, v1
	s_ashr_i32 s13, s12, 31
	s_delay_alu instid0(VALU_DEP_1) | instskip(NEXT) | instid1(VALU_DEP_1)
	v_mul_hi_u32 v2, v1, v2
	v_add_nc_u32_e32 v1, v1, v2
	s_delay_alu instid0(VALU_DEP_1) | instskip(NEXT) | instid1(VALU_DEP_1)
	v_mul_hi_u32 v1, v0, v1
	v_mul_lo_u32 v2, v1, s3
	v_add_nc_u32_e32 v3, 1, v1
	s_delay_alu instid0(VALU_DEP_2) | instskip(NEXT) | instid1(VALU_DEP_1)
	v_sub_nc_u32_e32 v2, v0, v2
	v_subrev_nc_u32_e32 v4, s3, v2
	v_cmp_le_u32_e32 vcc_lo, s3, v2
	s_delay_alu instid0(VALU_DEP_2) | instskip(NEXT) | instid1(VALU_DEP_1)
	v_dual_cndmask_b32 v1, v1, v3 :: v_dual_cndmask_b32 v2, v2, v4
	v_dual_mov_b32 v4, 0 :: v_dual_add_nc_u32 v3, 1, v1
	s_delay_alu instid0(VALU_DEP_2) | instskip(SKIP_2) | instid1(VALU_DEP_1)
	v_cmp_le_u32_e32 vcc_lo, s3, v2
	ds_load_b32 v28, v4 offset:4224
	v_cndmask_b32_e32 v1, v1, v3, vcc_lo
	v_xor_b32_e32 v1, s23, v1
	s_delay_alu instid0(VALU_DEP_1) | instskip(NEXT) | instid1(VALU_DEP_1)
	v_subrev_nc_u32_e32 v1, s23, v1
	v_ashrrev_i32_e32 v2, 31, v1
	v_mul_lo_u32 v3, v1, s22
	s_delay_alu instid0(VALU_DEP_2) | instskip(NEXT) | instid1(VALU_DEP_2)
	v_lshlrev_b64 v[7:8], 4, v[1:2]
	v_sub_nc_u32_e32 v3, v0, v3
	s_delay_alu instid0(VALU_DEP_2) | instskip(NEXT) | instid1(VALU_DEP_3)
	v_add_co_u32 v5, vcc_lo, v7, 16
	v_add_co_ci_u32_e32 v6, vcc_lo, 0, v8, vcc_lo
	s_delay_alu instid0(VALU_DEP_1) | instskip(SKIP_4) | instid1(VALU_DEP_3)
	v_cmp_gt_i64_e32 vcc_lo, s[12:13], v[5:6]
	v_cndmask_b32_e32 v6, s13, v6, vcc_lo
	v_cndmask_b32_e32 v5, s12, v5, vcc_lo
	v_add_co_u32 v7, vcc_lo, v7, v3
	v_add_co_ci_u32_e32 v8, vcc_lo, 0, v8, vcc_lo
	v_ashrrev_i32_e32 v10, 31, v5
	v_mov_b32_e32 v9, v5
	s_mov_b32 s13, exec_lo
	s_delay_alu instid0(VALU_DEP_1)
	v_cmpx_lt_i64_e64 v[7:8], v[9:10]
	s_cbranch_execz .LBB81_26
; %bb.17:
	v_lshlrev_b64 v[13:14], 7, v[1:2]
	v_lshlrev_b64 v[11:12], 3, v[3:4]
	s_mul_i32 s3, s22, 24
	s_mul_hi_i32 s17, s22, 24
	s_add_u32 s35, s8, s3
	s_delay_alu instid0(VALU_DEP_2) | instskip(SKIP_2) | instid1(VALU_DEP_2)
	v_add_co_u32 v4, vcc_lo, s24, v13
	v_add_co_ci_u32_e32 v15, vcc_lo, s25, v14, vcc_lo
	s_addc_u32 s24, s9, s17
	v_add_co_u32 v17, vcc_lo, s35, v4
	s_lshl_b64 s[36:37], s[22:23], 4
	s_delay_alu instid0(VALU_DEP_2)
	v_add_co_ci_u32_e32 v18, vcc_lo, s24, v15, vcc_lo
	s_lshl_b64 s[24:25], s[22:23], 5
	s_add_u32 s35, s8, s36
	s_addc_u32 s40, s9, s37
	s_lshl_b64 s[38:39], s[22:23], 3
	v_add_co_u32 v19, vcc_lo, s35, v4
	s_add_u32 s35, s8, s38
	v_add_co_ci_u32_e32 v20, vcc_lo, s40, v15, vcc_lo
	s_addc_u32 s40, s9, s39
	v_add_co_u32 v21, vcc_lo, s35, v4
	v_add_co_ci_u32_e32 v22, vcc_lo, s40, v15, vcc_lo
	v_add_co_u32 v23, vcc_lo, s8, v4
	s_add_u32 s8, s10, s3
	v_add_co_ci_u32_e32 v24, vcc_lo, s9, v15, vcc_lo
	s_addc_u32 s9, s11, s17
	v_add_co_u32 v25, vcc_lo, s8, v13
	s_add_u32 s8, s10, s36
	v_add_co_ci_u32_e32 v26, vcc_lo, s9, v14, vcc_lo
	s_addc_u32 s9, s11, s37
	;; [unrolled: 4-line block ×3, first 2 shown]
	v_add_co_u32 v30, vcc_lo, s8, v13
	v_add_co_ci_u32_e32 v31, vcc_lo, s9, v14, vcc_lo
	v_add_co_u32 v32, vcc_lo, s10, v13
	v_add_co_ci_u32_e32 v33, vcc_lo, s11, v14, vcc_lo
	;; [unrolled: 2-line block ×3, first 2 shown]
	s_add_u32 s3, s26, s3
	s_addc_u32 s8, s27, s17
	s_delay_alu instid0(VALU_DEP_2)
	v_add_co_u32 v34, vcc_lo, s3, v4
	s_add_u32 s3, s26, s36
	v_add_co_ci_u32_e32 v35, vcc_lo, s8, v13, vcc_lo
	s_addc_u32 s8, s27, s37
	v_add_co_u32 v36, vcc_lo, s3, v4
	s_add_u32 s3, s26, s38
	v_add_co_ci_u32_e32 v37, vcc_lo, s8, v13, vcc_lo
	s_addc_u32 s8, s27, s39
	v_add_co_u32 v38, vcc_lo, s3, v4
	v_add_co_ci_u32_e32 v39, vcc_lo, s8, v13, vcc_lo
	v_add_co_u32 v40, vcc_lo, s26, v4
	v_add_co_ci_u32_e32 v41, vcc_lo, s27, v13, vcc_lo
	v_mov_b32_e32 v14, v8
	v_dual_mov_b32 v4, 0 :: v_dual_mov_b32 v13, v7
	s_mul_hi_i32 s17, s22, 3
	s_mul_i32 s26, s22, 3
	s_lshl_b64 s[8:9], s[22:23], 1
	s_mov_b32 s27, 0
                                        ; implicit-def: $sgpr28
	s_branch .LBB81_21
.LBB81_18:                              ;   in Loop: Header=BB81_21 Depth=1
	s_or_b32 exec_lo, exec_lo, s36
	s_delay_alu instid0(SALU_CYCLE_1)
	s_or_not1_b32 s3, s3, exec_lo
.LBB81_19:                              ;   in Loop: Header=BB81_21 Depth=1
	s_or_b32 exec_lo, exec_lo, s35
	s_delay_alu instid0(SALU_CYCLE_1) | instskip(SKIP_1) | instid1(SALU_CYCLE_1)
	s_and_not1_b32 s28, s28, exec_lo
	s_and_b32 s3, s3, exec_lo
	s_or_b32 s28, s28, s3
.LBB81_20:                              ;   in Loop: Header=BB81_21 Depth=1
	s_or_b32 exec_lo, exec_lo, s29
	s_delay_alu instid0(SALU_CYCLE_1) | instskip(NEXT) | instid1(SALU_CYCLE_1)
	s_and_b32 s3, exec_lo, s28
	s_or_b32 s27, s3, s27
	s_delay_alu instid0(SALU_CYCLE_1)
	s_and_not1_b32 exec_lo, exec_lo, s27
	s_cbranch_execz .LBB81_25
.LBB81_21:                              ; =>This Inner Loop Header: Depth=1
	v_add_co_u32 v15, vcc_lo, v23, v11
	v_add_co_ci_u32_e32 v16, vcc_lo, v24, v12, vcc_lo
	v_add_co_u32 v42, vcc_lo, v32, v11
	v_add_co_ci_u32_e32 v43, vcc_lo, v33, v12, vcc_lo
	;; [unrolled: 2-line block ×3, first 2 shown]
	global_load_b64 v[15:16], v[15:16], off
	global_load_b64 v[42:43], v[42:43], off
	;; [unrolled: 1-line block ×3, first 2 shown]
	s_or_b32 s28, s28, exec_lo
	s_mov_b32 s29, exec_lo
	s_waitcnt vmcnt(2)
	v_lshlrev_b32_e32 v48, 16, v15
	s_waitcnt vmcnt(0)
	v_and_b32_e32 v50, 0xffff0000, v44
	v_lshlrev_b32_e32 v49, 16, v44
	v_alignbit_b32 v44, v45, v44, 16
	s_delay_alu instid0(VALU_DEP_1) | instskip(SKIP_2) | instid1(VALU_DEP_1)
	v_and_b32_e32 v44, 0xffff0000, v44
	v_and_b32_e32 v46, 0xffff0000, v15
	v_alignbit_b32 v15, v16, v15, 16
	v_and_b32_e32 v15, 0xffff0000, v15
	s_delay_alu instid0(VALU_DEP_1) | instskip(SKIP_2) | instid1(VALU_DEP_2)
	v_dual_add_f32 v15, v15, v44 :: v_dual_add_f32 v46, v46, v50
	v_dual_add_f32 v48, v48, v49 :: v_dual_and_b32 v47, 0xffff0000, v42
	s_waitcnt lgkmcnt(0)
	v_dual_mul_f32 v15, v28, v15 :: v_dual_and_b32 v16, 0xffff0000, v16
	s_delay_alu instid0(VALU_DEP_3) | instskip(NEXT) | instid1(VALU_DEP_3)
	v_dual_mul_f32 v46, v28, v46 :: v_dual_and_b32 v45, 0xffff0000, v45
	v_mul_f32_e32 v48, v28, v48
	s_delay_alu instid0(VALU_DEP_3) | instskip(NEXT) | instid1(VALU_DEP_3)
	v_bfe_u32 v51, v15, 16, 1
	v_dual_add_f32 v16, v16, v45 :: v_dual_lshlrev_b32 v45, 16, v42
	s_delay_alu instid0(VALU_DEP_3) | instskip(SKIP_1) | instid1(VALU_DEP_3)
	v_bfe_u32 v44, v48, 16, 1
	v_alignbit_b32 v42, v43, v42, 16
	v_dual_mul_f32 v16, v28, v16 :: v_dual_and_b32 v43, 0xffff0000, v43
	v_bfe_u32 v49, v46, 16, 1
	s_delay_alu instid0(VALU_DEP_4)
	v_add3_u32 v44, v48, v44, 0x7fff
	v_cmp_o_f32_e32 vcc_lo, v48, v48
	v_and_b32_e32 v42, 0xffff0000, v42
	v_bfe_u32 v50, v16, 16, 1
	v_add3_u32 v49, v46, v49, 0x7fff
	v_and_b32_e32 v44, 0xffff0000, v44
	v_add3_u32 v51, v15, v51, 0x7fff
	s_delay_alu instid0(VALU_DEP_4) | instskip(NEXT) | instid1(VALU_DEP_4)
	v_add3_u32 v50, v16, v50, 0x7fff
	v_and_b32_e32 v49, 0xffff0000, v49
	s_delay_alu instid0(VALU_DEP_4)
	v_cndmask_b32_e32 v44, 0x7fc00000, v44, vcc_lo
	v_cmp_o_f32_e32 vcc_lo, v46, v46
	v_and_b32_e32 v48, 0xffff0000, v51
	v_and_b32_e32 v50, 0xffff0000, v50
	v_cndmask_b32_e32 v46, 0x7fc00000, v49, vcc_lo
	v_cmp_o_f32_e32 vcc_lo, v16, v16
	s_delay_alu instid0(VALU_DEP_3) | instskip(SKIP_1) | instid1(VALU_DEP_4)
	v_cndmask_b32_e32 v16, 0x7fc00000, v50, vcc_lo
	v_cmp_o_f32_e32 vcc_lo, v15, v15
	v_dual_mul_f32 v44, v44, v45 :: v_dual_mul_f32 v45, v46, v47
	s_delay_alu instid0(VALU_DEP_3) | instskip(SKIP_1) | instid1(VALU_DEP_3)
	v_mul_f32_e32 v43, v16, v43
	v_cndmask_b32_e32 v15, 0x7fc00000, v48, vcc_lo
	v_bfe_u32 v46, v44, 16, 1
	s_delay_alu instid0(VALU_DEP_4) | instskip(SKIP_1) | instid1(VALU_DEP_4)
	v_bfe_u32 v16, v45, 16, 1
	v_cmp_o_f32_e32 vcc_lo, v44, v44
	v_mul_f32_e32 v42, v15, v42
	s_delay_alu instid0(VALU_DEP_4) | instskip(NEXT) | instid1(VALU_DEP_4)
	v_add3_u32 v15, v44, v46, 0x7fff
	v_add3_u32 v16, v45, v16, 0x7fff
	v_bfe_u32 v46, v43, 16, 1
	s_delay_alu instid0(VALU_DEP_4) | instskip(NEXT) | instid1(VALU_DEP_4)
	v_bfe_u32 v47, v42, 16, 1
	v_and_b32_e32 v15, 0xffff0000, v15
	s_delay_alu instid0(VALU_DEP_4) | instskip(NEXT) | instid1(VALU_DEP_4)
	v_and_b32_e32 v16, 0xffff0000, v16
	v_add3_u32 v46, v43, v46, 0x7fff
	s_delay_alu instid0(VALU_DEP_4) | instskip(NEXT) | instid1(VALU_DEP_4)
	v_add3_u32 v47, v42, v47, 0x7fff
	v_cndmask_b32_e64 v44, 0x7fc00000, |v15|, vcc_lo
	v_cmp_o_f32_e32 vcc_lo, v45, v45
	s_delay_alu instid0(VALU_DEP_4) | instskip(NEXT) | instid1(VALU_DEP_4)
	v_and_b32_e32 v46, 0xffff0000, v46
	v_and_b32_e32 v47, 0xffff0000, v47
	v_cndmask_b32_e64 v45, 0x7fc00000, |v16|, vcc_lo
	v_add_co_u32 v15, vcc_lo, v13, s22
	v_add_co_ci_u32_e32 v16, vcc_lo, s23, v14, vcc_lo
	v_cmp_o_f32_e32 vcc_lo, v42, v42
	s_delay_alu instid0(VALU_DEP_4) | instskip(SKIP_3) | instid1(VALU_DEP_1)
	v_max3_f32 v4, v4, v44, v45
	v_cndmask_b32_e64 v42, 0x7fc00000, |v47|, vcc_lo
	v_cmp_o_f32_e32 vcc_lo, v43, v43
	v_cndmask_b32_e64 v43, 0x7fc00000, |v46|, vcc_lo
	v_max3_f32 v4, v4, v42, v43
	v_cmpx_lt_i64_e64 v[15:16], v[9:10]
	s_cbranch_execz .LBB81_20
; %bb.22:                               ;   in Loop: Header=BB81_21 Depth=1
	v_add_co_u32 v42, vcc_lo, v21, v11
	v_add_co_ci_u32_e32 v43, vcc_lo, v22, v12, vcc_lo
	v_add_co_u32 v44, vcc_lo, v30, v11
	v_add_co_ci_u32_e32 v45, vcc_lo, v31, v12, vcc_lo
	;; [unrolled: 2-line block ×3, first 2 shown]
	global_load_b64 v[42:43], v[42:43], off
	global_load_b64 v[44:45], v[44:45], off
	;; [unrolled: 1-line block ×3, first 2 shown]
	s_mov_b32 s3, -1
	s_mov_b32 s35, exec_lo
	s_waitcnt vmcnt(2)
	v_lshlrev_b32_e32 v50, 16, v42
	s_waitcnt vmcnt(0)
	v_lshlrev_b32_e32 v51, 16, v46
	v_and_b32_e32 v52, 0xffff0000, v46
	v_alignbit_b32 v46, v47, v46, 16
	v_and_b32_e32 v47, 0xffff0000, v47
	v_and_b32_e32 v48, 0xffff0000, v42
	v_alignbit_b32 v42, v43, v42, 16
	v_and_b32_e32 v43, 0xffff0000, v43
	s_delay_alu instid0(VALU_DEP_1) | instskip(NEXT) | instid1(VALU_DEP_4)
	v_dual_add_f32 v43, v43, v47 :: v_dual_and_b32 v46, 0xffff0000, v46
	v_add_f32_e32 v48, v48, v52
	v_lshlrev_b32_e32 v47, 16, v44
	s_delay_alu instid0(VALU_DEP_3) | instskip(NEXT) | instid1(VALU_DEP_3)
	v_mul_f32_e32 v43, v28, v43
	v_mul_f32_e32 v48, v28, v48
	v_dual_add_f32 v50, v50, v51 :: v_dual_and_b32 v49, 0xffff0000, v44
	v_alignbit_b32 v44, v45, v44, 16
	v_and_b32_e32 v45, 0xffff0000, v45
	v_and_b32_e32 v42, 0xffff0000, v42
	v_bfe_u32 v51, v48, 16, 1
	v_mul_f32_e32 v50, v28, v50
	v_bfe_u32 v52, v43, 16, 1
	v_and_b32_e32 v44, 0xffff0000, v44
	v_add_f32_e32 v42, v42, v46
	v_add3_u32 v51, v48, v51, 0x7fff
	v_bfe_u32 v46, v50, 16, 1
	v_cmp_o_f32_e32 vcc_lo, v50, v50
	v_add3_u32 v52, v43, v52, 0x7fff
	s_delay_alu instid0(VALU_DEP_4) | instskip(NEXT) | instid1(VALU_DEP_4)
	v_dual_mul_f32 v42, v28, v42 :: v_dual_and_b32 v51, 0xffff0000, v51
	v_add3_u32 v46, v50, v46, 0x7fff
	s_delay_alu instid0(VALU_DEP_3) | instskip(NEXT) | instid1(VALU_DEP_3)
	v_and_b32_e32 v52, 0xffff0000, v52
	v_bfe_u32 v53, v42, 16, 1
	s_delay_alu instid0(VALU_DEP_3) | instskip(NEXT) | instid1(VALU_DEP_2)
	v_and_b32_e32 v46, 0xffff0000, v46
	v_add3_u32 v53, v42, v53, 0x7fff
	s_delay_alu instid0(VALU_DEP_2) | instskip(SKIP_1) | instid1(VALU_DEP_3)
	v_cndmask_b32_e32 v46, 0x7fc00000, v46, vcc_lo
	v_cmp_o_f32_e32 vcc_lo, v48, v48
	v_and_b32_e32 v50, 0xffff0000, v53
	s_delay_alu instid0(VALU_DEP_3) | instskip(SKIP_2) | instid1(VALU_DEP_2)
	v_mul_f32_e32 v46, v46, v47
	v_cndmask_b32_e32 v48, 0x7fc00000, v51, vcc_lo
	v_cmp_o_f32_e32 vcc_lo, v43, v43
	v_mul_f32_e32 v47, v48, v49
	v_cndmask_b32_e32 v43, 0x7fc00000, v52, vcc_lo
	v_cmp_o_f32_e32 vcc_lo, v42, v42
	v_bfe_u32 v48, v46, 16, 1
	s_delay_alu instid0(VALU_DEP_3) | instskip(SKIP_2) | instid1(VALU_DEP_2)
	v_dual_mul_f32 v45, v43, v45 :: v_dual_cndmask_b32 v42, 0x7fc00000, v50
	v_bfe_u32 v43, v47, 16, 1
	v_cmp_o_f32_e32 vcc_lo, v46, v46
	v_add3_u32 v43, v47, v43, 0x7fff
	s_delay_alu instid0(VALU_DEP_4) | instskip(SKIP_2) | instid1(VALU_DEP_4)
	v_mul_f32_e32 v44, v42, v44
	v_add3_u32 v42, v46, v48, 0x7fff
	v_bfe_u32 v48, v45, 16, 1
	v_and_b32_e32 v43, 0xffff0000, v43
	s_delay_alu instid0(VALU_DEP_4) | instskip(NEXT) | instid1(VALU_DEP_4)
	v_bfe_u32 v49, v44, 16, 1
	v_and_b32_e32 v42, 0xffff0000, v42
	s_delay_alu instid0(VALU_DEP_4) | instskip(NEXT) | instid1(VALU_DEP_3)
	v_add3_u32 v48, v45, v48, 0x7fff
	v_add3_u32 v49, v44, v49, 0x7fff
	s_delay_alu instid0(VALU_DEP_3) | instskip(SKIP_1) | instid1(VALU_DEP_4)
	v_cndmask_b32_e64 v46, 0x7fc00000, |v42|, vcc_lo
	v_cmp_o_f32_e32 vcc_lo, v47, v47
	v_and_b32_e32 v48, 0xffff0000, v48
	s_delay_alu instid0(VALU_DEP_4) | instskip(SKIP_4) | instid1(VALU_DEP_4)
	v_and_b32_e32 v49, 0xffff0000, v49
	v_cndmask_b32_e64 v47, 0x7fc00000, |v43|, vcc_lo
	v_add_co_u32 v42, vcc_lo, s8, v13
	v_add_co_ci_u32_e32 v43, vcc_lo, s9, v14, vcc_lo
	v_cmp_o_f32_e32 vcc_lo, v44, v44
	v_max3_f32 v4, v4, v46, v47
	v_cndmask_b32_e64 v44, 0x7fc00000, |v49|, vcc_lo
	v_cmp_o_f32_e32 vcc_lo, v45, v45
	v_cndmask_b32_e64 v45, 0x7fc00000, |v48|, vcc_lo
	s_delay_alu instid0(VALU_DEP_1)
	v_max3_f32 v4, v4, v44, v45
	v_cmpx_lt_i64_e64 v[42:43], v[9:10]
	s_cbranch_execz .LBB81_19
; %bb.23:                               ;   in Loop: Header=BB81_21 Depth=1
	v_add_co_u32 v42, vcc_lo, v19, v11
	v_add_co_ci_u32_e32 v43, vcc_lo, v20, v12, vcc_lo
	v_add_co_u32 v44, vcc_lo, v27, v11
	v_add_co_ci_u32_e32 v45, vcc_lo, v29, v12, vcc_lo
	;; [unrolled: 2-line block ×3, first 2 shown]
	global_load_b64 v[42:43], v[42:43], off
	global_load_b64 v[44:45], v[44:45], off
	;; [unrolled: 1-line block ×3, first 2 shown]
	s_waitcnt vmcnt(2)
	v_lshlrev_b32_e32 v50, 16, v42
	s_waitcnt vmcnt(0)
	v_lshlrev_b32_e32 v51, 16, v46
	v_and_b32_e32 v52, 0xffff0000, v46
	v_alignbit_b32 v46, v47, v46, 16
	v_and_b32_e32 v47, 0xffff0000, v47
	v_and_b32_e32 v48, 0xffff0000, v42
	v_alignbit_b32 v42, v43, v42, 16
	v_and_b32_e32 v43, 0xffff0000, v43
	s_delay_alu instid0(VALU_DEP_1) | instskip(NEXT) | instid1(VALU_DEP_4)
	v_dual_add_f32 v43, v43, v47 :: v_dual_and_b32 v46, 0xffff0000, v46
	v_add_f32_e32 v48, v48, v52
	v_lshlrev_b32_e32 v47, 16, v44
	s_delay_alu instid0(VALU_DEP_3) | instskip(NEXT) | instid1(VALU_DEP_3)
	v_mul_f32_e32 v43, v28, v43
	v_mul_f32_e32 v48, v28, v48
	v_dual_add_f32 v50, v50, v51 :: v_dual_and_b32 v49, 0xffff0000, v44
	v_alignbit_b32 v44, v45, v44, 16
	v_and_b32_e32 v45, 0xffff0000, v45
	v_and_b32_e32 v42, 0xffff0000, v42
	v_bfe_u32 v51, v48, 16, 1
	v_mul_f32_e32 v50, v28, v50
	v_bfe_u32 v52, v43, 16, 1
	v_and_b32_e32 v44, 0xffff0000, v44
	v_add_f32_e32 v42, v42, v46
	v_add3_u32 v51, v48, v51, 0x7fff
	v_bfe_u32 v46, v50, 16, 1
	v_cmp_o_f32_e32 vcc_lo, v50, v50
	v_add3_u32 v52, v43, v52, 0x7fff
	s_delay_alu instid0(VALU_DEP_4) | instskip(NEXT) | instid1(VALU_DEP_4)
	v_dual_mul_f32 v42, v28, v42 :: v_dual_and_b32 v51, 0xffff0000, v51
	v_add3_u32 v46, v50, v46, 0x7fff
	s_delay_alu instid0(VALU_DEP_3) | instskip(NEXT) | instid1(VALU_DEP_3)
	v_and_b32_e32 v52, 0xffff0000, v52
	v_bfe_u32 v53, v42, 16, 1
	s_delay_alu instid0(VALU_DEP_3) | instskip(NEXT) | instid1(VALU_DEP_2)
	v_and_b32_e32 v46, 0xffff0000, v46
	v_add3_u32 v53, v42, v53, 0x7fff
	s_delay_alu instid0(VALU_DEP_2) | instskip(SKIP_1) | instid1(VALU_DEP_3)
	v_cndmask_b32_e32 v46, 0x7fc00000, v46, vcc_lo
	v_cmp_o_f32_e32 vcc_lo, v48, v48
	v_and_b32_e32 v50, 0xffff0000, v53
	s_delay_alu instid0(VALU_DEP_3) | instskip(SKIP_2) | instid1(VALU_DEP_2)
	v_mul_f32_e32 v46, v46, v47
	v_cndmask_b32_e32 v48, 0x7fc00000, v51, vcc_lo
	v_cmp_o_f32_e32 vcc_lo, v43, v43
	v_mul_f32_e32 v47, v48, v49
	v_cndmask_b32_e32 v43, 0x7fc00000, v52, vcc_lo
	v_cmp_o_f32_e32 vcc_lo, v42, v42
	v_bfe_u32 v48, v46, 16, 1
	s_delay_alu instid0(VALU_DEP_3) | instskip(SKIP_2) | instid1(VALU_DEP_2)
	v_dual_mul_f32 v43, v43, v45 :: v_dual_cndmask_b32 v42, 0x7fc00000, v50
	v_bfe_u32 v45, v47, 16, 1
	v_cmp_o_f32_e32 vcc_lo, v46, v46
	v_add3_u32 v45, v47, v45, 0x7fff
	s_delay_alu instid0(VALU_DEP_4) | instskip(SKIP_2) | instid1(VALU_DEP_4)
	v_mul_f32_e32 v42, v42, v44
	v_add3_u32 v44, v46, v48, 0x7fff
	v_bfe_u32 v48, v43, 16, 1
	v_and_b32_e32 v45, 0xffff0000, v45
	s_delay_alu instid0(VALU_DEP_4) | instskip(NEXT) | instid1(VALU_DEP_4)
	v_bfe_u32 v49, v42, 16, 1
	v_and_b32_e32 v44, 0xffff0000, v44
	s_delay_alu instid0(VALU_DEP_4) | instskip(NEXT) | instid1(VALU_DEP_3)
	v_add3_u32 v48, v43, v48, 0x7fff
	v_add3_u32 v49, v42, v49, 0x7fff
	s_delay_alu instid0(VALU_DEP_3) | instskip(SKIP_1) | instid1(VALU_DEP_4)
	v_cndmask_b32_e64 v44, 0x7fc00000, |v44|, vcc_lo
	v_cmp_o_f32_e32 vcc_lo, v47, v47
	v_and_b32_e32 v47, 0xffff0000, v48
	s_delay_alu instid0(VALU_DEP_4) | instskip(SKIP_4) | instid1(VALU_DEP_4)
	v_and_b32_e32 v46, 0xffff0000, v49
	v_cndmask_b32_e64 v45, 0x7fc00000, |v45|, vcc_lo
	v_add_co_u32 v13, vcc_lo, s26, v13
	v_add_co_ci_u32_e32 v14, vcc_lo, s17, v14, vcc_lo
	v_cmp_o_f32_e32 vcc_lo, v42, v42
	v_max3_f32 v4, v4, v44, v45
	v_cndmask_b32_e64 v42, 0x7fc00000, |v46|, vcc_lo
	v_cmp_o_f32_e32 vcc_lo, v43, v43
	v_cndmask_b32_e64 v43, 0x7fc00000, |v47|, vcc_lo
	v_cmp_lt_i64_e32 vcc_lo, v[13:14], v[9:10]
                                        ; implicit-def: $vgpr13_vgpr14
	s_delay_alu instid0(VALU_DEP_2) | instskip(SKIP_1) | instid1(SALU_CYCLE_1)
	v_max3_f32 v4, v4, v42, v43
	s_and_saveexec_b32 s36, vcc_lo
	s_xor_b32 s36, exec_lo, s36
	s_cbranch_execz .LBB81_18
; %bb.24:                               ;   in Loop: Header=BB81_21 Depth=1
	v_add_co_u32 v13, vcc_lo, v17, v11
	v_add_co_ci_u32_e32 v14, vcc_lo, v18, v12, vcc_lo
	v_add_co_u32 v42, vcc_lo, v25, v11
	v_add_co_ci_u32_e32 v43, vcc_lo, v26, v12, vcc_lo
	;; [unrolled: 2-line block ×3, first 2 shown]
	global_load_b64 v[13:14], v[13:14], off
	global_load_b64 v[42:43], v[42:43], off
	global_load_b64 v[44:45], v[44:45], off
	v_add_co_u32 v17, vcc_lo, v17, s24
	v_add_co_ci_u32_e32 v18, vcc_lo, s25, v18, vcc_lo
	v_add_co_u32 v19, vcc_lo, v19, s24
	v_add_co_ci_u32_e32 v20, vcc_lo, s25, v20, vcc_lo
	;; [unrolled: 2-line block ×10, first 2 shown]
	s_add_u32 s3, s22, s22
	s_addc_u32 s37, s23, s23
	s_add_u32 s3, s3, s22
	s_addc_u32 s37, s37, s23
	s_waitcnt vmcnt(2)
	v_lshlrev_b32_e32 v48, 16, v13
	s_waitcnt vmcnt(0)
	v_and_b32_e32 v50, 0xffff0000, v44
	v_lshlrev_b32_e32 v49, 16, v44
	v_alignbit_b32 v44, v45, v44, 16
	s_delay_alu instid0(VALU_DEP_1) | instskip(SKIP_2) | instid1(VALU_DEP_1)
	v_and_b32_e32 v44, 0xffff0000, v44
	v_and_b32_e32 v46, 0xffff0000, v13
	v_alignbit_b32 v13, v14, v13, 16
	v_and_b32_e32 v13, 0xffff0000, v13
	s_delay_alu instid0(VALU_DEP_1) | instskip(SKIP_1) | instid1(VALU_DEP_2)
	v_dual_add_f32 v13, v13, v44 :: v_dual_add_f32 v46, v46, v50
	v_dual_add_f32 v48, v48, v49 :: v_dual_and_b32 v47, 0xffff0000, v42
	v_dual_mul_f32 v13, v28, v13 :: v_dual_and_b32 v14, 0xffff0000, v14
	s_delay_alu instid0(VALU_DEP_3) | instskip(NEXT) | instid1(VALU_DEP_3)
	v_dual_mul_f32 v46, v28, v46 :: v_dual_and_b32 v45, 0xffff0000, v45
	v_mul_f32_e32 v48, v28, v48
	s_delay_alu instid0(VALU_DEP_3) | instskip(NEXT) | instid1(VALU_DEP_3)
	v_bfe_u32 v51, v13, 16, 1
	v_dual_add_f32 v14, v14, v45 :: v_dual_lshlrev_b32 v45, 16, v42
	s_delay_alu instid0(VALU_DEP_3) | instskip(SKIP_2) | instid1(VALU_DEP_4)
	v_bfe_u32 v44, v48, 16, 1
	v_bfe_u32 v49, v46, 16, 1
	v_alignbit_b32 v42, v43, v42, 16
	v_dual_mul_f32 v14, v28, v14 :: v_dual_and_b32 v43, 0xffff0000, v43
	s_delay_alu instid0(VALU_DEP_4) | instskip(NEXT) | instid1(VALU_DEP_4)
	v_add3_u32 v44, v48, v44, 0x7fff
	v_add3_u32 v49, v46, v49, 0x7fff
	v_cmp_o_f32_e32 vcc_lo, v48, v48
	s_delay_alu instid0(VALU_DEP_4)
	v_bfe_u32 v50, v14, 16, 1
	v_and_b32_e32 v42, 0xffff0000, v42
	v_and_b32_e32 v44, 0xffff0000, v44
	;; [unrolled: 1-line block ×3, first 2 shown]
	v_add3_u32 v51, v13, v51, 0x7fff
	v_add3_u32 v50, v14, v50, 0x7fff
	s_delay_alu instid0(VALU_DEP_4) | instskip(SKIP_1) | instid1(VALU_DEP_4)
	v_cndmask_b32_e32 v44, 0x7fc00000, v44, vcc_lo
	v_cmp_o_f32_e32 vcc_lo, v46, v46
	v_and_b32_e32 v48, 0xffff0000, v51
	s_delay_alu instid0(VALU_DEP_4) | instskip(SKIP_2) | instid1(VALU_DEP_3)
	v_and_b32_e32 v50, 0xffff0000, v50
	v_cndmask_b32_e32 v46, 0x7fc00000, v49, vcc_lo
	v_cmp_o_f32_e32 vcc_lo, v14, v14
	v_cndmask_b32_e32 v14, 0x7fc00000, v50, vcc_lo
	v_cmp_o_f32_e32 vcc_lo, v13, v13
	s_delay_alu instid0(VALU_DEP_4) | instskip(NEXT) | instid1(VALU_DEP_3)
	v_dual_mul_f32 v44, v44, v45 :: v_dual_mul_f32 v45, v46, v47
	v_mul_f32_e32 v43, v14, v43
	v_cndmask_b32_e32 v13, 0x7fc00000, v48, vcc_lo
	s_delay_alu instid0(VALU_DEP_3) | instskip(NEXT) | instid1(VALU_DEP_4)
	v_bfe_u32 v14, v44, 16, 1
	v_bfe_u32 v46, v45, 16, 1
	v_cmp_o_f32_e32 vcc_lo, v44, v44
	s_delay_alu instid0(VALU_DEP_4) | instskip(NEXT) | instid1(VALU_DEP_4)
	v_mul_f32_e32 v42, v13, v42
	v_add3_u32 v14, v44, v14, 0x7fff
	v_bfe_u32 v13, v43, 16, 1
	v_add3_u32 v46, v45, v46, 0x7fff
	s_delay_alu instid0(VALU_DEP_4) | instskip(NEXT) | instid1(VALU_DEP_4)
	v_bfe_u32 v47, v42, 16, 1
	v_and_b32_e32 v14, 0xffff0000, v14
	s_delay_alu instid0(VALU_DEP_4) | instskip(NEXT) | instid1(VALU_DEP_4)
	v_add3_u32 v13, v43, v13, 0x7fff
	v_and_b32_e32 v46, 0xffff0000, v46
	s_delay_alu instid0(VALU_DEP_4) | instskip(NEXT) | instid1(VALU_DEP_4)
	v_add3_u32 v47, v42, v47, 0x7fff
	v_cndmask_b32_e64 v44, 0x7fc00000, |v14|, vcc_lo
	v_cmp_o_f32_e32 vcc_lo, v45, v45
	v_and_b32_e32 v48, 0xffff0000, v13
	v_cndmask_b32_e64 v45, 0x7fc00000, |v46|, vcc_lo
	v_add_co_u32 v13, vcc_lo, s3, v15
	v_add_co_ci_u32_e32 v14, vcc_lo, s37, v16, vcc_lo
	v_cmp_o_f32_e32 vcc_lo, v43, v43
	v_and_b32_e32 v15, 0xffff0000, v47
	v_max3_f32 v4, v4, v44, v45
	v_add_co_u32 v40, s3, v40, s24
	v_cndmask_b32_e64 v16, 0x7fc00000, |v48|, vcc_lo
	v_cmp_o_f32_e32 vcc_lo, v42, v42
	v_add_co_ci_u32_e64 v41, s3, s25, v41, s3
	v_cndmask_b32_e64 v15, 0x7fc00000, |v15|, vcc_lo
	v_add_co_u32 v38, vcc_lo, v38, s24
	v_add_co_ci_u32_e32 v39, vcc_lo, s25, v39, vcc_lo
	v_cmp_ge_i64_e32 vcc_lo, v[13:14], v[9:10]
	s_delay_alu instid0(VALU_DEP_4)
	v_max3_f32 v4, v4, v15, v16
	s_or_not1_b32 s3, vcc_lo, exec_lo
	s_branch .LBB81_18
.LBB81_25:
	s_or_b32 exec_lo, exec_lo, s27
.LBB81_26:
	s_delay_alu instid0(SALU_CYCLE_1)
	s_or_b32 exec_lo, exec_lo, s13
	s_lshr_b32 s13, s34, 5
	s_ashr_i32 s17, s16, 31
	v_cvt_f32_u32_e32 v9, s13
	s_sub_i32 s8, 0, s13
	s_add_i32 s9, s16, s13
	v_lshlrev_b32_e32 v29, 2, v0
	s_add_i32 s9, s9, -1
	v_rcp_iflag_f32_e32 v9, v9
	s_abs_i32 s24, s9
	s_ashr_i32 s9, s9, 31
	ds_store_b32 v29, v4
	s_waitcnt lgkmcnt(0)
	s_barrier
	buffer_gl0_inv
	v_mul_f32_e32 v9, 0x4f7ffffe, v9
	s_delay_alu instid0(VALU_DEP_1) | instskip(NEXT) | instid1(VALU_DEP_1)
	v_cvt_u32_f32_e32 v9, v9
	v_readfirstlane_b32 s3, v9
	s_delay_alu instid0(VALU_DEP_1) | instskip(NEXT) | instid1(SALU_CYCLE_1)
	s_mul_i32 s8, s8, s3
	s_mul_hi_u32 s8, s3, s8
	s_delay_alu instid0(SALU_CYCLE_1) | instskip(NEXT) | instid1(SALU_CYCLE_1)
	s_add_i32 s3, s3, s8
	s_mul_hi_u32 s3, s24, s3
	s_delay_alu instid0(SALU_CYCLE_1) | instskip(NEXT) | instid1(SALU_CYCLE_1)
	s_mul_i32 s8, s3, s13
	s_sub_i32 s8, s24, s8
	s_add_i32 s24, s3, 1
	s_sub_i32 s25, s8, s13
	s_cmp_ge_u32 s8, s13
	s_cselect_b32 s3, s24, s3
	s_cselect_b32 s8, s25, s8
	s_add_i32 s24, s3, 1
	s_cmp_ge_u32 s8, s13
	s_cselect_b32 s3, s24, s3
	s_delay_alu instid0(SALU_CYCLE_1) | instskip(NEXT) | instid1(SALU_CYCLE_1)
	s_xor_b32 s3, s3, s9
	s_sub_i32 s8, s3, s9
	s_delay_alu instid0(SALU_CYCLE_1) | instskip(NEXT) | instid1(SALU_CYCLE_1)
	s_ashr_i32 s9, s8, 31
	v_cmp_lt_i64_e64 s3, s[8:9], 1
	s_delay_alu instid0(VALU_DEP_1)
	s_and_b32 vcc_lo, exec_lo, s3
	s_cbranch_vccnz .LBB81_46
; %bb.27:
	v_lshrrev_b32_e32 v9, 5, v0
	v_and_b32_e32 v4, 31, v0
	s_mov_b64 s[24:25], 0
	s_mov_b64 s[26:27], src_shared_base
	s_delay_alu instid0(VALU_DEP_2) | instskip(NEXT) | instid1(VALU_DEP_2)
	v_mul_lo_u32 v19, s22, v9
	v_add_co_u32 v11, s3, v4, 16
	s_delay_alu instid0(VALU_DEP_1) | instskip(SKIP_1) | instid1(VALU_DEP_1)
	v_add_co_ci_u32_e64 v12, null, 0, 0, s3
	v_add_co_u32 v13, s3, v4, 8
	v_add_co_ci_u32_e64 v14, null, 0, 0, s3
	v_add_co_u32 v15, s3, v4, 4
	v_dual_mov_b32 v10, 0 :: v_dual_lshlrev_b32 v21, 2, v19
	v_lshlrev_b32_e32 v22, 2, v4
	v_add_co_ci_u32_e64 v16, null, 0, 0, s3
	v_add_co_u32 v17, s3, v4, 2
	s_delay_alu instid0(VALU_DEP_1) | instskip(SKIP_1) | instid1(VALU_DEP_1)
	v_add_co_ci_u32_e64 v18, null, 0, 0, s3
	v_add_co_u32 v19, s3, v4, 1
	v_add_co_ci_u32_e64 v20, null, 0, 0, s3
	v_add3_u32 v30, v21, v22, 0x80
	s_mul_i32 s3, s22, s13
	s_delay_alu instid0(SALU_CYCLE_1)
	s_lshl_b32 s28, s3, 2
	s_branch .LBB81_30
.LBB81_28:                              ;   in Loop: Header=BB81_30 Depth=1
	s_or_b32 exec_lo, exec_lo, s3
	v_mov_b32_e32 v22, s27
	flat_load_b32 v21, v[21:22] glc dlc
	s_waitcnt vmcnt(0)
.LBB81_29:                              ;   in Loop: Header=BB81_30 Depth=1
	s_or_b32 exec_lo, exec_lo, s26
	s_add_u32 s24, s24, 1
	v_add_nc_u32_e32 v30, s28, v30
	s_addc_u32 s25, s25, 0
	s_delay_alu instid0(SALU_CYCLE_1)
	s_cmp_eq_u64 s[24:25], s[8:9]
	s_cbranch_scc1 .LBB81_46
.LBB81_30:                              ; =>This Loop Header: Depth=1
                                        ;     Child Loop BB81_33 Depth 2
	s_waitcnt lgkmcnt(0)
	v_mad_u64_u32 v[21:22], null, s24, s13, v[9:10]
	s_mov_b32 s26, exec_lo
	s_delay_alu instid0(VALU_DEP_1) | instskip(NEXT) | instid1(VALU_DEP_1)
	v_mad_u64_u32 v[23:24], null, s25, s13, v[22:23]
	v_mov_b32_e32 v22, v23
	s_delay_alu instid0(VALU_DEP_1)
	v_cmpx_gt_i64_e64 s[16:17], v[21:22]
	s_cbranch_execz .LBB81_29
; %bb.31:                               ;   in Loop: Header=BB81_30 Depth=1
	v_mul_lo_u32 v24, v22, s22
	v_mul_lo_u32 v25, v21, s23
	v_mad_u64_u32 v[22:23], null, v21, s22, 0
	s_delay_alu instid0(VALU_DEP_1) | instskip(NEXT) | instid1(VALU_DEP_2)
	v_add3_u32 v23, v23, v25, v24
	v_add_co_u32 v24, vcc_lo, v22, s22
	v_add_co_u32 v31, s3, v22, v4
	s_delay_alu instid0(VALU_DEP_3) | instskip(SKIP_2) | instid1(VALU_DEP_2)
	v_add_co_ci_u32_e32 v25, vcc_lo, s23, v23, vcc_lo
	v_add_co_ci_u32_e64 v21, s3, 0, v23, s3
	s_mov_b32 s3, exec_lo
	v_cmp_gt_i64_e32 vcc_lo, s[20:21], v[24:25]
	v_cndmask_b32_e32 v25, s21, v25, vcc_lo
	v_cndmask_b32_e32 v24, s20, v24, vcc_lo
	v_add_co_u32 v26, vcc_lo, v31, 32
	v_add_co_ci_u32_e32 v27, vcc_lo, 0, v21, vcc_lo
	v_lshlrev_b32_e32 v21, 2, v31
	s_delay_alu instid0(VALU_DEP_2)
	v_cmpx_lt_i64_e64 v[26:27], v[24:25]
	s_cbranch_execz .LBB81_34
; %bb.32:                               ;   in Loop: Header=BB81_30 Depth=1
	ds_load_b32 v33, v21
	v_mov_b32_e32 v32, v30
	s_mov_b32 s29, 0
.LBB81_33:                              ;   Parent Loop BB81_30 Depth=1
                                        ; =>  This Inner Loop Header: Depth=2
	ds_load_b32 v34, v32
	v_add_co_u32 v26, vcc_lo, v26, 32
	v_add_co_ci_u32_e32 v27, vcc_lo, 0, v27, vcc_lo
	s_waitcnt lgkmcnt(1)
	v_dual_max_f32 v33, v33, v33 :: v_dual_add_nc_u32 v32, 0x80, v32
	s_delay_alu instid0(VALU_DEP_2) | instskip(SKIP_3) | instid1(VALU_DEP_1)
	v_cmp_ge_i64_e32 vcc_lo, v[26:27], v[24:25]
	s_or_b32 s29, vcc_lo, s29
	s_waitcnt lgkmcnt(0)
	v_max_f32_e32 v34, v34, v34
	v_max_f32_e32 v33, v33, v34
	ds_store_b32 v21, v33
	s_and_not1_b32 exec_lo, exec_lo, s29
	s_cbranch_execnz .LBB81_33
.LBB81_34:                              ;   in Loop: Header=BB81_30 Depth=1
	s_or_b32 exec_lo, exec_lo, s3
	v_sub_co_u32 v22, vcc_lo, v24, v22
	v_sub_co_ci_u32_e32 v23, vcc_lo, v25, v23, vcc_lo
	s_mov_b32 s3, exec_lo
	s_delay_alu instid0(VALU_DEP_1) | instskip(SKIP_1) | instid1(VALU_DEP_1)
	v_cmp_gt_i64_e32 vcc_lo, 32, v[22:23]
	v_dual_cndmask_b32 v24, 0, v23 :: v_dual_cndmask_b32 v23, 32, v22
	v_cmpx_lt_i64_e64 v[11:12], v[23:24]
	s_cbranch_execz .LBB81_36
; %bb.35:                               ;   in Loop: Header=BB81_30 Depth=1
	v_dual_mov_b32 v22, s27 :: v_dual_add_nc_u32 v25, 64, v21
	v_mov_b32_e32 v26, s27
	flat_load_b32 v27, v[21:22] glc dlc
	s_waitcnt vmcnt(0)
	flat_load_b32 v25, v[25:26] glc dlc
	s_waitcnt vmcnt(0) lgkmcnt(0)
	v_dual_max_f32 v26, v27, v27 :: v_dual_max_f32 v25, v25, v25
	s_delay_alu instid0(VALU_DEP_1)
	v_max_f32_e32 v25, v26, v25
	flat_store_b32 v[21:22], v25 dlc
	s_waitcnt_vscnt null, 0x0
.LBB81_36:                              ;   in Loop: Header=BB81_30 Depth=1
	s_or_b32 exec_lo, exec_lo, s3
	s_delay_alu instid0(SALU_CYCLE_1)
	s_mov_b32 s3, exec_lo
	v_cmpx_lt_i64_e64 v[13:14], v[23:24]
	s_cbranch_execz .LBB81_38
; %bb.37:                               ;   in Loop: Header=BB81_30 Depth=1
	v_dual_mov_b32 v22, s27 :: v_dual_add_nc_u32 v25, 32, v21
	v_mov_b32_e32 v26, s27
	flat_load_b32 v27, v[21:22] glc dlc
	s_waitcnt vmcnt(0)
	flat_load_b32 v25, v[25:26] glc dlc
	s_waitcnt vmcnt(0) lgkmcnt(0)
	v_dual_max_f32 v26, v27, v27 :: v_dual_max_f32 v25, v25, v25
	s_delay_alu instid0(VALU_DEP_1)
	v_max_f32_e32 v25, v26, v25
	flat_store_b32 v[21:22], v25 dlc
	s_waitcnt_vscnt null, 0x0
.LBB81_38:                              ;   in Loop: Header=BB81_30 Depth=1
	s_or_b32 exec_lo, exec_lo, s3
	s_delay_alu instid0(SALU_CYCLE_1)
	s_mov_b32 s3, exec_lo
	v_cmpx_ge_i64_e64 v[15:16], v[23:24]
	s_xor_b32 s3, exec_lo, s3
; %bb.39:                               ;   in Loop: Header=BB81_30 Depth=1
                                        ; implicit-def: $vgpr21
; %bb.40:                               ;   in Loop: Header=BB81_30 Depth=1
	s_delay_alu instid0(SALU_CYCLE_1)
	s_and_not1_saveexec_b32 s3, s3
	s_cbranch_execz .LBB81_42
; %bb.41:                               ;   in Loop: Header=BB81_30 Depth=1
	v_dual_mov_b32 v22, s27 :: v_dual_add_nc_u32 v25, 16, v21
	v_mov_b32_e32 v26, s27
	flat_load_b32 v27, v[21:22] glc dlc
	s_waitcnt vmcnt(0)
	flat_load_b32 v25, v[25:26] glc dlc
	s_waitcnt vmcnt(0) lgkmcnt(0)
	v_dual_max_f32 v26, v27, v27 :: v_dual_max_f32 v25, v25, v25
	s_delay_alu instid0(VALU_DEP_1)
	v_max_f32_e32 v25, v26, v25
	flat_store_b32 v[21:22], v25 dlc
	s_waitcnt_vscnt null, 0x0
.LBB81_42:                              ;   in Loop: Header=BB81_30 Depth=1
	s_or_b32 exec_lo, exec_lo, s3
	v_lshlrev_b32_e32 v21, 2, v31
	s_mov_b32 s3, exec_lo
	v_cmpx_lt_i64_e64 v[17:18], v[23:24]
	s_cbranch_execz .LBB81_44
; %bb.43:                               ;   in Loop: Header=BB81_30 Depth=1
	s_delay_alu instid0(VALU_DEP_2)
	v_dual_mov_b32 v22, s27 :: v_dual_add_nc_u32 v25, 8, v21
	v_mov_b32_e32 v26, s27
	flat_load_b32 v27, v[21:22] glc dlc
	s_waitcnt vmcnt(0)
	flat_load_b32 v25, v[25:26] glc dlc
	s_waitcnt vmcnt(0) lgkmcnt(0)
	v_dual_max_f32 v26, v27, v27 :: v_dual_max_f32 v25, v25, v25
	s_delay_alu instid0(VALU_DEP_1)
	v_max_f32_e32 v25, v26, v25
	flat_store_b32 v[21:22], v25 dlc
	s_waitcnt_vscnt null, 0x0
.LBB81_44:                              ;   in Loop: Header=BB81_30 Depth=1
	s_or_b32 exec_lo, exec_lo, s3
	s_delay_alu instid0(SALU_CYCLE_1)
	s_mov_b32 s3, exec_lo
	v_cmpx_lt_i64_e64 v[19:20], v[23:24]
	s_cbranch_execz .LBB81_28
; %bb.45:                               ;   in Loop: Header=BB81_30 Depth=1
	v_dual_mov_b32 v22, s27 :: v_dual_add_nc_u32 v23, 4, v21
	v_mov_b32_e32 v24, s27
	flat_load_b32 v25, v[21:22] glc dlc
	s_waitcnt vmcnt(0)
	flat_load_b32 v23, v[23:24] glc dlc
	s_waitcnt vmcnt(0) lgkmcnt(0)
	v_dual_max_f32 v24, v25, v25 :: v_dual_max_f32 v23, v23, v23
	s_delay_alu instid0(VALU_DEP_1)
	v_max_f32_e32 v23, v24, v23
	flat_store_b32 v[21:22], v23 dlc
	s_waitcnt_vscnt null, 0x0
	s_branch .LBB81_28
.LBB81_46:
	v_cmp_lt_i64_e32 vcc_lo, v[7:8], v[5:6]
	v_cmp_eq_u32_e64 s3, 0, v3
	s_mul_i32 s13, s17, s15
	s_mul_hi_u32 s17, s16, s15
	s_mul_i32 s8, s16, s15
	s_waitcnt lgkmcnt(0)
	s_and_b32 s9, s3, vcc_lo
	s_barrier
	buffer_gl0_inv
	s_and_saveexec_b32 s3, s9
	s_cbranch_execz .LBB81_50
; %bb.47:
	s_load_b64 s[0:1], s[0:1], 0x20
	ds_load_b32 v3, v29
	s_waitcnt lgkmcnt(0)
	s_cmp_eq_u64 s[0:1], 0
	s_cbranch_scc1 .LBB81_49
; %bb.48:
	s_load_b32 s0, s[0:1], 0x0
	v_max_f32_e32 v3, v3, v3
	s_waitcnt lgkmcnt(0)
	v_max_f32_e64 v4, s0, s0
	s_delay_alu instid0(VALU_DEP_1)
	v_min_f32_e32 v3, v3, v4
.LBB81_49:
	s_delay_alu instid0(VALU_DEP_1) | instskip(SKIP_2) | instid1(VALU_DEP_2)
	v_div_scale_f32 v4, null, 0x43e00000, 0x43e00000, v3
	v_div_scale_f32 v7, vcc_lo, v3, 0x43e00000, v3
	s_add_i32 s9, s17, s13
	v_rcp_f32_e32 v5, v4
	v_lshlrev_b64 v[1:2], 2, v[1:2]
	s_lshl_b64 s[0:1], s[8:9], 2
	s_delay_alu instid0(SALU_CYCLE_1) | instskip(SKIP_3) | instid1(VALU_DEP_1)
	s_add_u32 s0, s6, s0
	s_addc_u32 s1, s7, s1
	s_waitcnt_depctr 0xfff
	v_fma_f32 v6, -v4, v5, 1.0
	v_fmac_f32_e32 v5, v6, v5
	s_delay_alu instid0(VALU_DEP_1) | instskip(NEXT) | instid1(VALU_DEP_1)
	v_mul_f32_e32 v6, v7, v5
	v_fma_f32 v8, -v4, v6, v7
	s_delay_alu instid0(VALU_DEP_1) | instskip(NEXT) | instid1(VALU_DEP_1)
	v_fmac_f32_e32 v6, v8, v5
	v_fma_f32 v4, -v4, v6, v7
	s_delay_alu instid0(VALU_DEP_1) | instskip(SKIP_2) | instid1(VALU_DEP_3)
	v_div_fmas_f32 v4, v4, v5, v6
	v_add_co_u32 v1, vcc_lo, s0, v1
	v_add_co_ci_u32_e32 v2, vcc_lo, s1, v2, vcc_lo
	v_div_fixup_f32 v3, v4, 0x43e00000, v3
	s_delay_alu instid0(VALU_DEP_1)
	v_max_f32_e32 v3, 0x36924925, v3
	global_store_b32 v[1:2], v3, off
.LBB81_50:
	s_or_b32 exec_lo, exec_lo, s3
	s_waitcnt_vscnt null, 0x0
	s_barrier
	buffer_gl0_inv
	s_and_saveexec_b32 s0, s2
	s_cbranch_execz .LBB81_155
; %bb.51:
	s_add_u32 s2, s4, s18
	s_addc_u32 s3, s5, s19
	s_add_i32 s9, s17, s13
	v_mov_b32_e32 v1, 0
	s_lshl_b64 s[0:1], s[8:9], 2
	s_mul_i32 s4, s34, 3
	s_add_u32 s0, s6, s0
	s_addc_u32 s1, s7, s1
	s_lshl_b32 s5, s34, 1
	s_mov_b32 s6, 0
	s_mov_b32 s7, 0x43e00000
	s_add_i32 s8, s34, s34
	s_branch .LBB81_57
.LBB81_52:                              ;   in Loop: Header=BB81_57 Depth=1
	s_or_b32 exec_lo, exec_lo, s17
.LBB81_53:                              ;   in Loop: Header=BB81_57 Depth=1
	s_delay_alu instid0(SALU_CYCLE_1)
	s_or_b32 exec_lo, exec_lo, s16
	v_lshrrev_b32_e32 v5, 24, v12
	v_lshrrev_b32_e32 v9, 24, v10
	v_lshlrev_b32_e32 v10, 24, v3
	v_lshrrev_b32_e32 v7, 24, v7
	v_and_b32_e32 v8, 0xff, v8
	v_and_b32_e32 v5, 0x80, v5
	;; [unrolled: 1-line block ×3, first 2 shown]
	s_delay_alu instid0(VALU_DEP_3) | instskip(NEXT) | instid1(VALU_DEP_3)
	v_and_or_b32 v7, 0x80, v7, v8
	v_and_or_b32 v5, 0xff, v11, v5
	v_and_b32_e32 v11, 0x80000000, v4
	v_lshlrev_b64 v[3:4], 2, v[0:1]
	v_and_or_b32 v6, 0xff, v6, v9
	v_add3_u32 v0, s8, s34, v2
	v_lshlrev_b32_e32 v5, 16, v5
	s_delay_alu instid0(VALU_DEP_3) | instskip(SKIP_1) | instid1(VALU_DEP_3)
	v_lshlrev_b32_e32 v6, 8, v6
	v_add_co_u32 v2, vcc_lo, s2, v3
	v_or3_b32 v5, v11, v10, v5
	v_add_co_ci_u32_e32 v3, vcc_lo, s3, v4, vcc_lo
	v_cmp_le_u32_e32 vcc_lo, s12, v0
	s_delay_alu instid0(VALU_DEP_3)
	v_or3_b32 v4, v5, v6, v7
	s_or_not1_b32 s16, vcc_lo, exec_lo
	global_store_b32 v[2:3], v4, off
.LBB81_54:                              ;   in Loop: Header=BB81_57 Depth=1
	s_or_b32 exec_lo, exec_lo, s15
	s_delay_alu instid0(SALU_CYCLE_1)
	s_or_not1_b32 s15, s16, exec_lo
.LBB81_55:                              ;   in Loop: Header=BB81_57 Depth=1
	s_or_b32 exec_lo, exec_lo, s13
	s_delay_alu instid0(SALU_CYCLE_1)
	s_or_not1_b32 s13, s15, exec_lo
.LBB81_56:                              ;   in Loop: Header=BB81_57 Depth=1
	s_or_b32 exec_lo, exec_lo, s9
	s_delay_alu instid0(SALU_CYCLE_1) | instskip(NEXT) | instid1(SALU_CYCLE_1)
	s_and_b32 s9, exec_lo, s13
	s_or_b32 s6, s9, s6
	s_delay_alu instid0(SALU_CYCLE_1)
	s_and_not1_b32 exec_lo, exec_lo, s6
	s_cbranch_execz .LBB81_155
.LBB81_57:                              ; =>This Inner Loop Header: Depth=1
	v_lshlrev_b64 v[2:3], 3, v[0:1]
	s_mov_b32 s9, exec_lo
	s_delay_alu instid0(VALU_DEP_1) | instskip(NEXT) | instid1(VALU_DEP_2)
	v_add_co_u32 v4, vcc_lo, s14, v2
	v_add_co_ci_u32_e32 v5, vcc_lo, s30, v3, vcc_lo
	v_add_co_u32 v12, vcc_lo, s31, v2
	v_add_co_ci_u32_e32 v13, vcc_lo, s33, v3, vcc_lo
	v_add_co_u32 v2, vcc_lo, s10, v2
	v_add_co_ci_u32_e32 v3, vcc_lo, s11, v3, vcc_lo
	global_load_b64 v[5:6], v[4:5], off
	global_load_b64 v[7:8], v[12:13], off
	v_lshrrev_b32_e32 v4, 2, v0
	global_load_b64 v[2:3], v[2:3], off
	s_waitcnt vmcnt(2)
	v_lshlrev_b32_e32 v9, 16, v5
	s_waitcnt vmcnt(0)
	v_lshlrev_b32_e32 v14, 16, v2
	v_lshlrev_b32_e32 v10, 16, v7
	s_delay_alu instid0(VALU_DEP_1) | instskip(SKIP_2) | instid1(VALU_DEP_1)
	v_dual_add_f32 v11, v9, v10 :: v_dual_and_b32 v4, 0xffffffc, v4
	global_load_b32 v4, v4, s[0:1]
	v_mul_f32_e32 v9, v28, v11
	v_bfe_u32 v10, v9, 16, 1
	s_delay_alu instid0(VALU_DEP_1) | instskip(NEXT) | instid1(VALU_DEP_1)
	v_add3_u32 v10, v9, v10, 0x7fff
	v_and_b32_e32 v10, 0xffff0000, v10
	v_cmp_o_f32_e32 vcc_lo, v9, v9
	s_delay_alu instid0(VALU_DEP_2) | instskip(NEXT) | instid1(VALU_DEP_1)
	v_cndmask_b32_e32 v9, 0x7fc00000, v10, vcc_lo
	v_mul_f32_e32 v9, v9, v14
	s_delay_alu instid0(VALU_DEP_1) | instskip(SKIP_1) | instid1(VALU_DEP_2)
	v_bfe_u32 v10, v9, 16, 1
	v_cmp_o_f32_e32 vcc_lo, v9, v9
	v_add3_u32 v10, v9, v10, 0x7fff
	s_delay_alu instid0(VALU_DEP_1) | instskip(NEXT) | instid1(VALU_DEP_1)
	v_and_b32_e32 v10, 0xffff0000, v10
	v_cndmask_b32_e32 v14, 0x7fc00000, v10, vcc_lo
	v_and_b32_e32 v10, 0xffff0000, v5
	v_alignbit_b32 v5, v6, v5, 16
	v_and_b32_e32 v6, 0xffff0000, v6
	s_waitcnt vmcnt(0)
	v_div_scale_f32 v15, null, v4, v4, v14
	v_div_scale_f32 v17, vcc_lo, v14, v4, v14
	s_delay_alu instid0(VALU_DEP_2) | instskip(SKIP_2) | instid1(VALU_DEP_1)
	v_rcp_f32_e32 v16, v15
	s_waitcnt_depctr 0xfff
	v_fma_f32 v9, -v15, v16, 1.0
	v_fmac_f32_e32 v16, v9, v16
	v_alignbit_b32 v9, v8, v7, 16
	v_and_b32_e32 v7, 0xffff0000, v7
	v_and_b32_e32 v8, 0xffff0000, v8
	s_delay_alu instid0(VALU_DEP_4) | instskip(NEXT) | instid1(VALU_DEP_4)
	v_dual_mul_f32 v18, v17, v16 :: v_dual_and_b32 v5, 0xffff0000, v5
	v_and_b32_e32 v19, 0xffff0000, v9
	s_delay_alu instid0(VALU_DEP_4) | instskip(NEXT) | instid1(VALU_DEP_4)
	v_add_f32_e32 v9, v10, v7
	v_add_f32_e32 v8, v6, v8
	s_delay_alu instid0(VALU_DEP_4) | instskip(NEXT) | instid1(VALU_DEP_3)
	v_fma_f32 v7, -v15, v18, v17
	v_bfe_u32 v6, v9, 16, 1
	s_delay_alu instid0(VALU_DEP_2) | instskip(NEXT) | instid1(VALU_DEP_4)
	v_fmac_f32_e32 v18, v7, v16
	v_bfe_u32 v7, v8, 16, 1
	s_delay_alu instid0(VALU_DEP_3) | instskip(NEXT) | instid1(VALU_DEP_3)
	v_add3_u32 v6, v9, v6, 0x7fff
	v_fma_f32 v15, -v15, v18, v17
	s_delay_alu instid0(VALU_DEP_3) | instskip(NEXT) | instid1(VALU_DEP_3)
	v_add3_u32 v7, v8, v7, 0x7fff
	v_and_b32_e32 v6, 0xffff0000, v6
	s_delay_alu instid0(VALU_DEP_3)
	v_div_fmas_f32 v15, v15, v16, v18
	v_cmp_o_f32_e32 vcc_lo, v9, v9
	v_add_f32_e32 v10, v5, v19
	v_bfe_u32 v5, v11, 16, 1
	v_and_b32_e32 v7, 0xffff0000, v7
	v_div_fixup_f32 v14, v15, v4, v14
	v_cndmask_b32_e32 v15, 0x7fc00000, v6, vcc_lo
	v_bfe_u32 v19, v10, 16, 1
	v_add3_u32 v5, v11, v5, 0x7fff
	v_cmp_o_f32_e32 vcc_lo, v11, v11
	v_minmax_f32 v6, v14, s7, 0xc3e00000
	s_delay_alu instid0(VALU_DEP_4) | instskip(NEXT) | instid1(VALU_DEP_4)
	v_add3_u32 v17, v10, v19, 0x7fff
	v_lshrrev_b32_e32 v5, 16, v5
	s_delay_alu instid0(VALU_DEP_3) | instskip(NEXT) | instid1(VALU_DEP_3)
	v_and_b32_e32 v11, 0x7fffffff, v6
	v_lshrrev_b32_e32 v16, 16, v17
	s_delay_alu instid0(VALU_DEP_3)
	v_cndmask_b32_e32 v5, 0x7fc0, v5, vcc_lo
	v_cmp_o_f32_e32 vcc_lo, v8, v8
	v_cndmask_b32_e32 v7, 0x7fc00000, v7, vcc_lo
	v_cmp_o_f32_e32 vcc_lo, v10, v10
	v_cndmask_b32_e32 v14, 0x7fc0, v16, vcc_lo
	v_or_b32_e32 v16, v5, v15
	v_mov_b32_e32 v5, 0x7f
	s_delay_alu instid0(VALU_DEP_3) | instskip(NEXT) | instid1(VALU_DEP_3)
	v_or3_b32 v15, 0, v14, v7
	v_or3_b32 v14, v16, 0, 0
	v_mov_b32_e32 v7, 0x7f
	global_store_b64 v[12:13], v[14:15], off
	v_cmpx_gt_u32_e32 0x43f00000, v11
	s_cbranch_execz .LBB81_63
; %bb.58:                               ;   in Loop: Header=BB81_57 Depth=1
	s_mov_b32 s13, exec_lo
                                        ; implicit-def: $vgpr7
	v_cmpx_lt_u32_e32 0x3c7fffff, v11
	s_xor_b32 s13, exec_lo, s13
; %bb.59:                               ;   in Loop: Header=BB81_57 Depth=1
	v_bfe_u32 v7, v6, 20, 1
	s_delay_alu instid0(VALU_DEP_1) | instskip(NEXT) | instid1(VALU_DEP_1)
	v_add3_u32 v7, v6, v7, 0x407ffff
	v_lshrrev_b32_e32 v7, 20, v7
; %bb.60:                               ;   in Loop: Header=BB81_57 Depth=1
	s_and_not1_saveexec_b32 s13, s13
; %bb.61:                               ;   in Loop: Header=BB81_57 Depth=1
	v_add_f32_e64 v7, 0x46800000, |v6|
; %bb.62:                               ;   in Loop: Header=BB81_57 Depth=1
	s_or_b32 exec_lo, exec_lo, s13
.LBB81_63:                              ;   in Loop: Header=BB81_57 Depth=1
	s_delay_alu instid0(SALU_CYCLE_1) | instskip(SKIP_2) | instid1(VALU_DEP_1)
	s_or_b32 exec_lo, exec_lo, s9
	v_dual_mul_f32 v9, v28, v9 :: v_dual_and_b32 v12, 0xffff0000, v2
	s_mov_b32 s9, exec_lo
	v_bfe_u32 v11, v9, 16, 1
	v_cmp_o_f32_e32 vcc_lo, v9, v9
	s_delay_alu instid0(VALU_DEP_2) | instskip(NEXT) | instid1(VALU_DEP_1)
	v_add3_u32 v11, v9, v11, 0x7fff
	v_and_b32_e32 v11, 0xffff0000, v11
	s_delay_alu instid0(VALU_DEP_1) | instskip(NEXT) | instid1(VALU_DEP_1)
	v_cndmask_b32_e32 v9, 0x7fc00000, v11, vcc_lo
	v_mul_f32_e32 v9, v9, v12
	s_delay_alu instid0(VALU_DEP_1) | instskip(SKIP_1) | instid1(VALU_DEP_2)
	v_bfe_u32 v11, v9, 16, 1
	v_cmp_o_f32_e32 vcc_lo, v9, v9
	v_add3_u32 v11, v9, v11, 0x7fff
	s_delay_alu instid0(VALU_DEP_1) | instskip(NEXT) | instid1(VALU_DEP_1)
	v_and_b32_e32 v11, 0xffff0000, v11
	v_cndmask_b32_e32 v9, 0x7fc00000, v11, vcc_lo
	s_delay_alu instid0(VALU_DEP_1) | instskip(NEXT) | instid1(VALU_DEP_1)
	v_div_scale_f32 v11, null, v4, v4, v9
	v_rcp_f32_e32 v12, v11
	s_waitcnt_depctr 0xfff
	v_fma_f32 v13, -v11, v12, 1.0
	s_delay_alu instid0(VALU_DEP_1) | instskip(SKIP_1) | instid1(VALU_DEP_1)
	v_fmac_f32_e32 v12, v13, v12
	v_div_scale_f32 v13, vcc_lo, v9, v4, v9
	v_mul_f32_e32 v14, v13, v12
	s_delay_alu instid0(VALU_DEP_1) | instskip(NEXT) | instid1(VALU_DEP_1)
	v_fma_f32 v15, -v11, v14, v13
	v_fmac_f32_e32 v14, v15, v12
	s_delay_alu instid0(VALU_DEP_1) | instskip(NEXT) | instid1(VALU_DEP_1)
	v_fma_f32 v11, -v11, v14, v13
	v_div_fmas_f32 v11, v11, v12, v14
	s_delay_alu instid0(VALU_DEP_1) | instskip(NEXT) | instid1(VALU_DEP_1)
	v_div_fixup_f32 v9, v11, v4, v9
	v_minmax_f32 v9, v9, s7, 0xc3e00000
	s_delay_alu instid0(VALU_DEP_1) | instskip(NEXT) | instid1(VALU_DEP_1)
	v_and_b32_e32 v11, 0x7fffffff, v9
	v_cmpx_gt_u32_e32 0x43f00000, v11
	s_cbranch_execz .LBB81_69
; %bb.64:                               ;   in Loop: Header=BB81_57 Depth=1
	s_mov_b32 s13, exec_lo
                                        ; implicit-def: $vgpr5
	v_cmpx_lt_u32_e32 0x3c7fffff, v11
	s_xor_b32 s13, exec_lo, s13
; %bb.65:                               ;   in Loop: Header=BB81_57 Depth=1
	v_bfe_u32 v5, v9, 20, 1
	s_delay_alu instid0(VALU_DEP_1) | instskip(NEXT) | instid1(VALU_DEP_1)
	v_add3_u32 v5, v9, v5, 0x407ffff
	v_lshrrev_b32_e32 v5, 20, v5
; %bb.66:                               ;   in Loop: Header=BB81_57 Depth=1
	s_and_not1_saveexec_b32 s13, s13
; %bb.67:                               ;   in Loop: Header=BB81_57 Depth=1
	v_add_f32_e64 v5, 0x46800000, |v9|
; %bb.68:                               ;   in Loop: Header=BB81_57 Depth=1
	s_or_b32 exec_lo, exec_lo, s13
.LBB81_69:                              ;   in Loop: Header=BB81_57 Depth=1
	s_delay_alu instid0(SALU_CYCLE_1) | instskip(SKIP_3) | instid1(VALU_DEP_2)
	s_or_b32 exec_lo, exec_lo, s9
	v_mul_f32_e32 v10, v28, v10
	v_alignbit_b32 v2, v3, v2, 16
	s_mov_b32 s9, exec_lo
	v_bfe_u32 v11, v10, 16, 1
	s_delay_alu instid0(VALU_DEP_2) | instskip(NEXT) | instid1(VALU_DEP_2)
	v_and_b32_e32 v2, 0xffff0000, v2
	v_add3_u32 v11, v10, v11, 0x7fff
	s_delay_alu instid0(VALU_DEP_1) | instskip(SKIP_1) | instid1(VALU_DEP_2)
	v_and_b32_e32 v11, 0xffff0000, v11
	v_cmp_o_f32_e32 vcc_lo, v10, v10
	v_cndmask_b32_e32 v10, 0x7fc00000, v11, vcc_lo
	s_delay_alu instid0(VALU_DEP_1) | instskip(NEXT) | instid1(VALU_DEP_1)
	v_mul_f32_e32 v2, v10, v2
	v_bfe_u32 v10, v2, 16, 1
	v_cmp_o_f32_e32 vcc_lo, v2, v2
	s_delay_alu instid0(VALU_DEP_2) | instskip(NEXT) | instid1(VALU_DEP_1)
	v_add3_u32 v10, v2, v10, 0x7fff
	v_and_b32_e32 v10, 0xffff0000, v10
	s_delay_alu instid0(VALU_DEP_1) | instskip(NEXT) | instid1(VALU_DEP_1)
	v_cndmask_b32_e32 v2, 0x7fc00000, v10, vcc_lo
	v_div_scale_f32 v10, null, v4, v4, v2
	v_div_scale_f32 v13, vcc_lo, v2, v4, v2
	s_delay_alu instid0(VALU_DEP_2) | instskip(SKIP_2) | instid1(VALU_DEP_1)
	v_rcp_f32_e32 v11, v10
	s_waitcnt_depctr 0xfff
	v_fma_f32 v12, -v10, v11, 1.0
	v_fmac_f32_e32 v11, v12, v11
	s_delay_alu instid0(VALU_DEP_1) | instskip(NEXT) | instid1(VALU_DEP_1)
	v_mul_f32_e32 v12, v13, v11
	v_fma_f32 v14, -v10, v12, v13
	s_delay_alu instid0(VALU_DEP_1) | instskip(NEXT) | instid1(VALU_DEP_1)
	v_fmac_f32_e32 v12, v14, v11
	v_fma_f32 v10, -v10, v12, v13
	s_delay_alu instid0(VALU_DEP_1) | instskip(NEXT) | instid1(VALU_DEP_1)
	v_div_fmas_f32 v10, v10, v11, v12
	v_div_fixup_f32 v2, v10, v4, v2
	v_mov_b32_e32 v10, 0x7f
	s_delay_alu instid0(VALU_DEP_2) | instskip(SKIP_1) | instid1(VALU_DEP_2)
	v_minmax_f32 v11, v2, s7, 0xc3e00000
	v_mov_b32_e32 v2, 0x7f
	v_and_b32_e32 v12, 0x7fffffff, v11
	s_delay_alu instid0(VALU_DEP_1)
	v_cmpx_gt_u32_e32 0x43f00000, v12
	s_cbranch_execz .LBB81_75
; %bb.70:                               ;   in Loop: Header=BB81_57 Depth=1
	s_mov_b32 s13, exec_lo
                                        ; implicit-def: $vgpr10
	v_cmpx_lt_u32_e32 0x3c7fffff, v12
	s_xor_b32 s13, exec_lo, s13
; %bb.71:                               ;   in Loop: Header=BB81_57 Depth=1
	v_bfe_u32 v10, v11, 20, 1
	s_delay_alu instid0(VALU_DEP_1) | instskip(NEXT) | instid1(VALU_DEP_1)
	v_add3_u32 v10, v11, v10, 0x407ffff
	v_lshrrev_b32_e32 v10, 20, v10
; %bb.72:                               ;   in Loop: Header=BB81_57 Depth=1
	s_and_not1_saveexec_b32 s13, s13
; %bb.73:                               ;   in Loop: Header=BB81_57 Depth=1
	v_add_f32_e64 v10, 0x46800000, |v11|
; %bb.74:                               ;   in Loop: Header=BB81_57 Depth=1
	s_or_b32 exec_lo, exec_lo, s13
.LBB81_75:                              ;   in Loop: Header=BB81_57 Depth=1
	s_delay_alu instid0(SALU_CYCLE_1) | instskip(SKIP_2) | instid1(VALU_DEP_1)
	s_or_b32 exec_lo, exec_lo, s9
	v_dual_mul_f32 v8, v28, v8 :: v_dual_and_b32 v3, 0xffff0000, v3
	s_mov_b32 s9, exec_lo
	v_bfe_u32 v12, v8, 16, 1
	v_cmp_o_f32_e32 vcc_lo, v8, v8
	s_delay_alu instid0(VALU_DEP_2) | instskip(NEXT) | instid1(VALU_DEP_1)
	v_add3_u32 v12, v8, v12, 0x7fff
	v_and_b32_e32 v12, 0xffff0000, v12
	s_delay_alu instid0(VALU_DEP_1) | instskip(NEXT) | instid1(VALU_DEP_1)
	v_cndmask_b32_e32 v8, 0x7fc00000, v12, vcc_lo
	v_mul_f32_e32 v3, v8, v3
	s_delay_alu instid0(VALU_DEP_1) | instskip(SKIP_1) | instid1(VALU_DEP_2)
	v_bfe_u32 v8, v3, 16, 1
	v_cmp_o_f32_e32 vcc_lo, v3, v3
	v_add3_u32 v8, v3, v8, 0x7fff
	s_delay_alu instid0(VALU_DEP_1) | instskip(NEXT) | instid1(VALU_DEP_1)
	v_and_b32_e32 v8, 0xffff0000, v8
	v_cndmask_b32_e32 v3, 0x7fc00000, v8, vcc_lo
	s_delay_alu instid0(VALU_DEP_1) | instskip(NEXT) | instid1(VALU_DEP_1)
	v_div_scale_f32 v8, null, v4, v4, v3
	v_rcp_f32_e32 v12, v8
	s_waitcnt_depctr 0xfff
	v_fma_f32 v13, -v8, v12, 1.0
	s_delay_alu instid0(VALU_DEP_1) | instskip(SKIP_1) | instid1(VALU_DEP_1)
	v_fmac_f32_e32 v12, v13, v12
	v_div_scale_f32 v13, vcc_lo, v3, v4, v3
	v_mul_f32_e32 v14, v13, v12
	s_delay_alu instid0(VALU_DEP_1) | instskip(NEXT) | instid1(VALU_DEP_1)
	v_fma_f32 v15, -v8, v14, v13
	v_fmac_f32_e32 v14, v15, v12
	s_delay_alu instid0(VALU_DEP_1) | instskip(NEXT) | instid1(VALU_DEP_1)
	v_fma_f32 v8, -v8, v14, v13
	v_div_fmas_f32 v8, v8, v12, v14
	s_delay_alu instid0(VALU_DEP_1) | instskip(NEXT) | instid1(VALU_DEP_1)
	v_div_fixup_f32 v3, v8, v4, v3
	v_minmax_f32 v3, v3, s7, 0xc3e00000
	s_delay_alu instid0(VALU_DEP_1) | instskip(NEXT) | instid1(VALU_DEP_1)
	v_and_b32_e32 v4, 0x7fffffff, v3
	v_cmpx_gt_u32_e32 0x43f00000, v4
	s_cbranch_execz .LBB81_81
; %bb.76:                               ;   in Loop: Header=BB81_57 Depth=1
	s_mov_b32 s13, exec_lo
                                        ; implicit-def: $vgpr2
	v_cmpx_lt_u32_e32 0x3c7fffff, v4
	s_xor_b32 s13, exec_lo, s13
; %bb.77:                               ;   in Loop: Header=BB81_57 Depth=1
	v_bfe_u32 v2, v3, 20, 1
	s_delay_alu instid0(VALU_DEP_1) | instskip(NEXT) | instid1(VALU_DEP_1)
	v_add3_u32 v2, v3, v2, 0x407ffff
	v_lshrrev_b32_e32 v2, 20, v2
; %bb.78:                               ;   in Loop: Header=BB81_57 Depth=1
	s_and_not1_saveexec_b32 s13, s13
; %bb.79:                               ;   in Loop: Header=BB81_57 Depth=1
	v_add_f32_e64 v2, 0x46800000, |v3|
; %bb.80:                               ;   in Loop: Header=BB81_57 Depth=1
	s_or_b32 exec_lo, exec_lo, s13
.LBB81_81:                              ;   in Loop: Header=BB81_57 Depth=1
	s_delay_alu instid0(SALU_CYCLE_1)
	s_or_b32 exec_lo, exec_lo, s9
	v_lshrrev_b32_e32 v4, 24, v11
	v_lshrrev_b32_e32 v8, 24, v9
	;; [unrolled: 1-line block ×3, first 2 shown]
	v_lshlrev_b32_e32 v2, 24, v2
	v_and_b32_e32 v9, 0x80000000, v3
	v_and_b32_e32 v4, 0x80, v4
	;; [unrolled: 1-line block ×4, first 2 shown]
	s_mov_b32 s13, -1
	s_mov_b32 s9, exec_lo
	v_and_or_b32 v4, 0xff, v10, v4
	v_and_or_b32 v5, 0xff, v5, v8
	;; [unrolled: 1-line block ×3, first 2 shown]
	s_delay_alu instid0(VALU_DEP_3) | instskip(SKIP_1) | instid1(VALU_DEP_4)
	v_lshlrev_b32_e32 v8, 16, v4
	v_lshlrev_b64 v[3:4], 2, v[0:1]
	v_lshlrev_b32_e32 v5, 8, v5
	s_delay_alu instid0(VALU_DEP_3) | instskip(SKIP_1) | instid1(VALU_DEP_4)
	v_or3_b32 v7, v9, v2, v8
	v_add_nc_u32_e32 v2, s34, v0
	v_add_co_u32 v3, vcc_lo, s2, v3
	v_add_co_ci_u32_e32 v4, vcc_lo, s3, v4, vcc_lo
	s_delay_alu instid0(VALU_DEP_4)
	v_or3_b32 v5, v7, v5, v6
	global_store_b32 v[3:4], v5, off
	v_cmpx_gt_u32_e64 s12, v2
	s_cbranch_execz .LBB81_56
; %bb.82:                               ;   in Loop: Header=BB81_57 Depth=1
	v_mov_b32_e32 v3, v1
	s_mov_b32 s13, exec_lo
	s_delay_alu instid0(VALU_DEP_1) | instskip(NEXT) | instid1(VALU_DEP_1)
	v_lshlrev_b64 v[4:5], 3, v[2:3]
	v_add_co_u32 v6, vcc_lo, s14, v4
	s_delay_alu instid0(VALU_DEP_2)
	v_add_co_ci_u32_e32 v7, vcc_lo, s30, v5, vcc_lo
	v_add_co_u32 v14, vcc_lo, s31, v4
	v_add_co_ci_u32_e32 v15, vcc_lo, s33, v5, vcc_lo
	v_add_co_u32 v4, vcc_lo, s10, v4
	v_add_co_ci_u32_e32 v5, vcc_lo, s11, v5, vcc_lo
	global_load_b64 v[7:8], v[6:7], off
	global_load_b64 v[9:10], v[14:15], off
	v_lshrrev_b32_e32 v6, 2, v2
	global_load_b64 v[4:5], v[4:5], off
	v_and_b32_e32 v6, 0xffffffc, v6
	global_load_b32 v6, v6, s[0:1]
	s_waitcnt vmcnt(3)
	v_lshlrev_b32_e32 v11, 16, v7
	s_waitcnt vmcnt(1)
	v_lshlrev_b32_e32 v16, 16, v4
	v_lshlrev_b32_e32 v12, 16, v9
	s_delay_alu instid0(VALU_DEP_1) | instskip(NEXT) | instid1(VALU_DEP_1)
	v_add_f32_e32 v13, v11, v12
	v_mul_f32_e32 v11, v28, v13
	s_delay_alu instid0(VALU_DEP_1) | instskip(NEXT) | instid1(VALU_DEP_1)
	v_bfe_u32 v12, v11, 16, 1
	v_add3_u32 v12, v11, v12, 0x7fff
	s_delay_alu instid0(VALU_DEP_1) | instskip(SKIP_1) | instid1(VALU_DEP_2)
	v_and_b32_e32 v12, 0xffff0000, v12
	v_cmp_o_f32_e32 vcc_lo, v11, v11
	v_cndmask_b32_e32 v11, 0x7fc00000, v12, vcc_lo
	s_delay_alu instid0(VALU_DEP_1) | instskip(NEXT) | instid1(VALU_DEP_1)
	v_mul_f32_e32 v11, v11, v16
	v_bfe_u32 v12, v11, 16, 1
	v_cmp_o_f32_e32 vcc_lo, v11, v11
	s_delay_alu instid0(VALU_DEP_2) | instskip(NEXT) | instid1(VALU_DEP_1)
	v_add3_u32 v12, v11, v12, 0x7fff
	v_and_b32_e32 v12, 0xffff0000, v12
	s_delay_alu instid0(VALU_DEP_1)
	v_cndmask_b32_e32 v16, 0x7fc00000, v12, vcc_lo
	v_and_b32_e32 v12, 0xffff0000, v7
	v_alignbit_b32 v7, v8, v7, 16
	v_and_b32_e32 v8, 0xffff0000, v8
	s_waitcnt vmcnt(0)
	v_div_scale_f32 v17, null, v6, v6, v16
	v_div_scale_f32 v19, vcc_lo, v16, v6, v16
	s_delay_alu instid0(VALU_DEP_2) | instskip(SKIP_2) | instid1(VALU_DEP_1)
	v_rcp_f32_e32 v18, v17
	s_waitcnt_depctr 0xfff
	v_fma_f32 v11, -v17, v18, 1.0
	v_fmac_f32_e32 v18, v11, v18
	v_alignbit_b32 v11, v10, v9, 16
	v_and_b32_e32 v9, 0xffff0000, v9
	v_and_b32_e32 v10, 0xffff0000, v10
	s_delay_alu instid0(VALU_DEP_4) | instskip(NEXT) | instid1(VALU_DEP_4)
	v_dual_mul_f32 v20, v19, v18 :: v_dual_and_b32 v7, 0xffff0000, v7
	v_and_b32_e32 v21, 0xffff0000, v11
	s_delay_alu instid0(VALU_DEP_4) | instskip(NEXT) | instid1(VALU_DEP_4)
	v_add_f32_e32 v11, v12, v9
	v_add_f32_e32 v10, v8, v10
	s_delay_alu instid0(VALU_DEP_4) | instskip(NEXT) | instid1(VALU_DEP_3)
	v_fma_f32 v9, -v17, v20, v19
	v_bfe_u32 v8, v11, 16, 1
	s_delay_alu instid0(VALU_DEP_2) | instskip(NEXT) | instid1(VALU_DEP_4)
	v_fmac_f32_e32 v20, v9, v18
	v_bfe_u32 v9, v10, 16, 1
	s_delay_alu instid0(VALU_DEP_3) | instskip(NEXT) | instid1(VALU_DEP_3)
	v_add3_u32 v8, v11, v8, 0x7fff
	v_fma_f32 v17, -v17, v20, v19
	s_delay_alu instid0(VALU_DEP_3) | instskip(NEXT) | instid1(VALU_DEP_3)
	v_add3_u32 v9, v10, v9, 0x7fff
	v_and_b32_e32 v8, 0xffff0000, v8
	s_delay_alu instid0(VALU_DEP_3)
	v_div_fmas_f32 v17, v17, v18, v20
	v_cmp_o_f32_e32 vcc_lo, v11, v11
	v_add_f32_e32 v12, v7, v21
	v_bfe_u32 v7, v13, 16, 1
	v_and_b32_e32 v9, 0xffff0000, v9
	v_div_fixup_f32 v16, v17, v6, v16
	v_cndmask_b32_e32 v17, 0x7fc00000, v8, vcc_lo
	v_bfe_u32 v21, v12, 16, 1
	v_add3_u32 v7, v13, v7, 0x7fff
	v_cmp_o_f32_e32 vcc_lo, v13, v13
	v_minmax_f32 v8, v16, s7, 0xc3e00000
	s_delay_alu instid0(VALU_DEP_4) | instskip(NEXT) | instid1(VALU_DEP_4)
	v_add3_u32 v19, v12, v21, 0x7fff
	v_lshrrev_b32_e32 v7, 16, v7
	s_delay_alu instid0(VALU_DEP_3) | instskip(NEXT) | instid1(VALU_DEP_3)
	v_and_b32_e32 v13, 0x7fffffff, v8
	v_lshrrev_b32_e32 v18, 16, v19
	s_delay_alu instid0(VALU_DEP_3)
	v_cndmask_b32_e32 v7, 0x7fc0, v7, vcc_lo
	v_cmp_o_f32_e32 vcc_lo, v10, v10
	v_cndmask_b32_e32 v9, 0x7fc00000, v9, vcc_lo
	v_cmp_o_f32_e32 vcc_lo, v12, v12
	v_cndmask_b32_e32 v16, 0x7fc0, v18, vcc_lo
	v_or_b32_e32 v18, v7, v17
	v_mov_b32_e32 v7, 0x7f
	s_delay_alu instid0(VALU_DEP_3) | instskip(NEXT) | instid1(VALU_DEP_3)
	v_or3_b32 v17, 0, v16, v9
	v_or3_b32 v16, v18, 0, 0
	v_mov_b32_e32 v9, 0x7f
	global_store_b64 v[14:15], v[16:17], off
	v_cmpx_gt_u32_e32 0x43f00000, v13
	s_cbranch_execz .LBB81_88
; %bb.83:                               ;   in Loop: Header=BB81_57 Depth=1
	s_mov_b32 s15, exec_lo
                                        ; implicit-def: $vgpr9
	v_cmpx_lt_u32_e32 0x3c7fffff, v13
	s_xor_b32 s15, exec_lo, s15
; %bb.84:                               ;   in Loop: Header=BB81_57 Depth=1
	v_bfe_u32 v9, v8, 20, 1
	s_delay_alu instid0(VALU_DEP_1) | instskip(NEXT) | instid1(VALU_DEP_1)
	v_add3_u32 v9, v8, v9, 0x407ffff
	v_lshrrev_b32_e32 v9, 20, v9
; %bb.85:                               ;   in Loop: Header=BB81_57 Depth=1
	s_and_not1_saveexec_b32 s15, s15
; %bb.86:                               ;   in Loop: Header=BB81_57 Depth=1
	v_add_f32_e64 v9, 0x46800000, |v8|
; %bb.87:                               ;   in Loop: Header=BB81_57 Depth=1
	s_or_b32 exec_lo, exec_lo, s15
.LBB81_88:                              ;   in Loop: Header=BB81_57 Depth=1
	s_delay_alu instid0(SALU_CYCLE_1) | instskip(SKIP_2) | instid1(VALU_DEP_1)
	s_or_b32 exec_lo, exec_lo, s13
	v_dual_mul_f32 v11, v28, v11 :: v_dual_and_b32 v14, 0xffff0000, v4
	s_mov_b32 s13, exec_lo
	v_bfe_u32 v13, v11, 16, 1
	v_cmp_o_f32_e32 vcc_lo, v11, v11
	s_delay_alu instid0(VALU_DEP_2) | instskip(NEXT) | instid1(VALU_DEP_1)
	v_add3_u32 v13, v11, v13, 0x7fff
	v_and_b32_e32 v13, 0xffff0000, v13
	s_delay_alu instid0(VALU_DEP_1) | instskip(NEXT) | instid1(VALU_DEP_1)
	v_cndmask_b32_e32 v11, 0x7fc00000, v13, vcc_lo
	v_mul_f32_e32 v11, v11, v14
	s_delay_alu instid0(VALU_DEP_1) | instskip(SKIP_1) | instid1(VALU_DEP_2)
	v_bfe_u32 v13, v11, 16, 1
	v_cmp_o_f32_e32 vcc_lo, v11, v11
	v_add3_u32 v13, v11, v13, 0x7fff
	s_delay_alu instid0(VALU_DEP_1) | instskip(NEXT) | instid1(VALU_DEP_1)
	v_and_b32_e32 v13, 0xffff0000, v13
	v_cndmask_b32_e32 v11, 0x7fc00000, v13, vcc_lo
	s_delay_alu instid0(VALU_DEP_1) | instskip(NEXT) | instid1(VALU_DEP_1)
	v_div_scale_f32 v13, null, v6, v6, v11
	v_rcp_f32_e32 v14, v13
	s_waitcnt_depctr 0xfff
	v_fma_f32 v15, -v13, v14, 1.0
	s_delay_alu instid0(VALU_DEP_1) | instskip(SKIP_1) | instid1(VALU_DEP_1)
	v_fmac_f32_e32 v14, v15, v14
	v_div_scale_f32 v15, vcc_lo, v11, v6, v11
	v_mul_f32_e32 v16, v15, v14
	s_delay_alu instid0(VALU_DEP_1) | instskip(NEXT) | instid1(VALU_DEP_1)
	v_fma_f32 v17, -v13, v16, v15
	v_fmac_f32_e32 v16, v17, v14
	s_delay_alu instid0(VALU_DEP_1) | instskip(NEXT) | instid1(VALU_DEP_1)
	v_fma_f32 v13, -v13, v16, v15
	v_div_fmas_f32 v13, v13, v14, v16
	s_delay_alu instid0(VALU_DEP_1) | instskip(NEXT) | instid1(VALU_DEP_1)
	v_div_fixup_f32 v11, v13, v6, v11
	v_minmax_f32 v11, v11, s7, 0xc3e00000
	s_delay_alu instid0(VALU_DEP_1) | instskip(NEXT) | instid1(VALU_DEP_1)
	v_and_b32_e32 v13, 0x7fffffff, v11
	v_cmpx_gt_u32_e32 0x43f00000, v13
	s_cbranch_execz .LBB81_94
; %bb.89:                               ;   in Loop: Header=BB81_57 Depth=1
	s_mov_b32 s15, exec_lo
                                        ; implicit-def: $vgpr7
	v_cmpx_lt_u32_e32 0x3c7fffff, v13
	s_xor_b32 s15, exec_lo, s15
; %bb.90:                               ;   in Loop: Header=BB81_57 Depth=1
	v_bfe_u32 v7, v11, 20, 1
	s_delay_alu instid0(VALU_DEP_1) | instskip(NEXT) | instid1(VALU_DEP_1)
	v_add3_u32 v7, v11, v7, 0x407ffff
	v_lshrrev_b32_e32 v7, 20, v7
; %bb.91:                               ;   in Loop: Header=BB81_57 Depth=1
	s_and_not1_saveexec_b32 s15, s15
; %bb.92:                               ;   in Loop: Header=BB81_57 Depth=1
	v_add_f32_e64 v7, 0x46800000, |v11|
; %bb.93:                               ;   in Loop: Header=BB81_57 Depth=1
	s_or_b32 exec_lo, exec_lo, s15
.LBB81_94:                              ;   in Loop: Header=BB81_57 Depth=1
	s_delay_alu instid0(SALU_CYCLE_1) | instskip(SKIP_3) | instid1(VALU_DEP_2)
	s_or_b32 exec_lo, exec_lo, s13
	v_mul_f32_e32 v12, v28, v12
	v_alignbit_b32 v4, v5, v4, 16
	s_mov_b32 s13, exec_lo
	v_bfe_u32 v13, v12, 16, 1
	s_delay_alu instid0(VALU_DEP_2) | instskip(NEXT) | instid1(VALU_DEP_2)
	v_and_b32_e32 v4, 0xffff0000, v4
	v_add3_u32 v13, v12, v13, 0x7fff
	s_delay_alu instid0(VALU_DEP_1) | instskip(SKIP_1) | instid1(VALU_DEP_2)
	v_and_b32_e32 v13, 0xffff0000, v13
	v_cmp_o_f32_e32 vcc_lo, v12, v12
	v_cndmask_b32_e32 v12, 0x7fc00000, v13, vcc_lo
	s_delay_alu instid0(VALU_DEP_1) | instskip(NEXT) | instid1(VALU_DEP_1)
	v_mul_f32_e32 v4, v12, v4
	v_bfe_u32 v12, v4, 16, 1
	v_cmp_o_f32_e32 vcc_lo, v4, v4
	s_delay_alu instid0(VALU_DEP_2) | instskip(NEXT) | instid1(VALU_DEP_1)
	v_add3_u32 v12, v4, v12, 0x7fff
	v_and_b32_e32 v12, 0xffff0000, v12
	s_delay_alu instid0(VALU_DEP_1) | instskip(NEXT) | instid1(VALU_DEP_1)
	v_cndmask_b32_e32 v4, 0x7fc00000, v12, vcc_lo
	v_div_scale_f32 v12, null, v6, v6, v4
	v_div_scale_f32 v15, vcc_lo, v4, v6, v4
	s_delay_alu instid0(VALU_DEP_2) | instskip(SKIP_2) | instid1(VALU_DEP_1)
	v_rcp_f32_e32 v13, v12
	s_waitcnt_depctr 0xfff
	v_fma_f32 v14, -v12, v13, 1.0
	v_fmac_f32_e32 v13, v14, v13
	s_delay_alu instid0(VALU_DEP_1) | instskip(NEXT) | instid1(VALU_DEP_1)
	v_mul_f32_e32 v14, v15, v13
	v_fma_f32 v16, -v12, v14, v15
	s_delay_alu instid0(VALU_DEP_1) | instskip(NEXT) | instid1(VALU_DEP_1)
	v_fmac_f32_e32 v14, v16, v13
	v_fma_f32 v12, -v12, v14, v15
	s_delay_alu instid0(VALU_DEP_1) | instskip(NEXT) | instid1(VALU_DEP_1)
	v_div_fmas_f32 v12, v12, v13, v14
	v_div_fixup_f32 v4, v12, v6, v4
	v_mov_b32_e32 v12, 0x7f
	s_delay_alu instid0(VALU_DEP_2) | instskip(SKIP_1) | instid1(VALU_DEP_2)
	v_minmax_f32 v13, v4, s7, 0xc3e00000
	v_mov_b32_e32 v4, 0x7f
	v_and_b32_e32 v14, 0x7fffffff, v13
	s_delay_alu instid0(VALU_DEP_1)
	v_cmpx_gt_u32_e32 0x43f00000, v14
	s_cbranch_execz .LBB81_100
; %bb.95:                               ;   in Loop: Header=BB81_57 Depth=1
	s_mov_b32 s15, exec_lo
                                        ; implicit-def: $vgpr12
	v_cmpx_lt_u32_e32 0x3c7fffff, v14
	s_xor_b32 s15, exec_lo, s15
; %bb.96:                               ;   in Loop: Header=BB81_57 Depth=1
	v_bfe_u32 v12, v13, 20, 1
	s_delay_alu instid0(VALU_DEP_1) | instskip(NEXT) | instid1(VALU_DEP_1)
	v_add3_u32 v12, v13, v12, 0x407ffff
	v_lshrrev_b32_e32 v12, 20, v12
; %bb.97:                               ;   in Loop: Header=BB81_57 Depth=1
	s_and_not1_saveexec_b32 s15, s15
; %bb.98:                               ;   in Loop: Header=BB81_57 Depth=1
	v_add_f32_e64 v12, 0x46800000, |v13|
; %bb.99:                               ;   in Loop: Header=BB81_57 Depth=1
	s_or_b32 exec_lo, exec_lo, s15
.LBB81_100:                             ;   in Loop: Header=BB81_57 Depth=1
	s_delay_alu instid0(SALU_CYCLE_1) | instskip(SKIP_2) | instid1(VALU_DEP_1)
	s_or_b32 exec_lo, exec_lo, s13
	v_dual_mul_f32 v10, v28, v10 :: v_dual_and_b32 v5, 0xffff0000, v5
	s_mov_b32 s13, exec_lo
	v_bfe_u32 v14, v10, 16, 1
	v_cmp_o_f32_e32 vcc_lo, v10, v10
	s_delay_alu instid0(VALU_DEP_2) | instskip(NEXT) | instid1(VALU_DEP_1)
	v_add3_u32 v14, v10, v14, 0x7fff
	v_and_b32_e32 v14, 0xffff0000, v14
	s_delay_alu instid0(VALU_DEP_1) | instskip(NEXT) | instid1(VALU_DEP_1)
	v_cndmask_b32_e32 v10, 0x7fc00000, v14, vcc_lo
	v_mul_f32_e32 v5, v10, v5
	s_delay_alu instid0(VALU_DEP_1) | instskip(SKIP_1) | instid1(VALU_DEP_2)
	v_bfe_u32 v10, v5, 16, 1
	v_cmp_o_f32_e32 vcc_lo, v5, v5
	v_add3_u32 v10, v5, v10, 0x7fff
	s_delay_alu instid0(VALU_DEP_1) | instskip(NEXT) | instid1(VALU_DEP_1)
	v_and_b32_e32 v10, 0xffff0000, v10
	v_cndmask_b32_e32 v5, 0x7fc00000, v10, vcc_lo
	s_delay_alu instid0(VALU_DEP_1) | instskip(NEXT) | instid1(VALU_DEP_1)
	v_div_scale_f32 v10, null, v6, v6, v5
	v_rcp_f32_e32 v14, v10
	s_waitcnt_depctr 0xfff
	v_fma_f32 v15, -v10, v14, 1.0
	s_delay_alu instid0(VALU_DEP_1) | instskip(SKIP_1) | instid1(VALU_DEP_1)
	v_fmac_f32_e32 v14, v15, v14
	v_div_scale_f32 v15, vcc_lo, v5, v6, v5
	v_mul_f32_e32 v16, v15, v14
	s_delay_alu instid0(VALU_DEP_1) | instskip(NEXT) | instid1(VALU_DEP_1)
	v_fma_f32 v17, -v10, v16, v15
	v_fmac_f32_e32 v16, v17, v14
	s_delay_alu instid0(VALU_DEP_1) | instskip(NEXT) | instid1(VALU_DEP_1)
	v_fma_f32 v10, -v10, v16, v15
	v_div_fmas_f32 v10, v10, v14, v16
	s_delay_alu instid0(VALU_DEP_1) | instskip(NEXT) | instid1(VALU_DEP_1)
	v_div_fixup_f32 v5, v10, v6, v5
	v_minmax_f32 v5, v5, s7, 0xc3e00000
	s_delay_alu instid0(VALU_DEP_1) | instskip(NEXT) | instid1(VALU_DEP_1)
	v_and_b32_e32 v6, 0x7fffffff, v5
	v_cmpx_gt_u32_e32 0x43f00000, v6
	s_cbranch_execz .LBB81_106
; %bb.101:                              ;   in Loop: Header=BB81_57 Depth=1
	s_mov_b32 s15, exec_lo
                                        ; implicit-def: $vgpr4
	v_cmpx_lt_u32_e32 0x3c7fffff, v6
	s_xor_b32 s15, exec_lo, s15
; %bb.102:                              ;   in Loop: Header=BB81_57 Depth=1
	v_bfe_u32 v4, v5, 20, 1
	s_delay_alu instid0(VALU_DEP_1) | instskip(NEXT) | instid1(VALU_DEP_1)
	v_add3_u32 v4, v5, v4, 0x407ffff
	v_lshrrev_b32_e32 v4, 20, v4
; %bb.103:                              ;   in Loop: Header=BB81_57 Depth=1
	s_and_not1_saveexec_b32 s15, s15
; %bb.104:                              ;   in Loop: Header=BB81_57 Depth=1
	v_add_f32_e64 v4, 0x46800000, |v5|
; %bb.105:                              ;   in Loop: Header=BB81_57 Depth=1
	s_or_b32 exec_lo, exec_lo, s15
.LBB81_106:                             ;   in Loop: Header=BB81_57 Depth=1
	s_delay_alu instid0(SALU_CYCLE_1)
	s_or_b32 exec_lo, exec_lo, s13
	v_lshrrev_b32_e32 v6, 24, v13
	v_lshrrev_b32_e32 v10, 24, v11
	;; [unrolled: 1-line block ×3, first 2 shown]
	v_lshlrev_b32_e32 v11, 24, v4
	v_and_b32_e32 v9, 0xff, v9
	v_and_b32_e32 v6, 0x80, v6
	;; [unrolled: 1-line block ×3, first 2 shown]
	s_mov_b32 s15, -1
	s_mov_b32 s13, exec_lo
	v_and_or_b32 v8, 0x80, v8, v9
	v_and_or_b32 v6, 0xff, v12, v6
	v_and_b32_e32 v12, 0x80000000, v5
	v_and_or_b32 v7, 0xff, v7, v10
	v_lshlrev_b64 v[4:5], 2, v[2:3]
	v_add_nc_u32_e32 v3, s5, v0
	v_lshlrev_b32_e32 v6, 16, v6
	s_delay_alu instid0(VALU_DEP_4) | instskip(NEXT) | instid1(VALU_DEP_4)
	v_lshlrev_b32_e32 v7, 8, v7
	v_add_co_u32 v4, vcc_lo, s2, v4
	s_delay_alu instid0(VALU_DEP_3) | instskip(SKIP_1) | instid1(VALU_DEP_2)
	v_or3_b32 v6, v12, v11, v6
	v_add_co_ci_u32_e32 v5, vcc_lo, s3, v5, vcc_lo
	v_or3_b32 v6, v6, v7, v8
	global_store_b32 v[4:5], v6, off
	v_cmpx_gt_u32_e64 s12, v3
	s_cbranch_execz .LBB81_55
; %bb.107:                              ;   in Loop: Header=BB81_57 Depth=1
	v_mov_b32_e32 v4, v1
	s_mov_b32 s15, exec_lo
	s_delay_alu instid0(VALU_DEP_1) | instskip(NEXT) | instid1(VALU_DEP_1)
	v_lshlrev_b64 v[5:6], 3, v[3:4]
	v_add_co_u32 v7, vcc_lo, s14, v5
	s_delay_alu instid0(VALU_DEP_2)
	v_add_co_ci_u32_e32 v8, vcc_lo, s30, v6, vcc_lo
	v_add_co_u32 v15, vcc_lo, s31, v5
	v_add_co_ci_u32_e32 v16, vcc_lo, s33, v6, vcc_lo
	v_add_co_u32 v5, vcc_lo, s10, v5
	v_add_co_ci_u32_e32 v6, vcc_lo, s11, v6, vcc_lo
	global_load_b64 v[8:9], v[7:8], off
	global_load_b64 v[10:11], v[15:16], off
	v_lshrrev_b32_e32 v7, 2, v3
	global_load_b64 v[5:6], v[5:6], off
	v_and_b32_e32 v7, 0xffffffc, v7
	global_load_b32 v7, v7, s[0:1]
	s_waitcnt vmcnt(3)
	v_lshlrev_b32_e32 v12, 16, v8
	s_waitcnt vmcnt(1)
	v_lshlrev_b32_e32 v17, 16, v5
	v_lshlrev_b32_e32 v13, 16, v10
	s_delay_alu instid0(VALU_DEP_1) | instskip(NEXT) | instid1(VALU_DEP_1)
	v_add_f32_e32 v14, v12, v13
	v_mul_f32_e32 v12, v28, v14
	s_delay_alu instid0(VALU_DEP_1) | instskip(NEXT) | instid1(VALU_DEP_1)
	v_bfe_u32 v13, v12, 16, 1
	v_add3_u32 v13, v12, v13, 0x7fff
	s_delay_alu instid0(VALU_DEP_1) | instskip(SKIP_1) | instid1(VALU_DEP_2)
	v_and_b32_e32 v13, 0xffff0000, v13
	v_cmp_o_f32_e32 vcc_lo, v12, v12
	v_cndmask_b32_e32 v12, 0x7fc00000, v13, vcc_lo
	s_delay_alu instid0(VALU_DEP_1) | instskip(NEXT) | instid1(VALU_DEP_1)
	v_mul_f32_e32 v12, v12, v17
	v_bfe_u32 v13, v12, 16, 1
	v_cmp_o_f32_e32 vcc_lo, v12, v12
	s_delay_alu instid0(VALU_DEP_2) | instskip(NEXT) | instid1(VALU_DEP_1)
	v_add3_u32 v13, v12, v13, 0x7fff
	v_and_b32_e32 v13, 0xffff0000, v13
	s_delay_alu instid0(VALU_DEP_1)
	v_cndmask_b32_e32 v17, 0x7fc00000, v13, vcc_lo
	v_and_b32_e32 v13, 0xffff0000, v8
	v_alignbit_b32 v8, v9, v8, 16
	v_and_b32_e32 v9, 0xffff0000, v9
	s_waitcnt vmcnt(0)
	v_div_scale_f32 v18, null, v7, v7, v17
	v_div_scale_f32 v20, vcc_lo, v17, v7, v17
	s_delay_alu instid0(VALU_DEP_2) | instskip(SKIP_2) | instid1(VALU_DEP_1)
	v_rcp_f32_e32 v19, v18
	s_waitcnt_depctr 0xfff
	v_fma_f32 v12, -v18, v19, 1.0
	v_fmac_f32_e32 v19, v12, v19
	v_alignbit_b32 v12, v11, v10, 16
	v_and_b32_e32 v10, 0xffff0000, v10
	v_and_b32_e32 v11, 0xffff0000, v11
	s_delay_alu instid0(VALU_DEP_4) | instskip(NEXT) | instid1(VALU_DEP_4)
	v_dual_mul_f32 v21, v20, v19 :: v_dual_and_b32 v8, 0xffff0000, v8
	v_and_b32_e32 v22, 0xffff0000, v12
	s_delay_alu instid0(VALU_DEP_4) | instskip(NEXT) | instid1(VALU_DEP_4)
	v_add_f32_e32 v12, v13, v10
	v_add_f32_e32 v11, v9, v11
	s_delay_alu instid0(VALU_DEP_4) | instskip(NEXT) | instid1(VALU_DEP_3)
	v_fma_f32 v10, -v18, v21, v20
	v_bfe_u32 v9, v12, 16, 1
	s_delay_alu instid0(VALU_DEP_2) | instskip(NEXT) | instid1(VALU_DEP_4)
	v_fmac_f32_e32 v21, v10, v19
	v_bfe_u32 v10, v11, 16, 1
	s_delay_alu instid0(VALU_DEP_3) | instskip(NEXT) | instid1(VALU_DEP_3)
	v_add3_u32 v9, v12, v9, 0x7fff
	v_fma_f32 v18, -v18, v21, v20
	s_delay_alu instid0(VALU_DEP_3) | instskip(NEXT) | instid1(VALU_DEP_3)
	v_add3_u32 v10, v11, v10, 0x7fff
	v_and_b32_e32 v9, 0xffff0000, v9
	s_delay_alu instid0(VALU_DEP_3)
	v_div_fmas_f32 v18, v18, v19, v21
	v_cmp_o_f32_e32 vcc_lo, v12, v12
	v_add_f32_e32 v13, v8, v22
	v_bfe_u32 v8, v14, 16, 1
	v_and_b32_e32 v10, 0xffff0000, v10
	v_div_fixup_f32 v17, v18, v7, v17
	v_cndmask_b32_e32 v18, 0x7fc00000, v9, vcc_lo
	v_bfe_u32 v22, v13, 16, 1
	v_add3_u32 v8, v14, v8, 0x7fff
	v_cmp_o_f32_e32 vcc_lo, v14, v14
	v_minmax_f32 v9, v17, s7, 0xc3e00000
	s_delay_alu instid0(VALU_DEP_4) | instskip(NEXT) | instid1(VALU_DEP_4)
	v_add3_u32 v20, v13, v22, 0x7fff
	v_lshrrev_b32_e32 v8, 16, v8
	s_delay_alu instid0(VALU_DEP_3) | instskip(NEXT) | instid1(VALU_DEP_3)
	v_and_b32_e32 v14, 0x7fffffff, v9
	v_lshrrev_b32_e32 v19, 16, v20
	s_delay_alu instid0(VALU_DEP_3)
	v_cndmask_b32_e32 v8, 0x7fc0, v8, vcc_lo
	v_cmp_o_f32_e32 vcc_lo, v11, v11
	v_cndmask_b32_e32 v10, 0x7fc00000, v10, vcc_lo
	v_cmp_o_f32_e32 vcc_lo, v13, v13
	v_cndmask_b32_e32 v17, 0x7fc0, v19, vcc_lo
	v_or_b32_e32 v19, v8, v18
	v_mov_b32_e32 v8, 0x7f
	s_delay_alu instid0(VALU_DEP_3) | instskip(NEXT) | instid1(VALU_DEP_3)
	v_or3_b32 v18, 0, v17, v10
	v_or3_b32 v17, v19, 0, 0
	v_mov_b32_e32 v10, 0x7f
	global_store_b64 v[15:16], v[17:18], off
	v_cmpx_gt_u32_e32 0x43f00000, v14
	s_cbranch_execz .LBB81_113
; %bb.108:                              ;   in Loop: Header=BB81_57 Depth=1
	s_mov_b32 s16, exec_lo
                                        ; implicit-def: $vgpr10
	v_cmpx_lt_u32_e32 0x3c7fffff, v14
	s_xor_b32 s16, exec_lo, s16
; %bb.109:                              ;   in Loop: Header=BB81_57 Depth=1
	v_bfe_u32 v10, v9, 20, 1
	s_delay_alu instid0(VALU_DEP_1) | instskip(NEXT) | instid1(VALU_DEP_1)
	v_add3_u32 v10, v9, v10, 0x407ffff
	v_lshrrev_b32_e32 v10, 20, v10
; %bb.110:                              ;   in Loop: Header=BB81_57 Depth=1
	s_and_not1_saveexec_b32 s16, s16
; %bb.111:                              ;   in Loop: Header=BB81_57 Depth=1
	v_add_f32_e64 v10, 0x46800000, |v9|
; %bb.112:                              ;   in Loop: Header=BB81_57 Depth=1
	s_or_b32 exec_lo, exec_lo, s16
.LBB81_113:                             ;   in Loop: Header=BB81_57 Depth=1
	s_delay_alu instid0(SALU_CYCLE_1) | instskip(SKIP_2) | instid1(VALU_DEP_1)
	s_or_b32 exec_lo, exec_lo, s15
	v_dual_mul_f32 v12, v28, v12 :: v_dual_and_b32 v15, 0xffff0000, v5
	s_mov_b32 s15, exec_lo
	v_bfe_u32 v14, v12, 16, 1
	v_cmp_o_f32_e32 vcc_lo, v12, v12
	s_delay_alu instid0(VALU_DEP_2) | instskip(NEXT) | instid1(VALU_DEP_1)
	v_add3_u32 v14, v12, v14, 0x7fff
	v_and_b32_e32 v14, 0xffff0000, v14
	s_delay_alu instid0(VALU_DEP_1) | instskip(NEXT) | instid1(VALU_DEP_1)
	v_cndmask_b32_e32 v12, 0x7fc00000, v14, vcc_lo
	v_mul_f32_e32 v12, v12, v15
	s_delay_alu instid0(VALU_DEP_1) | instskip(SKIP_1) | instid1(VALU_DEP_2)
	v_bfe_u32 v14, v12, 16, 1
	v_cmp_o_f32_e32 vcc_lo, v12, v12
	v_add3_u32 v14, v12, v14, 0x7fff
	s_delay_alu instid0(VALU_DEP_1) | instskip(NEXT) | instid1(VALU_DEP_1)
	v_and_b32_e32 v14, 0xffff0000, v14
	v_cndmask_b32_e32 v12, 0x7fc00000, v14, vcc_lo
	s_delay_alu instid0(VALU_DEP_1) | instskip(NEXT) | instid1(VALU_DEP_1)
	v_div_scale_f32 v14, null, v7, v7, v12
	v_rcp_f32_e32 v15, v14
	s_waitcnt_depctr 0xfff
	v_fma_f32 v16, -v14, v15, 1.0
	s_delay_alu instid0(VALU_DEP_1) | instskip(SKIP_1) | instid1(VALU_DEP_1)
	v_fmac_f32_e32 v15, v16, v15
	v_div_scale_f32 v16, vcc_lo, v12, v7, v12
	v_mul_f32_e32 v17, v16, v15
	s_delay_alu instid0(VALU_DEP_1) | instskip(NEXT) | instid1(VALU_DEP_1)
	v_fma_f32 v18, -v14, v17, v16
	v_fmac_f32_e32 v17, v18, v15
	s_delay_alu instid0(VALU_DEP_1) | instskip(NEXT) | instid1(VALU_DEP_1)
	v_fma_f32 v14, -v14, v17, v16
	v_div_fmas_f32 v14, v14, v15, v17
	s_delay_alu instid0(VALU_DEP_1) | instskip(NEXT) | instid1(VALU_DEP_1)
	v_div_fixup_f32 v12, v14, v7, v12
	v_minmax_f32 v12, v12, s7, 0xc3e00000
	s_delay_alu instid0(VALU_DEP_1) | instskip(NEXT) | instid1(VALU_DEP_1)
	v_and_b32_e32 v14, 0x7fffffff, v12
	v_cmpx_gt_u32_e32 0x43f00000, v14
	s_cbranch_execz .LBB81_119
; %bb.114:                              ;   in Loop: Header=BB81_57 Depth=1
	s_mov_b32 s16, exec_lo
                                        ; implicit-def: $vgpr8
	v_cmpx_lt_u32_e32 0x3c7fffff, v14
	s_xor_b32 s16, exec_lo, s16
; %bb.115:                              ;   in Loop: Header=BB81_57 Depth=1
	v_bfe_u32 v8, v12, 20, 1
	s_delay_alu instid0(VALU_DEP_1) | instskip(NEXT) | instid1(VALU_DEP_1)
	v_add3_u32 v8, v12, v8, 0x407ffff
	v_lshrrev_b32_e32 v8, 20, v8
; %bb.116:                              ;   in Loop: Header=BB81_57 Depth=1
	s_and_not1_saveexec_b32 s16, s16
; %bb.117:                              ;   in Loop: Header=BB81_57 Depth=1
	v_add_f32_e64 v8, 0x46800000, |v12|
; %bb.118:                              ;   in Loop: Header=BB81_57 Depth=1
	s_or_b32 exec_lo, exec_lo, s16
.LBB81_119:                             ;   in Loop: Header=BB81_57 Depth=1
	s_delay_alu instid0(SALU_CYCLE_1) | instskip(SKIP_3) | instid1(VALU_DEP_2)
	s_or_b32 exec_lo, exec_lo, s15
	v_mul_f32_e32 v13, v28, v13
	v_alignbit_b32 v5, v6, v5, 16
	s_mov_b32 s15, exec_lo
	v_bfe_u32 v14, v13, 16, 1
	s_delay_alu instid0(VALU_DEP_2) | instskip(NEXT) | instid1(VALU_DEP_2)
	v_and_b32_e32 v5, 0xffff0000, v5
	v_add3_u32 v14, v13, v14, 0x7fff
	s_delay_alu instid0(VALU_DEP_1) | instskip(SKIP_1) | instid1(VALU_DEP_2)
	v_and_b32_e32 v14, 0xffff0000, v14
	v_cmp_o_f32_e32 vcc_lo, v13, v13
	v_cndmask_b32_e32 v13, 0x7fc00000, v14, vcc_lo
	s_delay_alu instid0(VALU_DEP_1) | instskip(NEXT) | instid1(VALU_DEP_1)
	v_mul_f32_e32 v5, v13, v5
	v_bfe_u32 v13, v5, 16, 1
	v_cmp_o_f32_e32 vcc_lo, v5, v5
	s_delay_alu instid0(VALU_DEP_2) | instskip(NEXT) | instid1(VALU_DEP_1)
	v_add3_u32 v13, v5, v13, 0x7fff
	v_and_b32_e32 v13, 0xffff0000, v13
	s_delay_alu instid0(VALU_DEP_1) | instskip(NEXT) | instid1(VALU_DEP_1)
	v_cndmask_b32_e32 v5, 0x7fc00000, v13, vcc_lo
	v_div_scale_f32 v13, null, v7, v7, v5
	v_div_scale_f32 v16, vcc_lo, v5, v7, v5
	s_delay_alu instid0(VALU_DEP_2) | instskip(SKIP_2) | instid1(VALU_DEP_1)
	v_rcp_f32_e32 v14, v13
	s_waitcnt_depctr 0xfff
	v_fma_f32 v15, -v13, v14, 1.0
	v_fmac_f32_e32 v14, v15, v14
	s_delay_alu instid0(VALU_DEP_1) | instskip(NEXT) | instid1(VALU_DEP_1)
	v_mul_f32_e32 v15, v16, v14
	v_fma_f32 v17, -v13, v15, v16
	s_delay_alu instid0(VALU_DEP_1) | instskip(NEXT) | instid1(VALU_DEP_1)
	v_fmac_f32_e32 v15, v17, v14
	v_fma_f32 v13, -v13, v15, v16
	s_delay_alu instid0(VALU_DEP_1) | instskip(NEXT) | instid1(VALU_DEP_1)
	v_div_fmas_f32 v13, v13, v14, v15
	v_div_fixup_f32 v5, v13, v7, v5
	v_mov_b32_e32 v13, 0x7f
	s_delay_alu instid0(VALU_DEP_2) | instskip(SKIP_1) | instid1(VALU_DEP_2)
	v_minmax_f32 v14, v5, s7, 0xc3e00000
	v_mov_b32_e32 v5, 0x7f
	v_and_b32_e32 v15, 0x7fffffff, v14
	s_delay_alu instid0(VALU_DEP_1)
	v_cmpx_gt_u32_e32 0x43f00000, v15
	s_cbranch_execz .LBB81_125
; %bb.120:                              ;   in Loop: Header=BB81_57 Depth=1
	s_mov_b32 s16, exec_lo
                                        ; implicit-def: $vgpr13
	v_cmpx_lt_u32_e32 0x3c7fffff, v15
	s_xor_b32 s16, exec_lo, s16
; %bb.121:                              ;   in Loop: Header=BB81_57 Depth=1
	v_bfe_u32 v13, v14, 20, 1
	s_delay_alu instid0(VALU_DEP_1) | instskip(NEXT) | instid1(VALU_DEP_1)
	v_add3_u32 v13, v14, v13, 0x407ffff
	v_lshrrev_b32_e32 v13, 20, v13
; %bb.122:                              ;   in Loop: Header=BB81_57 Depth=1
	s_and_not1_saveexec_b32 s16, s16
; %bb.123:                              ;   in Loop: Header=BB81_57 Depth=1
	v_add_f32_e64 v13, 0x46800000, |v14|
; %bb.124:                              ;   in Loop: Header=BB81_57 Depth=1
	s_or_b32 exec_lo, exec_lo, s16
.LBB81_125:                             ;   in Loop: Header=BB81_57 Depth=1
	s_delay_alu instid0(SALU_CYCLE_1) | instskip(SKIP_2) | instid1(VALU_DEP_1)
	s_or_b32 exec_lo, exec_lo, s15
	v_dual_mul_f32 v11, v28, v11 :: v_dual_and_b32 v6, 0xffff0000, v6
	s_mov_b32 s15, exec_lo
	v_bfe_u32 v15, v11, 16, 1
	v_cmp_o_f32_e32 vcc_lo, v11, v11
	s_delay_alu instid0(VALU_DEP_2) | instskip(NEXT) | instid1(VALU_DEP_1)
	v_add3_u32 v15, v11, v15, 0x7fff
	v_and_b32_e32 v15, 0xffff0000, v15
	s_delay_alu instid0(VALU_DEP_1) | instskip(NEXT) | instid1(VALU_DEP_1)
	v_cndmask_b32_e32 v11, 0x7fc00000, v15, vcc_lo
	v_mul_f32_e32 v6, v11, v6
	s_delay_alu instid0(VALU_DEP_1) | instskip(SKIP_1) | instid1(VALU_DEP_2)
	v_bfe_u32 v11, v6, 16, 1
	v_cmp_o_f32_e32 vcc_lo, v6, v6
	v_add3_u32 v11, v6, v11, 0x7fff
	s_delay_alu instid0(VALU_DEP_1) | instskip(NEXT) | instid1(VALU_DEP_1)
	v_and_b32_e32 v11, 0xffff0000, v11
	v_cndmask_b32_e32 v6, 0x7fc00000, v11, vcc_lo
	s_delay_alu instid0(VALU_DEP_1) | instskip(NEXT) | instid1(VALU_DEP_1)
	v_div_scale_f32 v11, null, v7, v7, v6
	v_rcp_f32_e32 v15, v11
	s_waitcnt_depctr 0xfff
	v_fma_f32 v16, -v11, v15, 1.0
	s_delay_alu instid0(VALU_DEP_1) | instskip(SKIP_1) | instid1(VALU_DEP_1)
	v_fmac_f32_e32 v15, v16, v15
	v_div_scale_f32 v16, vcc_lo, v6, v7, v6
	v_mul_f32_e32 v17, v16, v15
	s_delay_alu instid0(VALU_DEP_1) | instskip(NEXT) | instid1(VALU_DEP_1)
	v_fma_f32 v18, -v11, v17, v16
	v_fmac_f32_e32 v17, v18, v15
	s_delay_alu instid0(VALU_DEP_1) | instskip(NEXT) | instid1(VALU_DEP_1)
	v_fma_f32 v11, -v11, v17, v16
	v_div_fmas_f32 v11, v11, v15, v17
	s_delay_alu instid0(VALU_DEP_1) | instskip(NEXT) | instid1(VALU_DEP_1)
	v_div_fixup_f32 v6, v11, v7, v6
	v_minmax_f32 v6, v6, s7, 0xc3e00000
	s_delay_alu instid0(VALU_DEP_1) | instskip(NEXT) | instid1(VALU_DEP_1)
	v_and_b32_e32 v7, 0x7fffffff, v6
	v_cmpx_gt_u32_e32 0x43f00000, v7
	s_cbranch_execz .LBB81_131
; %bb.126:                              ;   in Loop: Header=BB81_57 Depth=1
	s_mov_b32 s16, exec_lo
                                        ; implicit-def: $vgpr5
	v_cmpx_lt_u32_e32 0x3c7fffff, v7
	s_xor_b32 s16, exec_lo, s16
; %bb.127:                              ;   in Loop: Header=BB81_57 Depth=1
	v_bfe_u32 v5, v6, 20, 1
	s_delay_alu instid0(VALU_DEP_1) | instskip(NEXT) | instid1(VALU_DEP_1)
	v_add3_u32 v5, v6, v5, 0x407ffff
	v_lshrrev_b32_e32 v5, 20, v5
; %bb.128:                              ;   in Loop: Header=BB81_57 Depth=1
	s_and_not1_saveexec_b32 s16, s16
; %bb.129:                              ;   in Loop: Header=BB81_57 Depth=1
	v_add_f32_e64 v5, 0x46800000, |v6|
; %bb.130:                              ;   in Loop: Header=BB81_57 Depth=1
	s_or_b32 exec_lo, exec_lo, s16
.LBB81_131:                             ;   in Loop: Header=BB81_57 Depth=1
	s_delay_alu instid0(SALU_CYCLE_1)
	s_or_b32 exec_lo, exec_lo, s15
	v_lshrrev_b32_e32 v7, 24, v14
	v_lshrrev_b32_e32 v11, 24, v12
	;; [unrolled: 1-line block ×3, first 2 shown]
	v_lshlrev_b32_e32 v5, 24, v5
	v_and_b32_e32 v6, 0x80000000, v6
	v_and_b32_e32 v7, 0x80, v7
	;; [unrolled: 1-line block ×4, first 2 shown]
	v_lshlrev_b64 v[3:4], 2, v[3:4]
	v_add_nc_u32_e32 v0, s4, v0
	v_and_or_b32 v7, 0xff, v13, v7
	v_and_or_b32 v8, 0xff, v8, v11
	;; [unrolled: 1-line block ×3, first 2 shown]
	s_mov_b32 s16, -1
	v_add_co_u32 v3, vcc_lo, s2, v3
	v_lshlrev_b32_e32 v7, 16, v7
	v_lshlrev_b32_e32 v8, 8, v8
	v_add_co_ci_u32_e32 v4, vcc_lo, s3, v4, vcc_lo
	s_mov_b32 s15, exec_lo
	s_delay_alu instid0(VALU_DEP_3) | instskip(NEXT) | instid1(VALU_DEP_1)
	v_or3_b32 v5, v6, v5, v7
	v_or3_b32 v5, v5, v8, v9
	global_store_b32 v[3:4], v5, off
	v_cmpx_gt_u32_e64 s12, v0
	s_cbranch_execz .LBB81_54
; %bb.132:                              ;   in Loop: Header=BB81_57 Depth=1
	v_lshlrev_b64 v[3:4], 3, v[0:1]
	s_mov_b32 s16, exec_lo
	s_delay_alu instid0(VALU_DEP_1) | instskip(NEXT) | instid1(VALU_DEP_2)
	v_add_co_u32 v5, vcc_lo, s14, v3
	v_add_co_ci_u32_e32 v6, vcc_lo, s30, v4, vcc_lo
	v_add_co_u32 v13, vcc_lo, s31, v3
	v_add_co_ci_u32_e32 v14, vcc_lo, s33, v4, vcc_lo
	;; [unrolled: 2-line block ×3, first 2 shown]
	global_load_b64 v[6:7], v[5:6], off
	global_load_b64 v[8:9], v[13:14], off
	v_lshrrev_b32_e32 v5, 2, v0
	global_load_b64 v[3:4], v[3:4], off
	s_waitcnt vmcnt(2)
	v_lshlrev_b32_e32 v10, 16, v6
	s_waitcnt vmcnt(0)
	v_lshlrev_b32_e32 v15, 16, v3
	v_lshlrev_b32_e32 v11, 16, v8
	s_delay_alu instid0(VALU_DEP_1) | instskip(SKIP_2) | instid1(VALU_DEP_1)
	v_dual_add_f32 v12, v10, v11 :: v_dual_and_b32 v5, 0xffffffc, v5
	global_load_b32 v5, v5, s[0:1]
	v_mul_f32_e32 v10, v28, v12
	v_bfe_u32 v11, v10, 16, 1
	s_delay_alu instid0(VALU_DEP_1) | instskip(NEXT) | instid1(VALU_DEP_1)
	v_add3_u32 v11, v10, v11, 0x7fff
	v_and_b32_e32 v11, 0xffff0000, v11
	v_cmp_o_f32_e32 vcc_lo, v10, v10
	s_delay_alu instid0(VALU_DEP_2) | instskip(NEXT) | instid1(VALU_DEP_1)
	v_cndmask_b32_e32 v10, 0x7fc00000, v11, vcc_lo
	v_mul_f32_e32 v10, v10, v15
	s_delay_alu instid0(VALU_DEP_1) | instskip(SKIP_1) | instid1(VALU_DEP_2)
	v_bfe_u32 v11, v10, 16, 1
	v_cmp_o_f32_e32 vcc_lo, v10, v10
	v_add3_u32 v11, v10, v11, 0x7fff
	s_delay_alu instid0(VALU_DEP_1) | instskip(NEXT) | instid1(VALU_DEP_1)
	v_and_b32_e32 v11, 0xffff0000, v11
	v_cndmask_b32_e32 v15, 0x7fc00000, v11, vcc_lo
	v_and_b32_e32 v11, 0xffff0000, v6
	v_alignbit_b32 v6, v7, v6, 16
	v_and_b32_e32 v7, 0xffff0000, v7
	s_waitcnt vmcnt(0)
	v_div_scale_f32 v16, null, v5, v5, v15
	v_div_scale_f32 v18, vcc_lo, v15, v5, v15
	s_delay_alu instid0(VALU_DEP_2) | instskip(SKIP_2) | instid1(VALU_DEP_1)
	v_rcp_f32_e32 v17, v16
	s_waitcnt_depctr 0xfff
	v_fma_f32 v10, -v16, v17, 1.0
	v_fmac_f32_e32 v17, v10, v17
	v_alignbit_b32 v10, v9, v8, 16
	v_and_b32_e32 v8, 0xffff0000, v8
	v_and_b32_e32 v9, 0xffff0000, v9
	s_delay_alu instid0(VALU_DEP_4) | instskip(NEXT) | instid1(VALU_DEP_4)
	v_dual_mul_f32 v19, v18, v17 :: v_dual_and_b32 v6, 0xffff0000, v6
	v_and_b32_e32 v20, 0xffff0000, v10
	s_delay_alu instid0(VALU_DEP_4) | instskip(NEXT) | instid1(VALU_DEP_4)
	v_add_f32_e32 v10, v11, v8
	v_add_f32_e32 v9, v7, v9
	s_delay_alu instid0(VALU_DEP_4) | instskip(NEXT) | instid1(VALU_DEP_3)
	v_fma_f32 v8, -v16, v19, v18
	v_bfe_u32 v7, v10, 16, 1
	s_delay_alu instid0(VALU_DEP_2) | instskip(NEXT) | instid1(VALU_DEP_4)
	v_fmac_f32_e32 v19, v8, v17
	v_bfe_u32 v8, v9, 16, 1
	s_delay_alu instid0(VALU_DEP_3) | instskip(NEXT) | instid1(VALU_DEP_3)
	v_add3_u32 v7, v10, v7, 0x7fff
	v_fma_f32 v16, -v16, v19, v18
	s_delay_alu instid0(VALU_DEP_3) | instskip(NEXT) | instid1(VALU_DEP_3)
	v_add3_u32 v8, v9, v8, 0x7fff
	v_and_b32_e32 v7, 0xffff0000, v7
	s_delay_alu instid0(VALU_DEP_3)
	v_div_fmas_f32 v16, v16, v17, v19
	v_cmp_o_f32_e32 vcc_lo, v10, v10
	v_add_f32_e32 v11, v6, v20
	v_bfe_u32 v6, v12, 16, 1
	v_and_b32_e32 v8, 0xffff0000, v8
	v_div_fixup_f32 v15, v16, v5, v15
	v_cndmask_b32_e32 v16, 0x7fc00000, v7, vcc_lo
	v_bfe_u32 v20, v11, 16, 1
	v_add3_u32 v6, v12, v6, 0x7fff
	v_cmp_o_f32_e32 vcc_lo, v12, v12
	v_minmax_f32 v7, v15, s7, 0xc3e00000
	s_delay_alu instid0(VALU_DEP_4) | instskip(NEXT) | instid1(VALU_DEP_4)
	v_add3_u32 v18, v11, v20, 0x7fff
	v_lshrrev_b32_e32 v6, 16, v6
	s_delay_alu instid0(VALU_DEP_3) | instskip(NEXT) | instid1(VALU_DEP_3)
	v_and_b32_e32 v12, 0x7fffffff, v7
	v_lshrrev_b32_e32 v17, 16, v18
	s_delay_alu instid0(VALU_DEP_3)
	v_cndmask_b32_e32 v6, 0x7fc0, v6, vcc_lo
	v_cmp_o_f32_e32 vcc_lo, v9, v9
	v_cndmask_b32_e32 v8, 0x7fc00000, v8, vcc_lo
	v_cmp_o_f32_e32 vcc_lo, v11, v11
	v_cndmask_b32_e32 v15, 0x7fc0, v17, vcc_lo
	v_or_b32_e32 v17, v6, v16
	v_mov_b32_e32 v6, 0x7f
	s_delay_alu instid0(VALU_DEP_3) | instskip(NEXT) | instid1(VALU_DEP_3)
	v_or3_b32 v16, 0, v15, v8
	v_or3_b32 v15, v17, 0, 0
	v_mov_b32_e32 v8, 0x7f
	global_store_b64 v[13:14], v[15:16], off
	v_cmpx_gt_u32_e32 0x43f00000, v12
	s_cbranch_execz .LBB81_138
; %bb.133:                              ;   in Loop: Header=BB81_57 Depth=1
	s_mov_b32 s17, exec_lo
                                        ; implicit-def: $vgpr8
	v_cmpx_lt_u32_e32 0x3c7fffff, v12
	s_xor_b32 s17, exec_lo, s17
; %bb.134:                              ;   in Loop: Header=BB81_57 Depth=1
	v_bfe_u32 v8, v7, 20, 1
	s_delay_alu instid0(VALU_DEP_1) | instskip(NEXT) | instid1(VALU_DEP_1)
	v_add3_u32 v8, v7, v8, 0x407ffff
	v_lshrrev_b32_e32 v8, 20, v8
; %bb.135:                              ;   in Loop: Header=BB81_57 Depth=1
	s_and_not1_saveexec_b32 s17, s17
; %bb.136:                              ;   in Loop: Header=BB81_57 Depth=1
	v_add_f32_e64 v8, 0x46800000, |v7|
; %bb.137:                              ;   in Loop: Header=BB81_57 Depth=1
	s_or_b32 exec_lo, exec_lo, s17
.LBB81_138:                             ;   in Loop: Header=BB81_57 Depth=1
	s_delay_alu instid0(SALU_CYCLE_1) | instskip(SKIP_2) | instid1(VALU_DEP_1)
	s_or_b32 exec_lo, exec_lo, s16
	v_dual_mul_f32 v10, v28, v10 :: v_dual_and_b32 v13, 0xffff0000, v3
	s_mov_b32 s16, exec_lo
	v_bfe_u32 v12, v10, 16, 1
	v_cmp_o_f32_e32 vcc_lo, v10, v10
	s_delay_alu instid0(VALU_DEP_2) | instskip(NEXT) | instid1(VALU_DEP_1)
	v_add3_u32 v12, v10, v12, 0x7fff
	v_and_b32_e32 v12, 0xffff0000, v12
	s_delay_alu instid0(VALU_DEP_1) | instskip(NEXT) | instid1(VALU_DEP_1)
	v_cndmask_b32_e32 v10, 0x7fc00000, v12, vcc_lo
	v_mul_f32_e32 v10, v10, v13
	s_delay_alu instid0(VALU_DEP_1) | instskip(SKIP_1) | instid1(VALU_DEP_2)
	v_bfe_u32 v12, v10, 16, 1
	v_cmp_o_f32_e32 vcc_lo, v10, v10
	v_add3_u32 v12, v10, v12, 0x7fff
	s_delay_alu instid0(VALU_DEP_1) | instskip(NEXT) | instid1(VALU_DEP_1)
	v_and_b32_e32 v12, 0xffff0000, v12
	v_cndmask_b32_e32 v10, 0x7fc00000, v12, vcc_lo
	s_delay_alu instid0(VALU_DEP_1) | instskip(NEXT) | instid1(VALU_DEP_1)
	v_div_scale_f32 v12, null, v5, v5, v10
	v_rcp_f32_e32 v13, v12
	s_waitcnt_depctr 0xfff
	v_fma_f32 v14, -v12, v13, 1.0
	s_delay_alu instid0(VALU_DEP_1) | instskip(SKIP_1) | instid1(VALU_DEP_1)
	v_fmac_f32_e32 v13, v14, v13
	v_div_scale_f32 v14, vcc_lo, v10, v5, v10
	v_mul_f32_e32 v15, v14, v13
	s_delay_alu instid0(VALU_DEP_1) | instskip(NEXT) | instid1(VALU_DEP_1)
	v_fma_f32 v16, -v12, v15, v14
	v_fmac_f32_e32 v15, v16, v13
	s_delay_alu instid0(VALU_DEP_1) | instskip(NEXT) | instid1(VALU_DEP_1)
	v_fma_f32 v12, -v12, v15, v14
	v_div_fmas_f32 v12, v12, v13, v15
	s_delay_alu instid0(VALU_DEP_1) | instskip(NEXT) | instid1(VALU_DEP_1)
	v_div_fixup_f32 v10, v12, v5, v10
	v_minmax_f32 v10, v10, s7, 0xc3e00000
	s_delay_alu instid0(VALU_DEP_1) | instskip(NEXT) | instid1(VALU_DEP_1)
	v_and_b32_e32 v12, 0x7fffffff, v10
	v_cmpx_gt_u32_e32 0x43f00000, v12
	s_cbranch_execz .LBB81_144
; %bb.139:                              ;   in Loop: Header=BB81_57 Depth=1
	s_mov_b32 s17, exec_lo
                                        ; implicit-def: $vgpr6
	v_cmpx_lt_u32_e32 0x3c7fffff, v12
	s_xor_b32 s17, exec_lo, s17
; %bb.140:                              ;   in Loop: Header=BB81_57 Depth=1
	v_bfe_u32 v6, v10, 20, 1
	s_delay_alu instid0(VALU_DEP_1) | instskip(NEXT) | instid1(VALU_DEP_1)
	v_add3_u32 v6, v10, v6, 0x407ffff
	v_lshrrev_b32_e32 v6, 20, v6
; %bb.141:                              ;   in Loop: Header=BB81_57 Depth=1
	s_and_not1_saveexec_b32 s17, s17
; %bb.142:                              ;   in Loop: Header=BB81_57 Depth=1
	v_add_f32_e64 v6, 0x46800000, |v10|
; %bb.143:                              ;   in Loop: Header=BB81_57 Depth=1
	s_or_b32 exec_lo, exec_lo, s17
.LBB81_144:                             ;   in Loop: Header=BB81_57 Depth=1
	s_delay_alu instid0(SALU_CYCLE_1) | instskip(SKIP_3) | instid1(VALU_DEP_2)
	s_or_b32 exec_lo, exec_lo, s16
	v_mul_f32_e32 v11, v28, v11
	v_alignbit_b32 v3, v4, v3, 16
	s_mov_b32 s16, exec_lo
	v_bfe_u32 v12, v11, 16, 1
	s_delay_alu instid0(VALU_DEP_2) | instskip(NEXT) | instid1(VALU_DEP_2)
	v_and_b32_e32 v3, 0xffff0000, v3
	v_add3_u32 v12, v11, v12, 0x7fff
	s_delay_alu instid0(VALU_DEP_1) | instskip(SKIP_1) | instid1(VALU_DEP_2)
	v_and_b32_e32 v12, 0xffff0000, v12
	v_cmp_o_f32_e32 vcc_lo, v11, v11
	v_cndmask_b32_e32 v11, 0x7fc00000, v12, vcc_lo
	s_delay_alu instid0(VALU_DEP_1) | instskip(NEXT) | instid1(VALU_DEP_1)
	v_mul_f32_e32 v3, v11, v3
	v_bfe_u32 v11, v3, 16, 1
	v_cmp_o_f32_e32 vcc_lo, v3, v3
	s_delay_alu instid0(VALU_DEP_2) | instskip(NEXT) | instid1(VALU_DEP_1)
	v_add3_u32 v11, v3, v11, 0x7fff
	v_and_b32_e32 v11, 0xffff0000, v11
	s_delay_alu instid0(VALU_DEP_1) | instskip(NEXT) | instid1(VALU_DEP_1)
	v_cndmask_b32_e32 v3, 0x7fc00000, v11, vcc_lo
	v_div_scale_f32 v11, null, v5, v5, v3
	v_div_scale_f32 v14, vcc_lo, v3, v5, v3
	s_delay_alu instid0(VALU_DEP_2) | instskip(SKIP_2) | instid1(VALU_DEP_1)
	v_rcp_f32_e32 v12, v11
	s_waitcnt_depctr 0xfff
	v_fma_f32 v13, -v11, v12, 1.0
	v_fmac_f32_e32 v12, v13, v12
	s_delay_alu instid0(VALU_DEP_1) | instskip(NEXT) | instid1(VALU_DEP_1)
	v_mul_f32_e32 v13, v14, v12
	v_fma_f32 v15, -v11, v13, v14
	s_delay_alu instid0(VALU_DEP_1) | instskip(NEXT) | instid1(VALU_DEP_1)
	v_fmac_f32_e32 v13, v15, v12
	v_fma_f32 v11, -v11, v13, v14
	s_delay_alu instid0(VALU_DEP_1) | instskip(NEXT) | instid1(VALU_DEP_1)
	v_div_fmas_f32 v11, v11, v12, v13
	v_div_fixup_f32 v3, v11, v5, v3
	v_mov_b32_e32 v11, 0x7f
	s_delay_alu instid0(VALU_DEP_2) | instskip(SKIP_1) | instid1(VALU_DEP_2)
	v_minmax_f32 v12, v3, s7, 0xc3e00000
	v_mov_b32_e32 v3, 0x7f
	v_and_b32_e32 v13, 0x7fffffff, v12
	s_delay_alu instid0(VALU_DEP_1)
	v_cmpx_gt_u32_e32 0x43f00000, v13
	s_cbranch_execz .LBB81_150
; %bb.145:                              ;   in Loop: Header=BB81_57 Depth=1
	s_mov_b32 s17, exec_lo
                                        ; implicit-def: $vgpr11
	v_cmpx_lt_u32_e32 0x3c7fffff, v13
	s_xor_b32 s17, exec_lo, s17
; %bb.146:                              ;   in Loop: Header=BB81_57 Depth=1
	v_bfe_u32 v11, v12, 20, 1
	s_delay_alu instid0(VALU_DEP_1) | instskip(NEXT) | instid1(VALU_DEP_1)
	v_add3_u32 v11, v12, v11, 0x407ffff
	v_lshrrev_b32_e32 v11, 20, v11
; %bb.147:                              ;   in Loop: Header=BB81_57 Depth=1
	s_and_not1_saveexec_b32 s17, s17
; %bb.148:                              ;   in Loop: Header=BB81_57 Depth=1
	v_add_f32_e64 v11, 0x46800000, |v12|
; %bb.149:                              ;   in Loop: Header=BB81_57 Depth=1
	s_or_b32 exec_lo, exec_lo, s17
.LBB81_150:                             ;   in Loop: Header=BB81_57 Depth=1
	s_delay_alu instid0(SALU_CYCLE_1) | instskip(SKIP_2) | instid1(VALU_DEP_1)
	s_or_b32 exec_lo, exec_lo, s16
	v_dual_mul_f32 v9, v28, v9 :: v_dual_and_b32 v4, 0xffff0000, v4
	s_mov_b32 s16, exec_lo
	v_bfe_u32 v13, v9, 16, 1
	v_cmp_o_f32_e32 vcc_lo, v9, v9
	s_delay_alu instid0(VALU_DEP_2) | instskip(NEXT) | instid1(VALU_DEP_1)
	v_add3_u32 v13, v9, v13, 0x7fff
	v_and_b32_e32 v13, 0xffff0000, v13
	s_delay_alu instid0(VALU_DEP_1) | instskip(NEXT) | instid1(VALU_DEP_1)
	v_cndmask_b32_e32 v9, 0x7fc00000, v13, vcc_lo
	v_mul_f32_e32 v4, v9, v4
	s_delay_alu instid0(VALU_DEP_1) | instskip(SKIP_1) | instid1(VALU_DEP_2)
	v_bfe_u32 v9, v4, 16, 1
	v_cmp_o_f32_e32 vcc_lo, v4, v4
	v_add3_u32 v9, v4, v9, 0x7fff
	s_delay_alu instid0(VALU_DEP_1) | instskip(NEXT) | instid1(VALU_DEP_1)
	v_and_b32_e32 v9, 0xffff0000, v9
	v_cndmask_b32_e32 v4, 0x7fc00000, v9, vcc_lo
	s_delay_alu instid0(VALU_DEP_1) | instskip(NEXT) | instid1(VALU_DEP_1)
	v_div_scale_f32 v9, null, v5, v5, v4
	v_rcp_f32_e32 v13, v9
	s_waitcnt_depctr 0xfff
	v_fma_f32 v14, -v9, v13, 1.0
	s_delay_alu instid0(VALU_DEP_1) | instskip(SKIP_1) | instid1(VALU_DEP_1)
	v_fmac_f32_e32 v13, v14, v13
	v_div_scale_f32 v14, vcc_lo, v4, v5, v4
	v_mul_f32_e32 v15, v14, v13
	s_delay_alu instid0(VALU_DEP_1) | instskip(NEXT) | instid1(VALU_DEP_1)
	v_fma_f32 v16, -v9, v15, v14
	v_fmac_f32_e32 v15, v16, v13
	s_delay_alu instid0(VALU_DEP_1) | instskip(NEXT) | instid1(VALU_DEP_1)
	v_fma_f32 v9, -v9, v15, v14
	v_div_fmas_f32 v9, v9, v13, v15
	s_delay_alu instid0(VALU_DEP_1) | instskip(NEXT) | instid1(VALU_DEP_1)
	v_div_fixup_f32 v4, v9, v5, v4
	v_minmax_f32 v4, v4, s7, 0xc3e00000
	s_delay_alu instid0(VALU_DEP_1) | instskip(NEXT) | instid1(VALU_DEP_1)
	v_and_b32_e32 v5, 0x7fffffff, v4
	v_cmpx_gt_u32_e32 0x43f00000, v5
	s_cbranch_execz .LBB81_53
; %bb.151:                              ;   in Loop: Header=BB81_57 Depth=1
	s_mov_b32 s17, exec_lo
                                        ; implicit-def: $vgpr3
	v_cmpx_lt_u32_e32 0x3c7fffff, v5
	s_xor_b32 s17, exec_lo, s17
; %bb.152:                              ;   in Loop: Header=BB81_57 Depth=1
	v_bfe_u32 v3, v4, 20, 1
	s_delay_alu instid0(VALU_DEP_1) | instskip(NEXT) | instid1(VALU_DEP_1)
	v_add3_u32 v3, v4, v3, 0x407ffff
	v_lshrrev_b32_e32 v3, 20, v3
; %bb.153:                              ;   in Loop: Header=BB81_57 Depth=1
	s_and_not1_saveexec_b32 s17, s17
	s_cbranch_execz .LBB81_52
; %bb.154:                              ;   in Loop: Header=BB81_57 Depth=1
	v_add_f32_e64 v3, 0x46800000, |v4|
	s_branch .LBB81_52
.LBB81_155:
	s_nop 0
	s_sendmsg sendmsg(MSG_DEALLOC_VGPRS)
	s_endpgm
	.section	.rodata,"a",@progbits
	.p2align	6, 0x0
	.amdhsa_kernel _ZN4vllm31rms_norm_per_block_quant_kernelIN3c108BFloat16ENS1_13Float8_e4m3fnELb1ELb0ELi64EEEvPT0_PfPKT_S9_PKffiiPS7_l
		.amdhsa_group_segment_fixed_size 4228
		.amdhsa_private_segment_fixed_size 0
		.amdhsa_kernarg_size 328
		.amdhsa_user_sgpr_count 15
		.amdhsa_user_sgpr_dispatch_ptr 0
		.amdhsa_user_sgpr_queue_ptr 0
		.amdhsa_user_sgpr_kernarg_segment_ptr 1
		.amdhsa_user_sgpr_dispatch_id 0
		.amdhsa_user_sgpr_private_segment_size 0
		.amdhsa_wavefront_size32 1
		.amdhsa_uses_dynamic_stack 0
		.amdhsa_enable_private_segment 0
		.amdhsa_system_sgpr_workgroup_id_x 1
		.amdhsa_system_sgpr_workgroup_id_y 0
		.amdhsa_system_sgpr_workgroup_id_z 0
		.amdhsa_system_sgpr_workgroup_info 0
		.amdhsa_system_vgpr_workitem_id 0
		.amdhsa_next_free_vgpr 54
		.amdhsa_next_free_sgpr 41
		.amdhsa_reserve_vcc 1
		.amdhsa_float_round_mode_32 0
		.amdhsa_float_round_mode_16_64 0
		.amdhsa_float_denorm_mode_32 3
		.amdhsa_float_denorm_mode_16_64 3
		.amdhsa_dx10_clamp 1
		.amdhsa_ieee_mode 1
		.amdhsa_fp16_overflow 0
		.amdhsa_workgroup_processor_mode 1
		.amdhsa_memory_ordered 1
		.amdhsa_forward_progress 0
		.amdhsa_shared_vgpr_count 0
		.amdhsa_exception_fp_ieee_invalid_op 0
		.amdhsa_exception_fp_denorm_src 0
		.amdhsa_exception_fp_ieee_div_zero 0
		.amdhsa_exception_fp_ieee_overflow 0
		.amdhsa_exception_fp_ieee_underflow 0
		.amdhsa_exception_fp_ieee_inexact 0
		.amdhsa_exception_int_div_zero 0
	.end_amdhsa_kernel
	.section	.text._ZN4vllm31rms_norm_per_block_quant_kernelIN3c108BFloat16ENS1_13Float8_e4m3fnELb1ELb0ELi64EEEvPT0_PfPKT_S9_PKffiiPS7_l,"axG",@progbits,_ZN4vllm31rms_norm_per_block_quant_kernelIN3c108BFloat16ENS1_13Float8_e4m3fnELb1ELb0ELi64EEEvPT0_PfPKT_S9_PKffiiPS7_l,comdat
.Lfunc_end81:
	.size	_ZN4vllm31rms_norm_per_block_quant_kernelIN3c108BFloat16ENS1_13Float8_e4m3fnELb1ELb0ELi64EEEvPT0_PfPKT_S9_PKffiiPS7_l, .Lfunc_end81-_ZN4vllm31rms_norm_per_block_quant_kernelIN3c108BFloat16ENS1_13Float8_e4m3fnELb1ELb0ELi64EEEvPT0_PfPKT_S9_PKffiiPS7_l
                                        ; -- End function
	.section	.AMDGPU.csdata,"",@progbits
; Kernel info:
; codeLenInByte = 14648
; NumSgprs: 43
; NumVgprs: 54
; ScratchSize: 0
; MemoryBound: 0
; FloatMode: 240
; IeeeMode: 1
; LDSByteSize: 4228 bytes/workgroup (compile time only)
; SGPRBlocks: 5
; VGPRBlocks: 6
; NumSGPRsForWavesPerEU: 43
; NumVGPRsForWavesPerEU: 54
; Occupancy: 16
; WaveLimiterHint : 0
; COMPUTE_PGM_RSRC2:SCRATCH_EN: 0
; COMPUTE_PGM_RSRC2:USER_SGPR: 15
; COMPUTE_PGM_RSRC2:TRAP_HANDLER: 0
; COMPUTE_PGM_RSRC2:TGID_X_EN: 1
; COMPUTE_PGM_RSRC2:TGID_Y_EN: 0
; COMPUTE_PGM_RSRC2:TGID_Z_EN: 0
; COMPUTE_PGM_RSRC2:TIDIG_COMP_CNT: 0
	.section	.text._ZN4vllm31rms_norm_per_block_quant_kernelIN3c108BFloat16ENS1_15Float8_e4m3fnuzELb1ELb0ELi64EEEvPT0_PfPKT_S9_PKffiiPS7_l,"axG",@progbits,_ZN4vllm31rms_norm_per_block_quant_kernelIN3c108BFloat16ENS1_15Float8_e4m3fnuzELb1ELb0ELi64EEEvPT0_PfPKT_S9_PKffiiPS7_l,comdat
	.protected	_ZN4vllm31rms_norm_per_block_quant_kernelIN3c108BFloat16ENS1_15Float8_e4m3fnuzELb1ELb0ELi64EEEvPT0_PfPKT_S9_PKffiiPS7_l ; -- Begin function _ZN4vllm31rms_norm_per_block_quant_kernelIN3c108BFloat16ENS1_15Float8_e4m3fnuzELb1ELb0ELi64EEEvPT0_PfPKT_S9_PKffiiPS7_l
	.globl	_ZN4vllm31rms_norm_per_block_quant_kernelIN3c108BFloat16ENS1_15Float8_e4m3fnuzELb1ELb0ELi64EEEvPT0_PfPKT_S9_PKffiiPS7_l
	.p2align	8
	.type	_ZN4vllm31rms_norm_per_block_quant_kernelIN3c108BFloat16ENS1_15Float8_e4m3fnuzELb1ELb0ELi64EEEvPT0_PfPKT_S9_PKffiiPS7_l,@function
_ZN4vllm31rms_norm_per_block_quant_kernelIN3c108BFloat16ENS1_15Float8_e4m3fnuzELb1ELb0ELi64EEEvPT0_PfPKT_S9_PKffiiPS7_l: ; @_ZN4vllm31rms_norm_per_block_quant_kernelIN3c108BFloat16ENS1_15Float8_e4m3fnuzELb1ELb0ELi64EEEvPT0_PfPKT_S9_PKffiiPS7_l
; %bb.0:
	s_clause 0x2
	s_load_b128 s[16:19], s[0:1], 0x28
	s_load_b256 s[4:11], s[0:1], 0x0
	s_load_b64 s[26:27], s[0:1], 0x38
	v_mov_b32_e32 v6, 0
	s_waitcnt lgkmcnt(0)
	s_ashr_i32 s3, s18, 31
	s_mul_hi_u32 s12, s18, s15
	s_mul_i32 s3, s3, s15
	s_ashr_i32 s21, s17, 31
	s_mul_i32 s2, s18, s15
	s_add_i32 s3, s12, s3
	s_mul_hi_u32 s13, s17, s15
	s_mul_i32 s12, s21, s15
	s_lshl_b64 s[24:25], s[2:3], 1
	s_mul_i32 s18, s17, s15
	s_add_i32 s19, s13, s12
	s_add_u32 s14, s8, s24
	s_addc_u32 s30, s9, s25
	s_lshl_b64 s[28:29], s[18:19], 1
	s_mov_b32 s3, 0
	s_add_u32 s31, s26, s28
	s_addc_u32 s33, s27, s29
	s_ashr_i32 s12, s17, 2
	s_add_u32 s22, s0, 0x48
	v_cmp_gt_u32_e64 s2, s12, v0
	s_mov_b32 s20, s17
	s_addc_u32 s23, s1, 0
	s_delay_alu instid0(VALU_DEP_1)
	s_and_saveexec_b32 s13, s2
	s_cbranch_execz .LBB82_10
; %bb.1:
	s_load_b32 s17, s[22:23], 0x0
	v_dual_mov_b32 v2, 0 :: v_dual_mov_b32 v1, v0
	s_waitcnt lgkmcnt(0)
	s_cmp_lt_u32 s15, s17
	s_cselect_b32 s17, 12, 18
	s_delay_alu instid0(SALU_CYCLE_1)
	s_add_u32 s34, s22, s17
	s_addc_u32 s35, s23, 0
                                        ; implicit-def: $sgpr17
	global_load_u16 v7, v2, s[34:35]
	s_waitcnt vmcnt(0)
	v_lshlrev_b32_e32 v9, 1, v7
	v_mul_lo_u32 v8, v7, 3
	v_add_nc_u32_e32 v10, v7, v7
	v_mov_b32_e32 v6, v2
	s_branch .LBB82_5
.LBB82_2:                               ;   in Loop: Header=BB82_5 Depth=1
	s_or_b32 exec_lo, exec_lo, s36
	s_delay_alu instid0(SALU_CYCLE_1)
	s_or_not1_b32 s36, s37, exec_lo
.LBB82_3:                               ;   in Loop: Header=BB82_5 Depth=1
	s_or_b32 exec_lo, exec_lo, s35
	s_delay_alu instid0(SALU_CYCLE_1) | instskip(SKIP_1) | instid1(SALU_CYCLE_1)
	s_and_not1_b32 s17, s17, exec_lo
	s_and_b32 s35, s36, exec_lo
	s_or_b32 s17, s17, s35
.LBB82_4:                               ;   in Loop: Header=BB82_5 Depth=1
	s_or_b32 exec_lo, exec_lo, s34
	s_delay_alu instid0(SALU_CYCLE_1) | instskip(NEXT) | instid1(SALU_CYCLE_1)
	s_and_b32 s34, exec_lo, s17
	s_or_b32 s3, s34, s3
	s_delay_alu instid0(SALU_CYCLE_1)
	s_and_not1_b32 exec_lo, exec_lo, s3
	s_cbranch_execz .LBB82_9
.LBB82_5:                               ; =>This Inner Loop Header: Depth=1
	v_lshlrev_b64 v[3:4], 3, v[1:2]
	s_or_b32 s17, s17, exec_lo
	s_mov_b32 s34, exec_lo
	s_delay_alu instid0(VALU_DEP_1) | instskip(NEXT) | instid1(VALU_DEP_2)
	v_add_co_u32 v11, vcc_lo, s14, v3
	v_add_co_ci_u32_e32 v12, vcc_lo, s30, v4, vcc_lo
	v_add_co_u32 v3, vcc_lo, s31, v3
	v_add_co_ci_u32_e32 v4, vcc_lo, s33, v4, vcc_lo
	global_load_b64 v[11:12], v[11:12], off
	global_load_b64 v[3:4], v[3:4], off
	s_waitcnt vmcnt(1)
	v_lshlrev_b32_e32 v5, 16, v11
	s_waitcnt vmcnt(0)
	v_lshlrev_b32_e32 v13, 16, v3
	v_and_b32_e32 v14, 0xffff0000, v11
	v_alignbit_b32 v11, v12, v11, 16
	s_delay_alu instid0(VALU_DEP_3) | instskip(NEXT) | instid1(VALU_DEP_1)
	v_add_f32_e32 v5, v5, v13
	v_dual_fmac_f32 v6, v5, v5 :: v_dual_and_b32 v5, 0xffff0000, v12
	v_and_b32_e32 v15, 0xffff0000, v3
	v_alignbit_b32 v3, v4, v3, 16
	s_delay_alu instid0(VALU_DEP_1) | instskip(SKIP_1) | instid1(VALU_DEP_1)
	v_and_b32_e32 v3, 0xffff0000, v3
	v_and_b32_e32 v4, 0xffff0000, v4
	v_dual_add_f32 v4, v5, v4 :: v_dual_and_b32 v11, 0xffff0000, v11
	v_add_f32_e32 v13, v14, v15
	s_delay_alu instid0(VALU_DEP_1) | instskip(NEXT) | instid1(VALU_DEP_1)
	v_dual_add_f32 v3, v11, v3 :: v_dual_fmac_f32 v6, v13, v13
	v_fmac_f32_e32 v6, v3, v3
	s_delay_alu instid0(VALU_DEP_1) | instskip(NEXT) | instid1(VALU_DEP_1)
	v_dual_fmac_f32 v6, v4, v4 :: v_dual_add_nc_u32 v3, v1, v7
	v_cmpx_gt_u32_e64 s12, v3
	s_cbranch_execz .LBB82_4
; %bb.6:                                ;   in Loop: Header=BB82_5 Depth=1
	v_mov_b32_e32 v4, v2
	s_mov_b32 s36, -1
	s_mov_b32 s35, exec_lo
	s_delay_alu instid0(VALU_DEP_1) | instskip(NEXT) | instid1(VALU_DEP_1)
	v_lshlrev_b64 v[4:5], 3, v[3:4]
	v_add_co_u32 v11, vcc_lo, s14, v4
	s_delay_alu instid0(VALU_DEP_2)
	v_add_co_ci_u32_e32 v12, vcc_lo, s30, v5, vcc_lo
	v_add_co_u32 v4, vcc_lo, s31, v4
	v_add_co_ci_u32_e32 v5, vcc_lo, s33, v5, vcc_lo
	global_load_b64 v[11:12], v[11:12], off
	global_load_b64 v[4:5], v[4:5], off
	s_waitcnt vmcnt(1)
	v_lshlrev_b32_e32 v13, 16, v11
	v_and_b32_e32 v15, 0xffff0000, v11
	v_alignbit_b32 v11, v12, v11, 16
	v_and_b32_e32 v12, 0xffff0000, v12
	s_waitcnt vmcnt(0)
	v_lshlrev_b32_e32 v14, 16, v4
	v_and_b32_e32 v16, 0xffff0000, v4
	v_alignbit_b32 v4, v5, v4, 16
	s_delay_alu instid0(VALU_DEP_1) | instskip(SKIP_1) | instid1(VALU_DEP_1)
	v_and_b32_e32 v4, 0xffff0000, v4
	v_and_b32_e32 v5, 0xffff0000, v5
	v_add_f32_e32 v5, v12, v5
	v_add_f32_e32 v13, v13, v14
	s_delay_alu instid0(VALU_DEP_1) | instskip(SKIP_1) | instid1(VALU_DEP_2)
	v_dual_fmac_f32 v6, v13, v13 :: v_dual_and_b32 v11, 0xffff0000, v11
	v_add_f32_e32 v14, v15, v16
	v_add_f32_e32 v4, v11, v4
	s_delay_alu instid0(VALU_DEP_2) | instskip(NEXT) | instid1(VALU_DEP_1)
	v_fmac_f32_e32 v6, v14, v14
	v_fmac_f32_e32 v6, v4, v4
	v_add_nc_u32_e32 v4, v9, v1
	s_delay_alu instid0(VALU_DEP_2) | instskip(NEXT) | instid1(VALU_DEP_2)
	v_fmac_f32_e32 v6, v5, v5
	v_cmpx_gt_u32_e64 s12, v4
	s_cbranch_execz .LBB82_3
; %bb.7:                                ;   in Loop: Header=BB82_5 Depth=1
	v_mov_b32_e32 v5, v2
	v_add_nc_u32_e32 v1, v8, v1
	s_mov_b32 s37, -1
	s_mov_b32 s36, exec_lo
	s_delay_alu instid0(VALU_DEP_2) | instskip(NEXT) | instid1(VALU_DEP_1)
	v_lshlrev_b64 v[4:5], 3, v[4:5]
	v_add_co_u32 v11, vcc_lo, s14, v4
	s_delay_alu instid0(VALU_DEP_2)
	v_add_co_ci_u32_e32 v12, vcc_lo, s30, v5, vcc_lo
	v_add_co_u32 v4, vcc_lo, s31, v4
	v_add_co_ci_u32_e32 v5, vcc_lo, s33, v5, vcc_lo
	global_load_b64 v[11:12], v[11:12], off
	global_load_b64 v[4:5], v[4:5], off
	s_waitcnt vmcnt(1)
	v_and_b32_e32 v15, 0xffff0000, v11
	s_waitcnt vmcnt(0)
	v_lshlrev_b32_e32 v14, 16, v4
	v_and_b32_e32 v16, 0xffff0000, v4
	v_lshlrev_b32_e32 v13, 16, v11
	v_alignbit_b32 v11, v12, v11, 16
	v_alignbit_b32 v4, v5, v4, 16
	s_delay_alu instid0(VALU_DEP_3) | instskip(NEXT) | instid1(VALU_DEP_1)
	v_dual_add_f32 v13, v13, v14 :: v_dual_and_b32 v12, 0xffff0000, v12
	v_fmac_f32_e32 v6, v13, v13
	s_delay_alu instid0(VALU_DEP_4) | instskip(NEXT) | instid1(VALU_DEP_1)
	v_dual_add_f32 v14, v15, v16 :: v_dual_and_b32 v11, 0xffff0000, v11
	v_dual_fmac_f32 v6, v14, v14 :: v_dual_and_b32 v5, 0xffff0000, v5
	s_delay_alu instid0(VALU_DEP_1) | instskip(NEXT) | instid1(VALU_DEP_1)
	v_dual_add_f32 v5, v12, v5 :: v_dual_and_b32 v4, 0xffff0000, v4
	v_add_f32_e32 v4, v11, v4
	s_delay_alu instid0(VALU_DEP_1) | instskip(NEXT) | instid1(VALU_DEP_1)
	v_fmac_f32_e32 v6, v4, v4
	v_fmac_f32_e32 v6, v5, v5
	v_cmpx_gt_u32_e64 s12, v1
	s_xor_b32 s36, exec_lo, s36
	s_cbranch_execz .LBB82_2
; %bb.8:                                ;   in Loop: Header=BB82_5 Depth=1
	v_lshlrev_b64 v[4:5], 3, v[1:2]
	s_delay_alu instid0(VALU_DEP_1) | instskip(NEXT) | instid1(VALU_DEP_2)
	v_add_co_u32 v11, vcc_lo, s14, v4
	v_add_co_ci_u32_e32 v12, vcc_lo, s30, v5, vcc_lo
	v_add_co_u32 v4, vcc_lo, s31, v4
	v_add_co_ci_u32_e32 v5, vcc_lo, s33, v5, vcc_lo
	global_load_b64 v[11:12], v[11:12], off
	global_load_b64 v[4:5], v[4:5], off
	s_waitcnt vmcnt(0)
	v_lshlrev_b32_e32 v13, 16, v4
	v_and_b32_e32 v14, 0xffff0000, v11
	v_alignbit_b32 v15, v5, v4, 16
	v_and_b32_e32 v4, 0xffff0000, v4
	v_lshlrev_b32_e32 v1, 16, v11
	v_alignbit_b32 v11, v12, v11, 16
	v_and_b32_e32 v12, 0xffff0000, v12
	s_delay_alu instid0(VALU_DEP_3) | instskip(NEXT) | instid1(VALU_DEP_1)
	v_dual_add_f32 v4, v14, v4 :: v_dual_add_f32 v1, v1, v13
	v_dual_fmac_f32 v6, v1, v1 :: v_dual_and_b32 v13, 0xffff0000, v15
	s_delay_alu instid0(VALU_DEP_4) | instskip(SKIP_1) | instid1(VALU_DEP_2)
	v_and_b32_e32 v11, 0xffff0000, v11
	v_add3_u32 v1, v10, v7, v3
	v_dual_fmac_f32 v6, v4, v4 :: v_dual_add_f32 v11, v11, v13
	v_and_b32_e32 v5, 0xffff0000, v5
	s_delay_alu instid0(VALU_DEP_3) | instskip(NEXT) | instid1(VALU_DEP_2)
	v_cmp_le_u32_e32 vcc_lo, s12, v1
	v_dual_fmac_f32 v6, v11, v11 :: v_dual_add_f32 v3, v12, v5
	s_or_not1_b32 s37, vcc_lo, exec_lo
	s_delay_alu instid0(VALU_DEP_1)
	v_fmac_f32_e32 v6, v3, v3
	s_branch .LBB82_2
.LBB82_9:
	s_or_b32 exec_lo, exec_lo, s3
.LBB82_10:
	s_delay_alu instid0(SALU_CYCLE_1) | instskip(SKIP_3) | instid1(VALU_DEP_2)
	s_or_b32 exec_lo, exec_lo, s13
	v_mbcnt_lo_u32_b32 v1, -1, 0
	s_load_b32 s3, s[22:23], 0xc
	v_and_b32_e32 v7, 0x3e0, v0
	v_cmp_ne_u32_e32 vcc_lo, 31, v1
	v_add_nc_u32_e32 v3, 1, v1
	v_add_co_ci_u32_e32 v2, vcc_lo, 0, v1, vcc_lo
	v_cmp_gt_u32_e32 vcc_lo, 30, v1
	s_delay_alu instid0(VALU_DEP_2)
	v_lshlrev_b32_e32 v2, 2, v2
	v_cndmask_b32_e64 v5, 0, 1, vcc_lo
	ds_bpermute_b32 v4, v2, v6
	s_waitcnt lgkmcnt(0)
	s_and_b32 s34, s3, 0xffff
	v_lshlrev_b32_e32 v5, 1, v5
	v_sub_nc_u32_e64 v12, s34, v7 clamp
	s_mov_b32 s3, exec_lo
	s_delay_alu instid0(VALU_DEP_1) | instskip(SKIP_2) | instid1(VALU_DEP_2)
	v_cmp_lt_u32_e32 vcc_lo, v3, v12
	v_add_f32_e32 v7, v6, v4
	v_add_lshl_u32 v4, v5, v1, 2
	v_cndmask_b32_e32 v7, v6, v7, vcc_lo
	v_cmp_gt_u32_e32 vcc_lo, 28, v1
	v_cndmask_b32_e64 v5, 0, 1, vcc_lo
	s_delay_alu instid0(VALU_DEP_1) | instskip(SKIP_2) | instid1(VALU_DEP_1)
	v_lshlrev_b32_e32 v8, 2, v5
	ds_bpermute_b32 v6, v4, v7
	v_add_nc_u32_e32 v5, 2, v1
	v_cmp_lt_u32_e32 vcc_lo, v5, v12
	s_waitcnt lgkmcnt(0)
	v_add_f32_e32 v9, v7, v6
	v_add_lshl_u32 v6, v8, v1, 2
	s_delay_alu instid0(VALU_DEP_2) | instskip(SKIP_3) | instid1(VALU_DEP_1)
	v_cndmask_b32_e32 v9, v7, v9, vcc_lo
	v_cmp_gt_u32_e32 vcc_lo, 24, v1
	ds_bpermute_b32 v8, v6, v9
	v_cndmask_b32_e64 v7, 0, 1, vcc_lo
	v_lshlrev_b32_e32 v10, 3, v7
	v_add_nc_u32_e32 v7, 4, v1
	s_delay_alu instid0(VALU_DEP_1) | instskip(SKIP_3) | instid1(VALU_DEP_2)
	v_cmp_lt_u32_e32 vcc_lo, v7, v12
	s_waitcnt lgkmcnt(0)
	v_add_f32_e32 v11, v9, v8
	v_add_lshl_u32 v8, v10, v1, 2
	v_cndmask_b32_e32 v11, v9, v11, vcc_lo
	v_cmp_gt_u32_e32 vcc_lo, 16, v1
	ds_bpermute_b32 v10, v8, v11
	v_cndmask_b32_e64 v9, 0, 1, vcc_lo
	s_delay_alu instid0(VALU_DEP_1) | instskip(SKIP_1) | instid1(VALU_DEP_1)
	v_lshlrev_b32_e32 v13, 4, v9
	v_add_nc_u32_e32 v9, 8, v1
	v_cmp_lt_u32_e32 vcc_lo, v9, v12
	s_waitcnt lgkmcnt(0)
	v_add_f32_e32 v14, v11, v10
	v_add_lshl_u32 v10, v13, v1, 2
	s_delay_alu instid0(VALU_DEP_2)
	v_cndmask_b32_e32 v13, v11, v14, vcc_lo
	v_add_nc_u32_e32 v11, 16, v1
	ds_bpermute_b32 v14, v10, v13
	v_cmp_lt_u32_e32 vcc_lo, v11, v12
	s_waitcnt lgkmcnt(0)
	v_add_f32_e32 v14, v13, v14
	s_delay_alu instid0(VALU_DEP_1)
	v_cndmask_b32_e32 v12, v13, v14, vcc_lo
	v_cmpx_eq_u32_e32 0, v1
	s_cbranch_execz .LBB82_12
; %bb.11:
	v_lshrrev_b32_e32 v13, 3, v0
	s_delay_alu instid0(VALU_DEP_1)
	v_and_b32_e32 v13, 0x7c, v13
	ds_store_b32 v13, v12 offset:4096
.LBB82_12:
	s_or_b32 exec_lo, exec_lo, s3
	s_delay_alu instid0(SALU_CYCLE_1)
	s_mov_b32 s3, exec_lo
	s_waitcnt lgkmcnt(0)
	s_barrier
	buffer_gl0_inv
	v_cmpx_gt_u32_e32 32, v0
	s_cbranch_execz .LBB82_14
; %bb.13:
	v_lshlrev_b32_e32 v1, 2, v1
	s_add_i32 s13, s34, 31
	s_delay_alu instid0(SALU_CYCLE_1) | instskip(NEXT) | instid1(SALU_CYCLE_1)
	s_lshr_b32 s13, s13, 5
	v_cmp_gt_u32_e32 vcc_lo, s13, v3
	ds_load_b32 v1, v1 offset:4096
	s_waitcnt lgkmcnt(0)
	ds_bpermute_b32 v2, v2, v1
	s_waitcnt lgkmcnt(0)
	v_add_f32_e32 v2, v1, v2
	s_delay_alu instid0(VALU_DEP_1) | instskip(SKIP_4) | instid1(VALU_DEP_1)
	v_cndmask_b32_e32 v1, v1, v2, vcc_lo
	v_cmp_gt_u32_e32 vcc_lo, s13, v5
	ds_bpermute_b32 v2, v4, v1
	s_waitcnt lgkmcnt(0)
	v_add_f32_e32 v2, v1, v2
	v_cndmask_b32_e32 v1, v1, v2, vcc_lo
	v_cmp_gt_u32_e32 vcc_lo, s13, v7
	ds_bpermute_b32 v2, v6, v1
	s_waitcnt lgkmcnt(0)
	v_add_f32_e32 v2, v1, v2
	s_delay_alu instid0(VALU_DEP_1) | instskip(SKIP_4) | instid1(VALU_DEP_1)
	v_cndmask_b32_e32 v1, v1, v2, vcc_lo
	v_cmp_gt_u32_e32 vcc_lo, s13, v9
	ds_bpermute_b32 v2, v8, v1
	s_waitcnt lgkmcnt(0)
	v_add_f32_e32 v2, v1, v2
	v_cndmask_b32_e32 v1, v1, v2, vcc_lo
	v_cmp_gt_u32_e32 vcc_lo, s13, v11
	ds_bpermute_b32 v2, v10, v1
	s_waitcnt lgkmcnt(0)
	v_add_f32_e32 v2, v1, v2
	s_delay_alu instid0(VALU_DEP_1)
	v_cndmask_b32_e32 v12, v1, v2, vcc_lo
.LBB82_14:
	s_or_b32 exec_lo, exec_lo, s3
	s_delay_alu instid0(SALU_CYCLE_1)
	s_mov_b32 s3, exec_lo
	v_cmpx_eq_u32_e32 0, v0
	s_cbranch_execz .LBB82_16
; %bb.15:
	v_cvt_f32_i32_e32 v1, s20
	s_delay_alu instid0(VALU_DEP_1) | instskip(SKIP_1) | instid1(VALU_DEP_2)
	v_div_scale_f32 v2, null, v1, v1, v12
	v_div_scale_f32 v5, vcc_lo, v12, v1, v12
	v_rcp_f32_e32 v3, v2
	s_waitcnt_depctr 0xfff
	v_fma_f32 v4, -v2, v3, 1.0
	s_delay_alu instid0(VALU_DEP_1) | instskip(NEXT) | instid1(VALU_DEP_1)
	v_fmac_f32_e32 v3, v4, v3
	v_mul_f32_e32 v4, v5, v3
	s_delay_alu instid0(VALU_DEP_1) | instskip(NEXT) | instid1(VALU_DEP_1)
	v_fma_f32 v6, -v2, v4, v5
	v_fmac_f32_e32 v4, v6, v3
	s_delay_alu instid0(VALU_DEP_1) | instskip(NEXT) | instid1(VALU_DEP_1)
	v_fma_f32 v2, -v2, v4, v5
	v_div_fmas_f32 v2, v2, v3, v4
	s_delay_alu instid0(VALU_DEP_1) | instskip(NEXT) | instid1(VALU_DEP_1)
	v_div_fixup_f32 v1, v2, v1, v12
	v_add_f32_e32 v1, s16, v1
	s_delay_alu instid0(VALU_DEP_1) | instskip(SKIP_1) | instid1(VALU_DEP_2)
	v_mul_f32_e32 v2, 0x4b800000, v1
	v_cmp_gt_f32_e32 vcc_lo, 0x800000, v1
	v_cndmask_b32_e32 v1, v1, v2, vcc_lo
	s_delay_alu instid0(VALU_DEP_1) | instskip(SKIP_2) | instid1(VALU_DEP_1)
	v_rsq_f32_e32 v1, v1
	s_waitcnt_depctr 0xfff
	v_mul_f32_e32 v2, 0x45800000, v1
	v_dual_cndmask_b32 v1, v1, v2 :: v_dual_mov_b32 v2, 0
	ds_store_b32 v2, v1 offset:4224
.LBB82_16:
	s_or_b32 exec_lo, exec_lo, s3
	s_ashr_i32 s3, s20, 31
	s_waitcnt lgkmcnt(0)
	s_lshr_b32 s3, s3, 26
	s_barrier
	s_add_i32 s3, s20, s3
	buffer_gl0_inv
	s_ashr_i32 s16, s3, 6
	s_ashr_i32 s3, s3, 31
	s_abs_i32 s13, s16
	s_delay_alu instid0(SALU_CYCLE_1) | instskip(SKIP_1) | instid1(VALU_DEP_1)
	v_cvt_f32_u32_e32 v1, s13
	s_sub_i32 s22, 0, s13
	v_rcp_iflag_f32_e32 v1, v1
	s_waitcnt_depctr 0xfff
	v_mul_f32_e32 v1, 0x4f7ffffe, v1
	s_delay_alu instid0(VALU_DEP_1) | instskip(NEXT) | instid1(VALU_DEP_1)
	v_cvt_u32_f32_e32 v1, v1
	v_readfirstlane_b32 s17, v1
	s_delay_alu instid0(VALU_DEP_1) | instskip(NEXT) | instid1(SALU_CYCLE_1)
	s_mul_i32 s22, s22, s17
	s_mul_hi_u32 s22, s17, s22
	s_delay_alu instid0(SALU_CYCLE_1) | instskip(NEXT) | instid1(SALU_CYCLE_1)
	s_add_i32 s17, s17, s22
	s_mul_hi_u32 s17, s34, s17
	s_delay_alu instid0(SALU_CYCLE_1) | instskip(SKIP_2) | instid1(SALU_CYCLE_1)
	s_mul_i32 s22, s17, s13
	s_add_i32 s23, s17, 1
	s_sub_i32 s22, s34, s22
	s_sub_i32 s35, s22, s13
	s_cmp_ge_u32 s22, s13
	s_cselect_b32 s17, s23, s17
	s_cselect_b32 s22, s35, s22
	s_add_i32 s23, s17, 1
	s_cmp_ge_u32 s22, s13
	s_cselect_b32 s13, s23, s17
	s_delay_alu instid0(SALU_CYCLE_1) | instskip(NEXT) | instid1(SALU_CYCLE_1)
	s_xor_b32 s13, s13, s3
	s_sub_i32 s22, s13, s3
	s_delay_alu instid0(SALU_CYCLE_1) | instskip(SKIP_3) | instid1(VALU_DEP_1)
	s_abs_i32 s3, s22
	s_ashr_i32 s23, s22, 31
	v_cvt_f32_u32_e32 v1, s3
	s_sub_i32 s13, 0, s3
	v_rcp_iflag_f32_e32 v1, v1
	s_waitcnt_depctr 0xfff
	v_mul_f32_e32 v1, 0x4f7ffffe, v1
	s_delay_alu instid0(VALU_DEP_1) | instskip(NEXT) | instid1(VALU_DEP_1)
	v_cvt_u32_f32_e32 v1, v1
	v_mul_lo_u32 v2, s13, v1
	s_ashr_i32 s13, s12, 31
	s_delay_alu instid0(VALU_DEP_1) | instskip(NEXT) | instid1(VALU_DEP_1)
	v_mul_hi_u32 v2, v1, v2
	v_add_nc_u32_e32 v1, v1, v2
	s_delay_alu instid0(VALU_DEP_1) | instskip(NEXT) | instid1(VALU_DEP_1)
	v_mul_hi_u32 v1, v0, v1
	v_mul_lo_u32 v2, v1, s3
	v_add_nc_u32_e32 v3, 1, v1
	s_delay_alu instid0(VALU_DEP_2) | instskip(NEXT) | instid1(VALU_DEP_1)
	v_sub_nc_u32_e32 v2, v0, v2
	v_subrev_nc_u32_e32 v4, s3, v2
	v_cmp_le_u32_e32 vcc_lo, s3, v2
	s_delay_alu instid0(VALU_DEP_2) | instskip(NEXT) | instid1(VALU_DEP_1)
	v_dual_cndmask_b32 v1, v1, v3 :: v_dual_cndmask_b32 v2, v2, v4
	v_dual_mov_b32 v4, 0 :: v_dual_add_nc_u32 v3, 1, v1
	s_delay_alu instid0(VALU_DEP_2) | instskip(SKIP_2) | instid1(VALU_DEP_1)
	v_cmp_le_u32_e32 vcc_lo, s3, v2
	ds_load_b32 v28, v4 offset:4224
	v_cndmask_b32_e32 v1, v1, v3, vcc_lo
	v_xor_b32_e32 v1, s23, v1
	s_delay_alu instid0(VALU_DEP_1) | instskip(NEXT) | instid1(VALU_DEP_1)
	v_subrev_nc_u32_e32 v1, s23, v1
	v_ashrrev_i32_e32 v2, 31, v1
	v_mul_lo_u32 v3, v1, s22
	s_delay_alu instid0(VALU_DEP_2) | instskip(NEXT) | instid1(VALU_DEP_2)
	v_lshlrev_b64 v[7:8], 4, v[1:2]
	v_sub_nc_u32_e32 v3, v0, v3
	s_delay_alu instid0(VALU_DEP_2) | instskip(NEXT) | instid1(VALU_DEP_3)
	v_add_co_u32 v5, vcc_lo, v7, 16
	v_add_co_ci_u32_e32 v6, vcc_lo, 0, v8, vcc_lo
	s_delay_alu instid0(VALU_DEP_1) | instskip(SKIP_4) | instid1(VALU_DEP_3)
	v_cmp_gt_i64_e32 vcc_lo, s[12:13], v[5:6]
	v_cndmask_b32_e32 v6, s13, v6, vcc_lo
	v_cndmask_b32_e32 v5, s12, v5, vcc_lo
	v_add_co_u32 v7, vcc_lo, v7, v3
	v_add_co_ci_u32_e32 v8, vcc_lo, 0, v8, vcc_lo
	v_ashrrev_i32_e32 v10, 31, v5
	v_mov_b32_e32 v9, v5
	s_mov_b32 s13, exec_lo
	s_delay_alu instid0(VALU_DEP_1)
	v_cmpx_lt_i64_e64 v[7:8], v[9:10]
	s_cbranch_execz .LBB82_26
; %bb.17:
	v_lshlrev_b64 v[13:14], 7, v[1:2]
	v_lshlrev_b64 v[11:12], 3, v[3:4]
	s_mul_i32 s3, s22, 24
	s_mul_hi_i32 s17, s22, 24
	s_add_u32 s35, s8, s3
	s_delay_alu instid0(VALU_DEP_2) | instskip(SKIP_2) | instid1(VALU_DEP_2)
	v_add_co_u32 v4, vcc_lo, s24, v13
	v_add_co_ci_u32_e32 v15, vcc_lo, s25, v14, vcc_lo
	s_addc_u32 s24, s9, s17
	v_add_co_u32 v17, vcc_lo, s35, v4
	s_lshl_b64 s[36:37], s[22:23], 4
	s_delay_alu instid0(VALU_DEP_2)
	v_add_co_ci_u32_e32 v18, vcc_lo, s24, v15, vcc_lo
	s_lshl_b64 s[24:25], s[22:23], 5
	s_add_u32 s35, s8, s36
	s_addc_u32 s40, s9, s37
	s_lshl_b64 s[38:39], s[22:23], 3
	v_add_co_u32 v19, vcc_lo, s35, v4
	s_add_u32 s35, s8, s38
	v_add_co_ci_u32_e32 v20, vcc_lo, s40, v15, vcc_lo
	s_addc_u32 s40, s9, s39
	v_add_co_u32 v21, vcc_lo, s35, v4
	v_add_co_ci_u32_e32 v22, vcc_lo, s40, v15, vcc_lo
	v_add_co_u32 v23, vcc_lo, s8, v4
	s_add_u32 s8, s10, s3
	v_add_co_ci_u32_e32 v24, vcc_lo, s9, v15, vcc_lo
	s_addc_u32 s9, s11, s17
	v_add_co_u32 v25, vcc_lo, s8, v13
	s_add_u32 s8, s10, s36
	v_add_co_ci_u32_e32 v26, vcc_lo, s9, v14, vcc_lo
	s_addc_u32 s9, s11, s37
	;; [unrolled: 4-line block ×3, first 2 shown]
	v_add_co_u32 v30, vcc_lo, s8, v13
	v_add_co_ci_u32_e32 v31, vcc_lo, s9, v14, vcc_lo
	v_add_co_u32 v32, vcc_lo, s10, v13
	v_add_co_ci_u32_e32 v33, vcc_lo, s11, v14, vcc_lo
	;; [unrolled: 2-line block ×3, first 2 shown]
	s_add_u32 s3, s26, s3
	s_addc_u32 s8, s27, s17
	s_delay_alu instid0(VALU_DEP_2)
	v_add_co_u32 v34, vcc_lo, s3, v4
	s_add_u32 s3, s26, s36
	v_add_co_ci_u32_e32 v35, vcc_lo, s8, v13, vcc_lo
	s_addc_u32 s8, s27, s37
	v_add_co_u32 v36, vcc_lo, s3, v4
	s_add_u32 s3, s26, s38
	v_add_co_ci_u32_e32 v37, vcc_lo, s8, v13, vcc_lo
	s_addc_u32 s8, s27, s39
	v_add_co_u32 v38, vcc_lo, s3, v4
	v_add_co_ci_u32_e32 v39, vcc_lo, s8, v13, vcc_lo
	v_add_co_u32 v40, vcc_lo, s26, v4
	v_add_co_ci_u32_e32 v41, vcc_lo, s27, v13, vcc_lo
	v_mov_b32_e32 v14, v8
	v_dual_mov_b32 v4, 0 :: v_dual_mov_b32 v13, v7
	s_mul_hi_i32 s17, s22, 3
	s_mul_i32 s26, s22, 3
	s_lshl_b64 s[8:9], s[22:23], 1
	s_mov_b32 s27, 0
                                        ; implicit-def: $sgpr28
	s_branch .LBB82_21
.LBB82_18:                              ;   in Loop: Header=BB82_21 Depth=1
	s_or_b32 exec_lo, exec_lo, s36
	s_delay_alu instid0(SALU_CYCLE_1)
	s_or_not1_b32 s3, s3, exec_lo
.LBB82_19:                              ;   in Loop: Header=BB82_21 Depth=1
	s_or_b32 exec_lo, exec_lo, s35
	s_delay_alu instid0(SALU_CYCLE_1) | instskip(SKIP_1) | instid1(SALU_CYCLE_1)
	s_and_not1_b32 s28, s28, exec_lo
	s_and_b32 s3, s3, exec_lo
	s_or_b32 s28, s28, s3
.LBB82_20:                              ;   in Loop: Header=BB82_21 Depth=1
	s_or_b32 exec_lo, exec_lo, s29
	s_delay_alu instid0(SALU_CYCLE_1) | instskip(NEXT) | instid1(SALU_CYCLE_1)
	s_and_b32 s3, exec_lo, s28
	s_or_b32 s27, s3, s27
	s_delay_alu instid0(SALU_CYCLE_1)
	s_and_not1_b32 exec_lo, exec_lo, s27
	s_cbranch_execz .LBB82_25
.LBB82_21:                              ; =>This Inner Loop Header: Depth=1
	v_add_co_u32 v15, vcc_lo, v23, v11
	v_add_co_ci_u32_e32 v16, vcc_lo, v24, v12, vcc_lo
	v_add_co_u32 v42, vcc_lo, v32, v11
	v_add_co_ci_u32_e32 v43, vcc_lo, v33, v12, vcc_lo
	;; [unrolled: 2-line block ×3, first 2 shown]
	global_load_b64 v[15:16], v[15:16], off
	global_load_b64 v[42:43], v[42:43], off
	;; [unrolled: 1-line block ×3, first 2 shown]
	s_or_b32 s28, s28, exec_lo
	s_mov_b32 s29, exec_lo
	s_waitcnt vmcnt(2)
	v_lshlrev_b32_e32 v48, 16, v15
	s_waitcnt vmcnt(0)
	v_and_b32_e32 v50, 0xffff0000, v44
	v_lshlrev_b32_e32 v49, 16, v44
	v_alignbit_b32 v44, v45, v44, 16
	s_delay_alu instid0(VALU_DEP_1) | instskip(SKIP_2) | instid1(VALU_DEP_1)
	v_and_b32_e32 v44, 0xffff0000, v44
	v_and_b32_e32 v46, 0xffff0000, v15
	v_alignbit_b32 v15, v16, v15, 16
	v_and_b32_e32 v15, 0xffff0000, v15
	s_delay_alu instid0(VALU_DEP_1) | instskip(SKIP_2) | instid1(VALU_DEP_2)
	v_dual_add_f32 v15, v15, v44 :: v_dual_add_f32 v46, v46, v50
	v_dual_add_f32 v48, v48, v49 :: v_dual_and_b32 v47, 0xffff0000, v42
	s_waitcnt lgkmcnt(0)
	v_dual_mul_f32 v15, v28, v15 :: v_dual_and_b32 v16, 0xffff0000, v16
	s_delay_alu instid0(VALU_DEP_3) | instskip(NEXT) | instid1(VALU_DEP_3)
	v_dual_mul_f32 v46, v28, v46 :: v_dual_and_b32 v45, 0xffff0000, v45
	v_mul_f32_e32 v48, v28, v48
	s_delay_alu instid0(VALU_DEP_3) | instskip(NEXT) | instid1(VALU_DEP_3)
	v_bfe_u32 v51, v15, 16, 1
	v_dual_add_f32 v16, v16, v45 :: v_dual_lshlrev_b32 v45, 16, v42
	s_delay_alu instid0(VALU_DEP_3) | instskip(SKIP_1) | instid1(VALU_DEP_3)
	v_bfe_u32 v44, v48, 16, 1
	v_alignbit_b32 v42, v43, v42, 16
	v_dual_mul_f32 v16, v28, v16 :: v_dual_and_b32 v43, 0xffff0000, v43
	v_bfe_u32 v49, v46, 16, 1
	s_delay_alu instid0(VALU_DEP_4)
	v_add3_u32 v44, v48, v44, 0x7fff
	v_cmp_o_f32_e32 vcc_lo, v48, v48
	v_and_b32_e32 v42, 0xffff0000, v42
	v_bfe_u32 v50, v16, 16, 1
	v_add3_u32 v49, v46, v49, 0x7fff
	v_and_b32_e32 v44, 0xffff0000, v44
	v_add3_u32 v51, v15, v51, 0x7fff
	s_delay_alu instid0(VALU_DEP_4) | instskip(NEXT) | instid1(VALU_DEP_4)
	v_add3_u32 v50, v16, v50, 0x7fff
	v_and_b32_e32 v49, 0xffff0000, v49
	s_delay_alu instid0(VALU_DEP_4)
	v_cndmask_b32_e32 v44, 0x7fc00000, v44, vcc_lo
	v_cmp_o_f32_e32 vcc_lo, v46, v46
	v_and_b32_e32 v48, 0xffff0000, v51
	v_and_b32_e32 v50, 0xffff0000, v50
	v_cndmask_b32_e32 v46, 0x7fc00000, v49, vcc_lo
	v_cmp_o_f32_e32 vcc_lo, v16, v16
	s_delay_alu instid0(VALU_DEP_3) | instskip(SKIP_1) | instid1(VALU_DEP_4)
	v_cndmask_b32_e32 v16, 0x7fc00000, v50, vcc_lo
	v_cmp_o_f32_e32 vcc_lo, v15, v15
	v_dual_mul_f32 v44, v44, v45 :: v_dual_mul_f32 v45, v46, v47
	s_delay_alu instid0(VALU_DEP_3) | instskip(SKIP_1) | instid1(VALU_DEP_3)
	v_mul_f32_e32 v43, v16, v43
	v_cndmask_b32_e32 v15, 0x7fc00000, v48, vcc_lo
	v_bfe_u32 v46, v44, 16, 1
	s_delay_alu instid0(VALU_DEP_4) | instskip(SKIP_1) | instid1(VALU_DEP_4)
	v_bfe_u32 v16, v45, 16, 1
	v_cmp_o_f32_e32 vcc_lo, v44, v44
	v_mul_f32_e32 v42, v15, v42
	s_delay_alu instid0(VALU_DEP_4) | instskip(NEXT) | instid1(VALU_DEP_4)
	v_add3_u32 v15, v44, v46, 0x7fff
	v_add3_u32 v16, v45, v16, 0x7fff
	v_bfe_u32 v46, v43, 16, 1
	s_delay_alu instid0(VALU_DEP_4) | instskip(NEXT) | instid1(VALU_DEP_4)
	v_bfe_u32 v47, v42, 16, 1
	v_and_b32_e32 v15, 0xffff0000, v15
	s_delay_alu instid0(VALU_DEP_4) | instskip(NEXT) | instid1(VALU_DEP_4)
	v_and_b32_e32 v16, 0xffff0000, v16
	v_add3_u32 v46, v43, v46, 0x7fff
	s_delay_alu instid0(VALU_DEP_4) | instskip(NEXT) | instid1(VALU_DEP_4)
	v_add3_u32 v47, v42, v47, 0x7fff
	v_cndmask_b32_e64 v44, 0x7fc00000, |v15|, vcc_lo
	v_cmp_o_f32_e32 vcc_lo, v45, v45
	s_delay_alu instid0(VALU_DEP_4) | instskip(NEXT) | instid1(VALU_DEP_4)
	v_and_b32_e32 v46, 0xffff0000, v46
	v_and_b32_e32 v47, 0xffff0000, v47
	v_cndmask_b32_e64 v45, 0x7fc00000, |v16|, vcc_lo
	v_add_co_u32 v15, vcc_lo, v13, s22
	v_add_co_ci_u32_e32 v16, vcc_lo, s23, v14, vcc_lo
	v_cmp_o_f32_e32 vcc_lo, v42, v42
	s_delay_alu instid0(VALU_DEP_4) | instskip(SKIP_3) | instid1(VALU_DEP_1)
	v_max3_f32 v4, v4, v44, v45
	v_cndmask_b32_e64 v42, 0x7fc00000, |v47|, vcc_lo
	v_cmp_o_f32_e32 vcc_lo, v43, v43
	v_cndmask_b32_e64 v43, 0x7fc00000, |v46|, vcc_lo
	v_max3_f32 v4, v4, v42, v43
	v_cmpx_lt_i64_e64 v[15:16], v[9:10]
	s_cbranch_execz .LBB82_20
; %bb.22:                               ;   in Loop: Header=BB82_21 Depth=1
	v_add_co_u32 v42, vcc_lo, v21, v11
	v_add_co_ci_u32_e32 v43, vcc_lo, v22, v12, vcc_lo
	v_add_co_u32 v44, vcc_lo, v30, v11
	v_add_co_ci_u32_e32 v45, vcc_lo, v31, v12, vcc_lo
	;; [unrolled: 2-line block ×3, first 2 shown]
	global_load_b64 v[42:43], v[42:43], off
	global_load_b64 v[44:45], v[44:45], off
	;; [unrolled: 1-line block ×3, first 2 shown]
	s_mov_b32 s3, -1
	s_mov_b32 s35, exec_lo
	s_waitcnt vmcnt(2)
	v_lshlrev_b32_e32 v50, 16, v42
	s_waitcnt vmcnt(0)
	v_lshlrev_b32_e32 v51, 16, v46
	v_and_b32_e32 v52, 0xffff0000, v46
	v_alignbit_b32 v46, v47, v46, 16
	v_and_b32_e32 v47, 0xffff0000, v47
	v_and_b32_e32 v48, 0xffff0000, v42
	v_alignbit_b32 v42, v43, v42, 16
	v_and_b32_e32 v43, 0xffff0000, v43
	s_delay_alu instid0(VALU_DEP_1) | instskip(NEXT) | instid1(VALU_DEP_4)
	v_dual_add_f32 v43, v43, v47 :: v_dual_and_b32 v46, 0xffff0000, v46
	v_add_f32_e32 v48, v48, v52
	v_lshlrev_b32_e32 v47, 16, v44
	s_delay_alu instid0(VALU_DEP_3) | instskip(NEXT) | instid1(VALU_DEP_3)
	v_mul_f32_e32 v43, v28, v43
	v_mul_f32_e32 v48, v28, v48
	v_dual_add_f32 v50, v50, v51 :: v_dual_and_b32 v49, 0xffff0000, v44
	v_alignbit_b32 v44, v45, v44, 16
	v_and_b32_e32 v45, 0xffff0000, v45
	v_and_b32_e32 v42, 0xffff0000, v42
	v_bfe_u32 v51, v48, 16, 1
	v_mul_f32_e32 v50, v28, v50
	v_bfe_u32 v52, v43, 16, 1
	v_and_b32_e32 v44, 0xffff0000, v44
	v_add_f32_e32 v42, v42, v46
	v_add3_u32 v51, v48, v51, 0x7fff
	v_bfe_u32 v46, v50, 16, 1
	v_cmp_o_f32_e32 vcc_lo, v50, v50
	v_add3_u32 v52, v43, v52, 0x7fff
	s_delay_alu instid0(VALU_DEP_4) | instskip(NEXT) | instid1(VALU_DEP_4)
	v_dual_mul_f32 v42, v28, v42 :: v_dual_and_b32 v51, 0xffff0000, v51
	v_add3_u32 v46, v50, v46, 0x7fff
	s_delay_alu instid0(VALU_DEP_3) | instskip(NEXT) | instid1(VALU_DEP_3)
	v_and_b32_e32 v52, 0xffff0000, v52
	v_bfe_u32 v53, v42, 16, 1
	s_delay_alu instid0(VALU_DEP_3) | instskip(NEXT) | instid1(VALU_DEP_2)
	v_and_b32_e32 v46, 0xffff0000, v46
	v_add3_u32 v53, v42, v53, 0x7fff
	s_delay_alu instid0(VALU_DEP_2) | instskip(SKIP_1) | instid1(VALU_DEP_3)
	v_cndmask_b32_e32 v46, 0x7fc00000, v46, vcc_lo
	v_cmp_o_f32_e32 vcc_lo, v48, v48
	v_and_b32_e32 v50, 0xffff0000, v53
	s_delay_alu instid0(VALU_DEP_3) | instskip(SKIP_2) | instid1(VALU_DEP_2)
	v_mul_f32_e32 v46, v46, v47
	v_cndmask_b32_e32 v48, 0x7fc00000, v51, vcc_lo
	v_cmp_o_f32_e32 vcc_lo, v43, v43
	v_mul_f32_e32 v47, v48, v49
	v_cndmask_b32_e32 v43, 0x7fc00000, v52, vcc_lo
	v_cmp_o_f32_e32 vcc_lo, v42, v42
	v_bfe_u32 v48, v46, 16, 1
	s_delay_alu instid0(VALU_DEP_3) | instskip(SKIP_2) | instid1(VALU_DEP_2)
	v_dual_mul_f32 v45, v43, v45 :: v_dual_cndmask_b32 v42, 0x7fc00000, v50
	v_bfe_u32 v43, v47, 16, 1
	v_cmp_o_f32_e32 vcc_lo, v46, v46
	v_add3_u32 v43, v47, v43, 0x7fff
	s_delay_alu instid0(VALU_DEP_4) | instskip(SKIP_2) | instid1(VALU_DEP_4)
	v_mul_f32_e32 v44, v42, v44
	v_add3_u32 v42, v46, v48, 0x7fff
	v_bfe_u32 v48, v45, 16, 1
	v_and_b32_e32 v43, 0xffff0000, v43
	s_delay_alu instid0(VALU_DEP_4) | instskip(NEXT) | instid1(VALU_DEP_4)
	v_bfe_u32 v49, v44, 16, 1
	v_and_b32_e32 v42, 0xffff0000, v42
	s_delay_alu instid0(VALU_DEP_4) | instskip(NEXT) | instid1(VALU_DEP_3)
	v_add3_u32 v48, v45, v48, 0x7fff
	v_add3_u32 v49, v44, v49, 0x7fff
	s_delay_alu instid0(VALU_DEP_3) | instskip(SKIP_1) | instid1(VALU_DEP_4)
	v_cndmask_b32_e64 v46, 0x7fc00000, |v42|, vcc_lo
	v_cmp_o_f32_e32 vcc_lo, v47, v47
	v_and_b32_e32 v48, 0xffff0000, v48
	s_delay_alu instid0(VALU_DEP_4) | instskip(SKIP_4) | instid1(VALU_DEP_4)
	v_and_b32_e32 v49, 0xffff0000, v49
	v_cndmask_b32_e64 v47, 0x7fc00000, |v43|, vcc_lo
	v_add_co_u32 v42, vcc_lo, s8, v13
	v_add_co_ci_u32_e32 v43, vcc_lo, s9, v14, vcc_lo
	v_cmp_o_f32_e32 vcc_lo, v44, v44
	v_max3_f32 v4, v4, v46, v47
	v_cndmask_b32_e64 v44, 0x7fc00000, |v49|, vcc_lo
	v_cmp_o_f32_e32 vcc_lo, v45, v45
	v_cndmask_b32_e64 v45, 0x7fc00000, |v48|, vcc_lo
	s_delay_alu instid0(VALU_DEP_1)
	v_max3_f32 v4, v4, v44, v45
	v_cmpx_lt_i64_e64 v[42:43], v[9:10]
	s_cbranch_execz .LBB82_19
; %bb.23:                               ;   in Loop: Header=BB82_21 Depth=1
	v_add_co_u32 v42, vcc_lo, v19, v11
	v_add_co_ci_u32_e32 v43, vcc_lo, v20, v12, vcc_lo
	v_add_co_u32 v44, vcc_lo, v27, v11
	v_add_co_ci_u32_e32 v45, vcc_lo, v29, v12, vcc_lo
	v_add_co_u32 v46, vcc_lo, v36, v11
	v_add_co_ci_u32_e32 v47, vcc_lo, v37, v12, vcc_lo
	global_load_b64 v[42:43], v[42:43], off
	global_load_b64 v[44:45], v[44:45], off
	global_load_b64 v[46:47], v[46:47], off
	s_waitcnt vmcnt(2)
	v_lshlrev_b32_e32 v50, 16, v42
	s_waitcnt vmcnt(0)
	v_lshlrev_b32_e32 v51, 16, v46
	v_and_b32_e32 v52, 0xffff0000, v46
	v_alignbit_b32 v46, v47, v46, 16
	v_and_b32_e32 v47, 0xffff0000, v47
	v_and_b32_e32 v48, 0xffff0000, v42
	v_alignbit_b32 v42, v43, v42, 16
	v_and_b32_e32 v43, 0xffff0000, v43
	s_delay_alu instid0(VALU_DEP_1) | instskip(NEXT) | instid1(VALU_DEP_4)
	v_dual_add_f32 v43, v43, v47 :: v_dual_and_b32 v46, 0xffff0000, v46
	v_add_f32_e32 v48, v48, v52
	v_lshlrev_b32_e32 v47, 16, v44
	s_delay_alu instid0(VALU_DEP_3) | instskip(NEXT) | instid1(VALU_DEP_3)
	v_mul_f32_e32 v43, v28, v43
	v_mul_f32_e32 v48, v28, v48
	v_dual_add_f32 v50, v50, v51 :: v_dual_and_b32 v49, 0xffff0000, v44
	v_alignbit_b32 v44, v45, v44, 16
	v_and_b32_e32 v45, 0xffff0000, v45
	v_and_b32_e32 v42, 0xffff0000, v42
	v_bfe_u32 v51, v48, 16, 1
	v_mul_f32_e32 v50, v28, v50
	v_bfe_u32 v52, v43, 16, 1
	v_and_b32_e32 v44, 0xffff0000, v44
	v_add_f32_e32 v42, v42, v46
	v_add3_u32 v51, v48, v51, 0x7fff
	v_bfe_u32 v46, v50, 16, 1
	v_cmp_o_f32_e32 vcc_lo, v50, v50
	v_add3_u32 v52, v43, v52, 0x7fff
	s_delay_alu instid0(VALU_DEP_4) | instskip(NEXT) | instid1(VALU_DEP_4)
	v_dual_mul_f32 v42, v28, v42 :: v_dual_and_b32 v51, 0xffff0000, v51
	v_add3_u32 v46, v50, v46, 0x7fff
	s_delay_alu instid0(VALU_DEP_3) | instskip(NEXT) | instid1(VALU_DEP_3)
	v_and_b32_e32 v52, 0xffff0000, v52
	v_bfe_u32 v53, v42, 16, 1
	s_delay_alu instid0(VALU_DEP_3) | instskip(NEXT) | instid1(VALU_DEP_2)
	v_and_b32_e32 v46, 0xffff0000, v46
	v_add3_u32 v53, v42, v53, 0x7fff
	s_delay_alu instid0(VALU_DEP_2) | instskip(SKIP_1) | instid1(VALU_DEP_3)
	v_cndmask_b32_e32 v46, 0x7fc00000, v46, vcc_lo
	v_cmp_o_f32_e32 vcc_lo, v48, v48
	v_and_b32_e32 v50, 0xffff0000, v53
	s_delay_alu instid0(VALU_DEP_3) | instskip(SKIP_2) | instid1(VALU_DEP_2)
	v_mul_f32_e32 v46, v46, v47
	v_cndmask_b32_e32 v48, 0x7fc00000, v51, vcc_lo
	v_cmp_o_f32_e32 vcc_lo, v43, v43
	v_mul_f32_e32 v47, v48, v49
	v_cndmask_b32_e32 v43, 0x7fc00000, v52, vcc_lo
	v_cmp_o_f32_e32 vcc_lo, v42, v42
	v_bfe_u32 v48, v46, 16, 1
	s_delay_alu instid0(VALU_DEP_3) | instskip(SKIP_2) | instid1(VALU_DEP_2)
	v_dual_mul_f32 v43, v43, v45 :: v_dual_cndmask_b32 v42, 0x7fc00000, v50
	v_bfe_u32 v45, v47, 16, 1
	v_cmp_o_f32_e32 vcc_lo, v46, v46
	v_add3_u32 v45, v47, v45, 0x7fff
	s_delay_alu instid0(VALU_DEP_4) | instskip(SKIP_2) | instid1(VALU_DEP_4)
	v_mul_f32_e32 v42, v42, v44
	v_add3_u32 v44, v46, v48, 0x7fff
	v_bfe_u32 v48, v43, 16, 1
	v_and_b32_e32 v45, 0xffff0000, v45
	s_delay_alu instid0(VALU_DEP_4) | instskip(NEXT) | instid1(VALU_DEP_4)
	v_bfe_u32 v49, v42, 16, 1
	v_and_b32_e32 v44, 0xffff0000, v44
	s_delay_alu instid0(VALU_DEP_4) | instskip(NEXT) | instid1(VALU_DEP_3)
	v_add3_u32 v48, v43, v48, 0x7fff
	v_add3_u32 v49, v42, v49, 0x7fff
	s_delay_alu instid0(VALU_DEP_3) | instskip(SKIP_1) | instid1(VALU_DEP_4)
	v_cndmask_b32_e64 v44, 0x7fc00000, |v44|, vcc_lo
	v_cmp_o_f32_e32 vcc_lo, v47, v47
	v_and_b32_e32 v47, 0xffff0000, v48
	s_delay_alu instid0(VALU_DEP_4) | instskip(SKIP_4) | instid1(VALU_DEP_4)
	v_and_b32_e32 v46, 0xffff0000, v49
	v_cndmask_b32_e64 v45, 0x7fc00000, |v45|, vcc_lo
	v_add_co_u32 v13, vcc_lo, s26, v13
	v_add_co_ci_u32_e32 v14, vcc_lo, s17, v14, vcc_lo
	v_cmp_o_f32_e32 vcc_lo, v42, v42
	v_max3_f32 v4, v4, v44, v45
	v_cndmask_b32_e64 v42, 0x7fc00000, |v46|, vcc_lo
	v_cmp_o_f32_e32 vcc_lo, v43, v43
	v_cndmask_b32_e64 v43, 0x7fc00000, |v47|, vcc_lo
	v_cmp_lt_i64_e32 vcc_lo, v[13:14], v[9:10]
                                        ; implicit-def: $vgpr13_vgpr14
	s_delay_alu instid0(VALU_DEP_2) | instskip(SKIP_1) | instid1(SALU_CYCLE_1)
	v_max3_f32 v4, v4, v42, v43
	s_and_saveexec_b32 s36, vcc_lo
	s_xor_b32 s36, exec_lo, s36
	s_cbranch_execz .LBB82_18
; %bb.24:                               ;   in Loop: Header=BB82_21 Depth=1
	v_add_co_u32 v13, vcc_lo, v17, v11
	v_add_co_ci_u32_e32 v14, vcc_lo, v18, v12, vcc_lo
	v_add_co_u32 v42, vcc_lo, v25, v11
	v_add_co_ci_u32_e32 v43, vcc_lo, v26, v12, vcc_lo
	;; [unrolled: 2-line block ×3, first 2 shown]
	global_load_b64 v[13:14], v[13:14], off
	global_load_b64 v[42:43], v[42:43], off
	;; [unrolled: 1-line block ×3, first 2 shown]
	v_add_co_u32 v17, vcc_lo, v17, s24
	v_add_co_ci_u32_e32 v18, vcc_lo, s25, v18, vcc_lo
	v_add_co_u32 v19, vcc_lo, v19, s24
	v_add_co_ci_u32_e32 v20, vcc_lo, s25, v20, vcc_lo
	;; [unrolled: 2-line block ×10, first 2 shown]
	s_add_u32 s3, s22, s22
	s_addc_u32 s37, s23, s23
	s_add_u32 s3, s3, s22
	s_addc_u32 s37, s37, s23
	s_waitcnt vmcnt(2)
	v_lshlrev_b32_e32 v48, 16, v13
	s_waitcnt vmcnt(0)
	v_and_b32_e32 v50, 0xffff0000, v44
	v_lshlrev_b32_e32 v49, 16, v44
	v_alignbit_b32 v44, v45, v44, 16
	s_delay_alu instid0(VALU_DEP_1) | instskip(SKIP_2) | instid1(VALU_DEP_1)
	v_and_b32_e32 v44, 0xffff0000, v44
	v_and_b32_e32 v46, 0xffff0000, v13
	v_alignbit_b32 v13, v14, v13, 16
	v_and_b32_e32 v13, 0xffff0000, v13
	s_delay_alu instid0(VALU_DEP_1) | instskip(SKIP_1) | instid1(VALU_DEP_2)
	v_dual_add_f32 v13, v13, v44 :: v_dual_add_f32 v46, v46, v50
	v_dual_add_f32 v48, v48, v49 :: v_dual_and_b32 v47, 0xffff0000, v42
	v_dual_mul_f32 v13, v28, v13 :: v_dual_and_b32 v14, 0xffff0000, v14
	s_delay_alu instid0(VALU_DEP_3) | instskip(NEXT) | instid1(VALU_DEP_3)
	v_dual_mul_f32 v46, v28, v46 :: v_dual_and_b32 v45, 0xffff0000, v45
	v_mul_f32_e32 v48, v28, v48
	s_delay_alu instid0(VALU_DEP_3) | instskip(NEXT) | instid1(VALU_DEP_3)
	v_bfe_u32 v51, v13, 16, 1
	v_dual_add_f32 v14, v14, v45 :: v_dual_lshlrev_b32 v45, 16, v42
	s_delay_alu instid0(VALU_DEP_3) | instskip(SKIP_2) | instid1(VALU_DEP_4)
	v_bfe_u32 v44, v48, 16, 1
	v_bfe_u32 v49, v46, 16, 1
	v_alignbit_b32 v42, v43, v42, 16
	v_dual_mul_f32 v14, v28, v14 :: v_dual_and_b32 v43, 0xffff0000, v43
	s_delay_alu instid0(VALU_DEP_4) | instskip(NEXT) | instid1(VALU_DEP_4)
	v_add3_u32 v44, v48, v44, 0x7fff
	v_add3_u32 v49, v46, v49, 0x7fff
	v_cmp_o_f32_e32 vcc_lo, v48, v48
	s_delay_alu instid0(VALU_DEP_4)
	v_bfe_u32 v50, v14, 16, 1
	v_and_b32_e32 v42, 0xffff0000, v42
	v_and_b32_e32 v44, 0xffff0000, v44
	;; [unrolled: 1-line block ×3, first 2 shown]
	v_add3_u32 v51, v13, v51, 0x7fff
	v_add3_u32 v50, v14, v50, 0x7fff
	s_delay_alu instid0(VALU_DEP_4) | instskip(SKIP_1) | instid1(VALU_DEP_4)
	v_cndmask_b32_e32 v44, 0x7fc00000, v44, vcc_lo
	v_cmp_o_f32_e32 vcc_lo, v46, v46
	v_and_b32_e32 v48, 0xffff0000, v51
	s_delay_alu instid0(VALU_DEP_4) | instskip(SKIP_2) | instid1(VALU_DEP_3)
	v_and_b32_e32 v50, 0xffff0000, v50
	v_cndmask_b32_e32 v46, 0x7fc00000, v49, vcc_lo
	v_cmp_o_f32_e32 vcc_lo, v14, v14
	v_cndmask_b32_e32 v14, 0x7fc00000, v50, vcc_lo
	v_cmp_o_f32_e32 vcc_lo, v13, v13
	s_delay_alu instid0(VALU_DEP_4) | instskip(NEXT) | instid1(VALU_DEP_3)
	v_dual_mul_f32 v44, v44, v45 :: v_dual_mul_f32 v45, v46, v47
	v_mul_f32_e32 v43, v14, v43
	v_cndmask_b32_e32 v13, 0x7fc00000, v48, vcc_lo
	s_delay_alu instid0(VALU_DEP_3) | instskip(NEXT) | instid1(VALU_DEP_4)
	v_bfe_u32 v14, v44, 16, 1
	v_bfe_u32 v46, v45, 16, 1
	v_cmp_o_f32_e32 vcc_lo, v44, v44
	s_delay_alu instid0(VALU_DEP_4) | instskip(NEXT) | instid1(VALU_DEP_4)
	v_mul_f32_e32 v42, v13, v42
	v_add3_u32 v14, v44, v14, 0x7fff
	v_bfe_u32 v13, v43, 16, 1
	v_add3_u32 v46, v45, v46, 0x7fff
	s_delay_alu instid0(VALU_DEP_4) | instskip(NEXT) | instid1(VALU_DEP_4)
	v_bfe_u32 v47, v42, 16, 1
	v_and_b32_e32 v14, 0xffff0000, v14
	s_delay_alu instid0(VALU_DEP_4) | instskip(NEXT) | instid1(VALU_DEP_4)
	v_add3_u32 v13, v43, v13, 0x7fff
	v_and_b32_e32 v46, 0xffff0000, v46
	s_delay_alu instid0(VALU_DEP_4) | instskip(NEXT) | instid1(VALU_DEP_4)
	v_add3_u32 v47, v42, v47, 0x7fff
	v_cndmask_b32_e64 v44, 0x7fc00000, |v14|, vcc_lo
	v_cmp_o_f32_e32 vcc_lo, v45, v45
	v_and_b32_e32 v48, 0xffff0000, v13
	v_cndmask_b32_e64 v45, 0x7fc00000, |v46|, vcc_lo
	v_add_co_u32 v13, vcc_lo, s3, v15
	v_add_co_ci_u32_e32 v14, vcc_lo, s37, v16, vcc_lo
	v_cmp_o_f32_e32 vcc_lo, v43, v43
	v_and_b32_e32 v15, 0xffff0000, v47
	v_max3_f32 v4, v4, v44, v45
	v_add_co_u32 v40, s3, v40, s24
	v_cndmask_b32_e64 v16, 0x7fc00000, |v48|, vcc_lo
	v_cmp_o_f32_e32 vcc_lo, v42, v42
	v_add_co_ci_u32_e64 v41, s3, s25, v41, s3
	v_cndmask_b32_e64 v15, 0x7fc00000, |v15|, vcc_lo
	v_add_co_u32 v38, vcc_lo, v38, s24
	v_add_co_ci_u32_e32 v39, vcc_lo, s25, v39, vcc_lo
	v_cmp_ge_i64_e32 vcc_lo, v[13:14], v[9:10]
	s_delay_alu instid0(VALU_DEP_4)
	v_max3_f32 v4, v4, v15, v16
	s_or_not1_b32 s3, vcc_lo, exec_lo
	s_branch .LBB82_18
.LBB82_25:
	s_or_b32 exec_lo, exec_lo, s27
.LBB82_26:
	s_delay_alu instid0(SALU_CYCLE_1)
	s_or_b32 exec_lo, exec_lo, s13
	s_lshr_b32 s13, s34, 5
	s_ashr_i32 s17, s16, 31
	v_cvt_f32_u32_e32 v9, s13
	s_sub_i32 s8, 0, s13
	s_add_i32 s9, s16, s13
	v_lshlrev_b32_e32 v29, 2, v0
	s_add_i32 s9, s9, -1
	v_rcp_iflag_f32_e32 v9, v9
	s_abs_i32 s24, s9
	s_ashr_i32 s9, s9, 31
	ds_store_b32 v29, v4
	s_waitcnt lgkmcnt(0)
	s_barrier
	buffer_gl0_inv
	v_mul_f32_e32 v9, 0x4f7ffffe, v9
	s_delay_alu instid0(VALU_DEP_1) | instskip(NEXT) | instid1(VALU_DEP_1)
	v_cvt_u32_f32_e32 v9, v9
	v_readfirstlane_b32 s3, v9
	s_delay_alu instid0(VALU_DEP_1) | instskip(NEXT) | instid1(SALU_CYCLE_1)
	s_mul_i32 s8, s8, s3
	s_mul_hi_u32 s8, s3, s8
	s_delay_alu instid0(SALU_CYCLE_1) | instskip(NEXT) | instid1(SALU_CYCLE_1)
	s_add_i32 s3, s3, s8
	s_mul_hi_u32 s3, s24, s3
	s_delay_alu instid0(SALU_CYCLE_1) | instskip(NEXT) | instid1(SALU_CYCLE_1)
	s_mul_i32 s8, s3, s13
	s_sub_i32 s8, s24, s8
	s_add_i32 s24, s3, 1
	s_sub_i32 s25, s8, s13
	s_cmp_ge_u32 s8, s13
	s_cselect_b32 s3, s24, s3
	s_cselect_b32 s8, s25, s8
	s_add_i32 s24, s3, 1
	s_cmp_ge_u32 s8, s13
	s_cselect_b32 s3, s24, s3
	s_delay_alu instid0(SALU_CYCLE_1) | instskip(NEXT) | instid1(SALU_CYCLE_1)
	s_xor_b32 s3, s3, s9
	s_sub_i32 s8, s3, s9
	s_delay_alu instid0(SALU_CYCLE_1) | instskip(NEXT) | instid1(SALU_CYCLE_1)
	s_ashr_i32 s9, s8, 31
	v_cmp_lt_i64_e64 s3, s[8:9], 1
	s_delay_alu instid0(VALU_DEP_1)
	s_and_b32 vcc_lo, exec_lo, s3
	s_cbranch_vccnz .LBB82_46
; %bb.27:
	v_lshrrev_b32_e32 v9, 5, v0
	v_and_b32_e32 v4, 31, v0
	s_mov_b64 s[24:25], 0
	s_mov_b64 s[26:27], src_shared_base
	s_delay_alu instid0(VALU_DEP_2) | instskip(NEXT) | instid1(VALU_DEP_2)
	v_mul_lo_u32 v19, s22, v9
	v_add_co_u32 v11, s3, v4, 16
	s_delay_alu instid0(VALU_DEP_1) | instskip(SKIP_1) | instid1(VALU_DEP_1)
	v_add_co_ci_u32_e64 v12, null, 0, 0, s3
	v_add_co_u32 v13, s3, v4, 8
	v_add_co_ci_u32_e64 v14, null, 0, 0, s3
	v_add_co_u32 v15, s3, v4, 4
	v_dual_mov_b32 v10, 0 :: v_dual_lshlrev_b32 v21, 2, v19
	v_lshlrev_b32_e32 v22, 2, v4
	v_add_co_ci_u32_e64 v16, null, 0, 0, s3
	v_add_co_u32 v17, s3, v4, 2
	s_delay_alu instid0(VALU_DEP_1) | instskip(SKIP_1) | instid1(VALU_DEP_1)
	v_add_co_ci_u32_e64 v18, null, 0, 0, s3
	v_add_co_u32 v19, s3, v4, 1
	v_add_co_ci_u32_e64 v20, null, 0, 0, s3
	v_add3_u32 v30, v21, v22, 0x80
	s_mul_i32 s3, s22, s13
	s_delay_alu instid0(SALU_CYCLE_1)
	s_lshl_b32 s28, s3, 2
	s_branch .LBB82_30
.LBB82_28:                              ;   in Loop: Header=BB82_30 Depth=1
	s_or_b32 exec_lo, exec_lo, s3
	v_mov_b32_e32 v22, s27
	flat_load_b32 v21, v[21:22] glc dlc
	s_waitcnt vmcnt(0)
.LBB82_29:                              ;   in Loop: Header=BB82_30 Depth=1
	s_or_b32 exec_lo, exec_lo, s26
	s_add_u32 s24, s24, 1
	v_add_nc_u32_e32 v30, s28, v30
	s_addc_u32 s25, s25, 0
	s_delay_alu instid0(SALU_CYCLE_1)
	s_cmp_eq_u64 s[24:25], s[8:9]
	s_cbranch_scc1 .LBB82_46
.LBB82_30:                              ; =>This Loop Header: Depth=1
                                        ;     Child Loop BB82_33 Depth 2
	s_waitcnt lgkmcnt(0)
	v_mad_u64_u32 v[21:22], null, s24, s13, v[9:10]
	s_mov_b32 s26, exec_lo
	s_delay_alu instid0(VALU_DEP_1) | instskip(NEXT) | instid1(VALU_DEP_1)
	v_mad_u64_u32 v[23:24], null, s25, s13, v[22:23]
	v_mov_b32_e32 v22, v23
	s_delay_alu instid0(VALU_DEP_1)
	v_cmpx_gt_i64_e64 s[16:17], v[21:22]
	s_cbranch_execz .LBB82_29
; %bb.31:                               ;   in Loop: Header=BB82_30 Depth=1
	v_mul_lo_u32 v24, v22, s22
	v_mul_lo_u32 v25, v21, s23
	v_mad_u64_u32 v[22:23], null, v21, s22, 0
	s_delay_alu instid0(VALU_DEP_1) | instskip(NEXT) | instid1(VALU_DEP_2)
	v_add3_u32 v23, v23, v25, v24
	v_add_co_u32 v24, vcc_lo, v22, s22
	v_add_co_u32 v31, s3, v22, v4
	s_delay_alu instid0(VALU_DEP_3) | instskip(SKIP_2) | instid1(VALU_DEP_2)
	v_add_co_ci_u32_e32 v25, vcc_lo, s23, v23, vcc_lo
	v_add_co_ci_u32_e64 v21, s3, 0, v23, s3
	s_mov_b32 s3, exec_lo
	v_cmp_gt_i64_e32 vcc_lo, s[20:21], v[24:25]
	v_cndmask_b32_e32 v25, s21, v25, vcc_lo
	v_cndmask_b32_e32 v24, s20, v24, vcc_lo
	v_add_co_u32 v26, vcc_lo, v31, 32
	v_add_co_ci_u32_e32 v27, vcc_lo, 0, v21, vcc_lo
	v_lshlrev_b32_e32 v21, 2, v31
	s_delay_alu instid0(VALU_DEP_2)
	v_cmpx_lt_i64_e64 v[26:27], v[24:25]
	s_cbranch_execz .LBB82_34
; %bb.32:                               ;   in Loop: Header=BB82_30 Depth=1
	ds_load_b32 v33, v21
	v_mov_b32_e32 v32, v30
	s_mov_b32 s29, 0
.LBB82_33:                              ;   Parent Loop BB82_30 Depth=1
                                        ; =>  This Inner Loop Header: Depth=2
	ds_load_b32 v34, v32
	v_add_co_u32 v26, vcc_lo, v26, 32
	v_add_co_ci_u32_e32 v27, vcc_lo, 0, v27, vcc_lo
	s_waitcnt lgkmcnt(1)
	v_dual_max_f32 v33, v33, v33 :: v_dual_add_nc_u32 v32, 0x80, v32
	s_delay_alu instid0(VALU_DEP_2) | instskip(SKIP_3) | instid1(VALU_DEP_1)
	v_cmp_ge_i64_e32 vcc_lo, v[26:27], v[24:25]
	s_or_b32 s29, vcc_lo, s29
	s_waitcnt lgkmcnt(0)
	v_max_f32_e32 v34, v34, v34
	v_max_f32_e32 v33, v33, v34
	ds_store_b32 v21, v33
	s_and_not1_b32 exec_lo, exec_lo, s29
	s_cbranch_execnz .LBB82_33
.LBB82_34:                              ;   in Loop: Header=BB82_30 Depth=1
	s_or_b32 exec_lo, exec_lo, s3
	v_sub_co_u32 v22, vcc_lo, v24, v22
	v_sub_co_ci_u32_e32 v23, vcc_lo, v25, v23, vcc_lo
	s_mov_b32 s3, exec_lo
	s_delay_alu instid0(VALU_DEP_1) | instskip(SKIP_1) | instid1(VALU_DEP_1)
	v_cmp_gt_i64_e32 vcc_lo, 32, v[22:23]
	v_dual_cndmask_b32 v24, 0, v23 :: v_dual_cndmask_b32 v23, 32, v22
	v_cmpx_lt_i64_e64 v[11:12], v[23:24]
	s_cbranch_execz .LBB82_36
; %bb.35:                               ;   in Loop: Header=BB82_30 Depth=1
	v_dual_mov_b32 v22, s27 :: v_dual_add_nc_u32 v25, 64, v21
	v_mov_b32_e32 v26, s27
	flat_load_b32 v27, v[21:22] glc dlc
	s_waitcnt vmcnt(0)
	flat_load_b32 v25, v[25:26] glc dlc
	s_waitcnt vmcnt(0) lgkmcnt(0)
	v_dual_max_f32 v26, v27, v27 :: v_dual_max_f32 v25, v25, v25
	s_delay_alu instid0(VALU_DEP_1)
	v_max_f32_e32 v25, v26, v25
	flat_store_b32 v[21:22], v25 dlc
	s_waitcnt_vscnt null, 0x0
.LBB82_36:                              ;   in Loop: Header=BB82_30 Depth=1
	s_or_b32 exec_lo, exec_lo, s3
	s_delay_alu instid0(SALU_CYCLE_1)
	s_mov_b32 s3, exec_lo
	v_cmpx_lt_i64_e64 v[13:14], v[23:24]
	s_cbranch_execz .LBB82_38
; %bb.37:                               ;   in Loop: Header=BB82_30 Depth=1
	v_dual_mov_b32 v22, s27 :: v_dual_add_nc_u32 v25, 32, v21
	v_mov_b32_e32 v26, s27
	flat_load_b32 v27, v[21:22] glc dlc
	s_waitcnt vmcnt(0)
	flat_load_b32 v25, v[25:26] glc dlc
	s_waitcnt vmcnt(0) lgkmcnt(0)
	v_dual_max_f32 v26, v27, v27 :: v_dual_max_f32 v25, v25, v25
	s_delay_alu instid0(VALU_DEP_1)
	v_max_f32_e32 v25, v26, v25
	flat_store_b32 v[21:22], v25 dlc
	s_waitcnt_vscnt null, 0x0
.LBB82_38:                              ;   in Loop: Header=BB82_30 Depth=1
	s_or_b32 exec_lo, exec_lo, s3
	s_delay_alu instid0(SALU_CYCLE_1)
	s_mov_b32 s3, exec_lo
	v_cmpx_ge_i64_e64 v[15:16], v[23:24]
	s_xor_b32 s3, exec_lo, s3
; %bb.39:                               ;   in Loop: Header=BB82_30 Depth=1
                                        ; implicit-def: $vgpr21
; %bb.40:                               ;   in Loop: Header=BB82_30 Depth=1
	s_delay_alu instid0(SALU_CYCLE_1)
	s_and_not1_saveexec_b32 s3, s3
	s_cbranch_execz .LBB82_42
; %bb.41:                               ;   in Loop: Header=BB82_30 Depth=1
	v_dual_mov_b32 v22, s27 :: v_dual_add_nc_u32 v25, 16, v21
	v_mov_b32_e32 v26, s27
	flat_load_b32 v27, v[21:22] glc dlc
	s_waitcnt vmcnt(0)
	flat_load_b32 v25, v[25:26] glc dlc
	s_waitcnt vmcnt(0) lgkmcnt(0)
	v_dual_max_f32 v26, v27, v27 :: v_dual_max_f32 v25, v25, v25
	s_delay_alu instid0(VALU_DEP_1)
	v_max_f32_e32 v25, v26, v25
	flat_store_b32 v[21:22], v25 dlc
	s_waitcnt_vscnt null, 0x0
.LBB82_42:                              ;   in Loop: Header=BB82_30 Depth=1
	s_or_b32 exec_lo, exec_lo, s3
	v_lshlrev_b32_e32 v21, 2, v31
	s_mov_b32 s3, exec_lo
	v_cmpx_lt_i64_e64 v[17:18], v[23:24]
	s_cbranch_execz .LBB82_44
; %bb.43:                               ;   in Loop: Header=BB82_30 Depth=1
	s_delay_alu instid0(VALU_DEP_2)
	v_dual_mov_b32 v22, s27 :: v_dual_add_nc_u32 v25, 8, v21
	v_mov_b32_e32 v26, s27
	flat_load_b32 v27, v[21:22] glc dlc
	s_waitcnt vmcnt(0)
	flat_load_b32 v25, v[25:26] glc dlc
	s_waitcnt vmcnt(0) lgkmcnt(0)
	v_dual_max_f32 v26, v27, v27 :: v_dual_max_f32 v25, v25, v25
	s_delay_alu instid0(VALU_DEP_1)
	v_max_f32_e32 v25, v26, v25
	flat_store_b32 v[21:22], v25 dlc
	s_waitcnt_vscnt null, 0x0
.LBB82_44:                              ;   in Loop: Header=BB82_30 Depth=1
	s_or_b32 exec_lo, exec_lo, s3
	s_delay_alu instid0(SALU_CYCLE_1)
	s_mov_b32 s3, exec_lo
	v_cmpx_lt_i64_e64 v[19:20], v[23:24]
	s_cbranch_execz .LBB82_28
; %bb.45:                               ;   in Loop: Header=BB82_30 Depth=1
	v_dual_mov_b32 v22, s27 :: v_dual_add_nc_u32 v23, 4, v21
	v_mov_b32_e32 v24, s27
	flat_load_b32 v25, v[21:22] glc dlc
	s_waitcnt vmcnt(0)
	flat_load_b32 v23, v[23:24] glc dlc
	s_waitcnt vmcnt(0) lgkmcnt(0)
	v_dual_max_f32 v24, v25, v25 :: v_dual_max_f32 v23, v23, v23
	s_delay_alu instid0(VALU_DEP_1)
	v_max_f32_e32 v23, v24, v23
	flat_store_b32 v[21:22], v23 dlc
	s_waitcnt_vscnt null, 0x0
	s_branch .LBB82_28
.LBB82_46:
	v_cmp_lt_i64_e32 vcc_lo, v[7:8], v[5:6]
	v_cmp_eq_u32_e64 s3, 0, v3
	s_mul_i32 s13, s17, s15
	s_mul_hi_u32 s17, s16, s15
	s_mul_i32 s8, s16, s15
	s_waitcnt lgkmcnt(0)
	s_and_b32 s9, s3, vcc_lo
	s_barrier
	buffer_gl0_inv
	s_and_saveexec_b32 s3, s9
	s_cbranch_execz .LBB82_50
; %bb.47:
	s_load_b64 s[0:1], s[0:1], 0x20
	ds_load_b32 v3, v29
	s_waitcnt lgkmcnt(0)
	s_cmp_eq_u64 s[0:1], 0
	s_cbranch_scc1 .LBB82_49
; %bb.48:
	s_load_b32 s0, s[0:1], 0x0
	v_max_f32_e32 v3, v3, v3
	s_waitcnt lgkmcnt(0)
	v_max_f32_e64 v4, s0, s0
	s_delay_alu instid0(VALU_DEP_1)
	v_min_f32_e32 v3, v3, v4
.LBB82_49:
	s_delay_alu instid0(VALU_DEP_1) | instskip(SKIP_2) | instid1(VALU_DEP_2)
	v_div_scale_f32 v4, null, 0x43600000, 0x43600000, v3
	v_div_scale_f32 v7, vcc_lo, v3, 0x43600000, v3
	s_add_i32 s9, s17, s13
	v_rcp_f32_e32 v5, v4
	v_lshlrev_b64 v[1:2], 2, v[1:2]
	s_lshl_b64 s[0:1], s[8:9], 2
	s_delay_alu instid0(SALU_CYCLE_1) | instskip(SKIP_3) | instid1(VALU_DEP_1)
	s_add_u32 s0, s6, s0
	s_addc_u32 s1, s7, s1
	s_waitcnt_depctr 0xfff
	v_fma_f32 v6, -v4, v5, 1.0
	v_fmac_f32_e32 v5, v6, v5
	s_delay_alu instid0(VALU_DEP_1) | instskip(NEXT) | instid1(VALU_DEP_1)
	v_mul_f32_e32 v6, v7, v5
	v_fma_f32 v8, -v4, v6, v7
	s_delay_alu instid0(VALU_DEP_1) | instskip(NEXT) | instid1(VALU_DEP_1)
	v_fmac_f32_e32 v6, v8, v5
	v_fma_f32 v4, -v4, v6, v7
	s_delay_alu instid0(VALU_DEP_1) | instskip(SKIP_2) | instid1(VALU_DEP_3)
	v_div_fmas_f32 v4, v4, v5, v6
	v_add_co_u32 v1, vcc_lo, s0, v1
	v_add_co_ci_u32_e32 v2, vcc_lo, s1, v2, vcc_lo
	v_div_fixup_f32 v3, v4, 0x43600000, v3
	s_delay_alu instid0(VALU_DEP_1)
	v_max_f32_e32 v3, 0x37124925, v3
	global_store_b32 v[1:2], v3, off
.LBB82_50:
	s_or_b32 exec_lo, exec_lo, s3
	s_waitcnt_vscnt null, 0x0
	s_barrier
	buffer_gl0_inv
	s_and_saveexec_b32 s0, s2
	s_cbranch_execz .LBB82_187
; %bb.51:
	s_add_u32 s2, s4, s18
	s_addc_u32 s3, s5, s19
	s_add_i32 s9, s17, s13
	v_mov_b32_e32 v1, 0
	s_lshl_b64 s[0:1], s[8:9], 2
	s_mul_i32 s4, s34, 3
	s_add_u32 s0, s6, s0
	s_addc_u32 s1, s7, s1
	s_lshl_b32 s5, s34, 1
	s_mov_b32 s6, 0
	s_mov_b32 s7, 0x43600000
	s_branch .LBB82_57
.LBB82_52:                              ;   in Loop: Header=BB82_57 Depth=1
	s_or_b32 exec_lo, exec_lo, s17
.LBB82_53:                              ;   in Loop: Header=BB82_57 Depth=1
	s_delay_alu instid0(SALU_CYCLE_1)
	s_or_b32 exec_lo, exec_lo, s15
	v_lshlrev_b64 v[4:5], 2, v[0:1]
	v_lshlrev_b32_e32 v8, 16, v9
	v_lshlrev_b32_e32 v7, 8, v7
	s_add_i32 s15, s34, s34
	v_and_b32_e32 v6, 0xff, v6
	v_add3_u32 v0, s15, s34, v2
	v_perm_b32 v8, v3, v8, 0x4020c0c
	v_and_b32_e32 v7, 0xff00, v7
	v_add_co_u32 v2, vcc_lo, s2, v4
	v_add_co_ci_u32_e32 v3, vcc_lo, s3, v5, vcc_lo
	v_cmp_le_u32_e32 vcc_lo, s12, v0
	s_delay_alu instid0(VALU_DEP_4)
	v_or3_b32 v4, v8, v7, v6
	s_or_not1_b32 s15, vcc_lo, exec_lo
	global_store_b32 v[2:3], v4, off
.LBB82_54:                              ;   in Loop: Header=BB82_57 Depth=1
	s_or_b32 exec_lo, exec_lo, s13
	s_delay_alu instid0(SALU_CYCLE_1)
	s_or_not1_b32 s13, s15, exec_lo
.LBB82_55:                              ;   in Loop: Header=BB82_57 Depth=1
	s_or_b32 exec_lo, exec_lo, s9
	s_delay_alu instid0(SALU_CYCLE_1)
	s_or_not1_b32 s9, s13, exec_lo
.LBB82_56:                              ;   in Loop: Header=BB82_57 Depth=1
	s_or_b32 exec_lo, exec_lo, s8
	s_delay_alu instid0(SALU_CYCLE_1) | instskip(NEXT) | instid1(SALU_CYCLE_1)
	s_and_b32 s8, exec_lo, s9
	s_or_b32 s6, s8, s6
	s_delay_alu instid0(SALU_CYCLE_1)
	s_and_not1_b32 exec_lo, exec_lo, s6
	s_cbranch_execz .LBB82_187
.LBB82_57:                              ; =>This Inner Loop Header: Depth=1
	v_lshlrev_b64 v[2:3], 3, v[0:1]
	s_mov_b32 s8, exec_lo
	s_delay_alu instid0(VALU_DEP_1) | instskip(NEXT) | instid1(VALU_DEP_2)
	v_add_co_u32 v4, vcc_lo, s14, v2
	v_add_co_ci_u32_e32 v5, vcc_lo, s30, v3, vcc_lo
	v_add_co_u32 v12, vcc_lo, s31, v2
	v_add_co_ci_u32_e32 v13, vcc_lo, s33, v3, vcc_lo
	;; [unrolled: 2-line block ×3, first 2 shown]
	global_load_b64 v[5:6], v[4:5], off
	global_load_b64 v[7:8], v[12:13], off
	v_lshrrev_b32_e32 v4, 2, v0
	global_load_b64 v[2:3], v[2:3], off
	s_waitcnt vmcnt(2)
	v_lshlrev_b32_e32 v9, 16, v5
	s_waitcnt vmcnt(0)
	v_lshlrev_b32_e32 v14, 16, v2
	v_lshlrev_b32_e32 v10, 16, v7
	s_delay_alu instid0(VALU_DEP_1) | instskip(NEXT) | instid1(VALU_DEP_1)
	v_add_f32_e32 v10, v9, v10
	v_dual_mul_f32 v9, v28, v10 :: v_dual_and_b32 v4, 0xffffffc, v4
	global_load_b32 v4, v4, s[0:1]
	v_bfe_u32 v11, v9, 16, 1
	v_cmp_o_f32_e32 vcc_lo, v9, v9
	s_delay_alu instid0(VALU_DEP_2) | instskip(NEXT) | instid1(VALU_DEP_1)
	v_add3_u32 v11, v9, v11, 0x7fff
	v_and_b32_e32 v11, 0xffff0000, v11
	s_delay_alu instid0(VALU_DEP_1) | instskip(NEXT) | instid1(VALU_DEP_1)
	v_cndmask_b32_e32 v9, 0x7fc00000, v11, vcc_lo
	v_mul_f32_e32 v9, v9, v14
	s_delay_alu instid0(VALU_DEP_1) | instskip(SKIP_1) | instid1(VALU_DEP_2)
	v_bfe_u32 v11, v9, 16, 1
	v_cmp_o_f32_e32 vcc_lo, v9, v9
	v_add3_u32 v11, v9, v11, 0x7fff
	s_delay_alu instid0(VALU_DEP_1) | instskip(NEXT) | instid1(VALU_DEP_1)
	v_and_b32_e32 v11, 0xffff0000, v11
	v_cndmask_b32_e32 v11, 0x7fc00000, v11, vcc_lo
	s_waitcnt vmcnt(0)
	s_delay_alu instid0(VALU_DEP_1) | instskip(SKIP_1) | instid1(VALU_DEP_2)
	v_div_scale_f32 v14, null, v4, v4, v11
	v_div_scale_f32 v17, vcc_lo, v11, v4, v11
	v_rcp_f32_e32 v15, v14
	s_waitcnt_depctr 0xfff
	v_fma_f32 v9, -v14, v15, 1.0
	v_and_b32_e32 v16, 0xffff0000, v5
	v_alignbit_b32 v5, v6, v5, 16
	s_delay_alu instid0(VALU_DEP_3) | instskip(SKIP_4) | instid1(VALU_DEP_4)
	v_fmac_f32_e32 v15, v9, v15
	v_alignbit_b32 v9, v8, v7, 16
	v_and_b32_e32 v7, 0xffff0000, v7
	v_and_b32_e32 v6, 0xffff0000, v6
	;; [unrolled: 1-line block ×3, first 2 shown]
	v_dual_mul_f32 v18, v17, v15 :: v_dual_and_b32 v19, 0xffff0000, v9
	s_delay_alu instid0(VALU_DEP_4) | instskip(NEXT) | instid1(VALU_DEP_2)
	v_add_f32_e32 v9, v16, v7
	v_fma_f32 v16, -v14, v18, v17
	s_delay_alu instid0(VALU_DEP_1) | instskip(NEXT) | instid1(VALU_DEP_1)
	v_dual_fmac_f32 v18, v16, v15 :: v_dual_and_b32 v5, 0xffff0000, v5
	v_dual_add_f32 v7, v6, v8 :: v_dual_add_f32 v8, v5, v19
	s_delay_alu instid0(VALU_DEP_4) | instskip(SKIP_1) | instid1(VALU_DEP_4)
	v_bfe_u32 v6, v9, 16, 1
	v_bfe_u32 v5, v10, 16, 1
	v_fma_f32 v14, -v14, v18, v17
	s_delay_alu instid0(VALU_DEP_4)
	v_bfe_u32 v16, v7, 16, 1
	v_bfe_u32 v19, v8, 16, 1
	v_add3_u32 v6, v9, v6, 0x7fff
	v_add3_u32 v5, v10, v5, 0x7fff
	v_div_fmas_f32 v14, v14, v15, v18
	v_cmp_o_f32_e32 vcc_lo, v9, v9
	v_add3_u32 v16, v7, v16, 0x7fff
	v_and_b32_e32 v6, 0xffff0000, v6
	v_lshrrev_b32_e32 v5, 16, v5
	v_add3_u32 v17, v8, v19, 0x7fff
	v_div_fixup_f32 v11, v14, v4, v11
	v_and_b32_e32 v15, 0xffff0000, v16
	v_cndmask_b32_e32 v6, 0x7fc00000, v6, vcc_lo
	v_cmp_o_f32_e32 vcc_lo, v10, v10
	v_lshrrev_b32_e32 v16, 16, v17
	v_minmax_f32 v10, v11, s7, 0xc3600000
	v_cndmask_b32_e32 v5, 0x7fc0, v5, vcc_lo
	v_cmp_o_f32_e32 vcc_lo, v7, v7
	s_delay_alu instid0(VALU_DEP_3) | instskip(NEXT) | instid1(VALU_DEP_3)
	v_and_b32_e32 v11, 0x7fffffff, v10
	v_or_b32_e32 v6, v5, v6
	v_cndmask_b32_e32 v14, 0x7fc00000, v15, vcc_lo
	v_cmp_o_f32_e32 vcc_lo, v8, v8
	v_mov_b32_e32 v5, 0x80
	v_cndmask_b32_e32 v15, 0x7fc0, v16, vcc_lo
	s_delay_alu instid0(VALU_DEP_1)
	v_or3_b32 v15, 0, v15, v14
	v_or3_b32 v14, v6, 0, 0
	v_mov_b32_e32 v6, 0x80
	global_store_b64 v[12:13], v[14:15], off
	v_cmpx_gt_u32_e32 0x43800000, v11
	s_cbranch_execz .LBB82_63
; %bb.58:                               ;   in Loop: Header=BB82_57 Depth=1
	v_cmp_lt_u32_e32 vcc_lo, 0x3bffffff, v11
	s_mov_b32 s9, 0
                                        ; implicit-def: $vgpr11
	s_and_saveexec_b32 s13, vcc_lo
	s_delay_alu instid0(SALU_CYCLE_1)
	s_xor_b32 s13, exec_lo, s13
	s_cbranch_execnz .LBB82_154
; %bb.59:                               ;   in Loop: Header=BB82_57 Depth=1
	s_or_saveexec_b32 s13, s13
                                        ; implicit-def: $sgpr15
	s_delay_alu instid0(SALU_CYCLE_1)
	s_xor_b32 exec_lo, exec_lo, s13
	s_cbranch_execnz .LBB82_155
.LBB82_60:                              ;   in Loop: Header=BB82_57 Depth=1
	s_or_b32 exec_lo, exec_lo, s13
	v_mov_b32_e32 v6, s15
	s_and_saveexec_b32 s13, s9
.LBB82_61:                              ;   in Loop: Header=BB82_57 Depth=1
	v_lshrrev_b32_e32 v6, 24, v10
	s_delay_alu instid0(VALU_DEP_1)
	v_and_or_b32 v6, 0x80, v6, v11
.LBB82_62:                              ;   in Loop: Header=BB82_57 Depth=1
	s_or_b32 exec_lo, exec_lo, s13
.LBB82_63:                              ;   in Loop: Header=BB82_57 Depth=1
	s_delay_alu instid0(SALU_CYCLE_1) | instskip(SKIP_3) | instid1(VALU_DEP_2)
	s_or_b32 exec_lo, exec_lo, s8
	v_mul_f32_e32 v9, v28, v9
	v_and_b32_e32 v11, 0xffff0000, v2
	s_mov_b32 s8, exec_lo
	v_bfe_u32 v10, v9, 16, 1
	s_delay_alu instid0(VALU_DEP_1) | instskip(NEXT) | instid1(VALU_DEP_1)
	v_add3_u32 v10, v9, v10, 0x7fff
	v_and_b32_e32 v10, 0xffff0000, v10
	v_cmp_o_f32_e32 vcc_lo, v9, v9
	s_delay_alu instid0(VALU_DEP_2) | instskip(NEXT) | instid1(VALU_DEP_1)
	v_cndmask_b32_e32 v9, 0x7fc00000, v10, vcc_lo
	v_mul_f32_e32 v9, v9, v11
	s_delay_alu instid0(VALU_DEP_1) | instskip(NEXT) | instid1(VALU_DEP_1)
	v_bfe_u32 v10, v9, 16, 1
	v_add3_u32 v10, v9, v10, 0x7fff
	s_delay_alu instid0(VALU_DEP_1) | instskip(SKIP_1) | instid1(VALU_DEP_2)
	v_and_b32_e32 v10, 0xffff0000, v10
	v_cmp_o_f32_e32 vcc_lo, v9, v9
	v_cndmask_b32_e32 v9, 0x7fc00000, v10, vcc_lo
	s_delay_alu instid0(VALU_DEP_1) | instskip(NEXT) | instid1(VALU_DEP_1)
	v_div_scale_f32 v10, null, v4, v4, v9
	v_rcp_f32_e32 v11, v10
	s_waitcnt_depctr 0xfff
	v_fma_f32 v12, -v10, v11, 1.0
	s_delay_alu instid0(VALU_DEP_1) | instskip(SKIP_1) | instid1(VALU_DEP_1)
	v_fmac_f32_e32 v11, v12, v11
	v_div_scale_f32 v12, vcc_lo, v9, v4, v9
	v_mul_f32_e32 v13, v12, v11
	s_delay_alu instid0(VALU_DEP_1) | instskip(NEXT) | instid1(VALU_DEP_1)
	v_fma_f32 v14, -v10, v13, v12
	v_fmac_f32_e32 v13, v14, v11
	s_delay_alu instid0(VALU_DEP_1) | instskip(NEXT) | instid1(VALU_DEP_1)
	v_fma_f32 v10, -v10, v13, v12
	v_div_fmas_f32 v10, v10, v11, v13
	s_delay_alu instid0(VALU_DEP_1) | instskip(NEXT) | instid1(VALU_DEP_1)
	v_div_fixup_f32 v9, v10, v4, v9
	v_minmax_f32 v9, v9, s7, 0xc3600000
	s_delay_alu instid0(VALU_DEP_1) | instskip(NEXT) | instid1(VALU_DEP_1)
	v_and_b32_e32 v10, 0x7fffffff, v9
	v_cmpx_gt_u32_e32 0x43800000, v10
	s_cbranch_execz .LBB82_69
; %bb.64:                               ;   in Loop: Header=BB82_57 Depth=1
	v_cmp_lt_u32_e32 vcc_lo, 0x3bffffff, v10
	s_mov_b32 s9, 0
                                        ; implicit-def: $vgpr10
	s_and_saveexec_b32 s13, vcc_lo
	s_delay_alu instid0(SALU_CYCLE_1)
	s_xor_b32 s13, exec_lo, s13
	s_cbranch_execnz .LBB82_156
; %bb.65:                               ;   in Loop: Header=BB82_57 Depth=1
	s_or_saveexec_b32 s13, s13
                                        ; implicit-def: $sgpr15
	s_delay_alu instid0(SALU_CYCLE_1)
	s_xor_b32 exec_lo, exec_lo, s13
	s_cbranch_execnz .LBB82_157
.LBB82_66:                              ;   in Loop: Header=BB82_57 Depth=1
	s_or_b32 exec_lo, exec_lo, s13
	v_mov_b32_e32 v5, s15
	s_and_saveexec_b32 s13, s9
.LBB82_67:                              ;   in Loop: Header=BB82_57 Depth=1
	v_lshrrev_b32_e32 v5, 24, v9
	s_delay_alu instid0(VALU_DEP_1)
	v_and_or_b32 v5, 0x80, v5, v10
.LBB82_68:                              ;   in Loop: Header=BB82_57 Depth=1
	s_or_b32 exec_lo, exec_lo, s13
.LBB82_69:                              ;   in Loop: Header=BB82_57 Depth=1
	s_delay_alu instid0(SALU_CYCLE_1) | instskip(SKIP_3) | instid1(VALU_DEP_2)
	s_or_b32 exec_lo, exec_lo, s8
	v_mul_f32_e32 v8, v28, v8
	v_alignbit_b32 v2, v3, v2, 16
	s_mov_b32 s8, exec_lo
	v_bfe_u32 v9, v8, 16, 1
	s_delay_alu instid0(VALU_DEP_2) | instskip(NEXT) | instid1(VALU_DEP_2)
	v_and_b32_e32 v2, 0xffff0000, v2
	v_add3_u32 v9, v8, v9, 0x7fff
	s_delay_alu instid0(VALU_DEP_1) | instskip(SKIP_1) | instid1(VALU_DEP_2)
	v_and_b32_e32 v9, 0xffff0000, v9
	v_cmp_o_f32_e32 vcc_lo, v8, v8
	v_cndmask_b32_e32 v8, 0x7fc00000, v9, vcc_lo
	s_delay_alu instid0(VALU_DEP_1) | instskip(NEXT) | instid1(VALU_DEP_1)
	v_mul_f32_e32 v2, v8, v2
	v_bfe_u32 v8, v2, 16, 1
	v_cmp_o_f32_e32 vcc_lo, v2, v2
	s_delay_alu instid0(VALU_DEP_2) | instskip(NEXT) | instid1(VALU_DEP_1)
	v_add3_u32 v8, v2, v8, 0x7fff
	v_and_b32_e32 v8, 0xffff0000, v8
	s_delay_alu instid0(VALU_DEP_1) | instskip(NEXT) | instid1(VALU_DEP_1)
	v_cndmask_b32_e32 v2, 0x7fc00000, v8, vcc_lo
	v_div_scale_f32 v8, null, v4, v4, v2
	v_div_scale_f32 v11, vcc_lo, v2, v4, v2
	s_delay_alu instid0(VALU_DEP_2) | instskip(SKIP_2) | instid1(VALU_DEP_1)
	v_rcp_f32_e32 v9, v8
	s_waitcnt_depctr 0xfff
	v_fma_f32 v10, -v8, v9, 1.0
	v_fmac_f32_e32 v9, v10, v9
	s_delay_alu instid0(VALU_DEP_1) | instskip(NEXT) | instid1(VALU_DEP_1)
	v_mul_f32_e32 v10, v11, v9
	v_fma_f32 v12, -v8, v10, v11
	s_delay_alu instid0(VALU_DEP_1) | instskip(NEXT) | instid1(VALU_DEP_1)
	v_fmac_f32_e32 v10, v12, v9
	v_fma_f32 v8, -v8, v10, v11
	s_delay_alu instid0(VALU_DEP_1) | instskip(NEXT) | instid1(VALU_DEP_1)
	v_div_fmas_f32 v8, v8, v9, v10
	v_div_fixup_f32 v2, v8, v4, v2
	v_mov_b32_e32 v8, 0x80
	s_delay_alu instid0(VALU_DEP_2) | instskip(SKIP_1) | instid1(VALU_DEP_2)
	v_minmax_f32 v9, v2, s7, 0xc3600000
	v_mov_b32_e32 v2, 0x80
	v_and_b32_e32 v10, 0x7fffffff, v9
	s_delay_alu instid0(VALU_DEP_1)
	v_cmpx_gt_u32_e32 0x43800000, v10
	s_cbranch_execz .LBB82_75
; %bb.70:                               ;   in Loop: Header=BB82_57 Depth=1
	v_cmp_lt_u32_e32 vcc_lo, 0x3bffffff, v10
	s_mov_b32 s9, 0
                                        ; implicit-def: $vgpr10
	s_and_saveexec_b32 s13, vcc_lo
	s_delay_alu instid0(SALU_CYCLE_1)
	s_xor_b32 s13, exec_lo, s13
	s_cbranch_execnz .LBB82_158
; %bb.71:                               ;   in Loop: Header=BB82_57 Depth=1
	s_or_saveexec_b32 s13, s13
                                        ; implicit-def: $sgpr15
	s_delay_alu instid0(SALU_CYCLE_1)
	s_xor_b32 exec_lo, exec_lo, s13
	s_cbranch_execnz .LBB82_159
.LBB82_72:                              ;   in Loop: Header=BB82_57 Depth=1
	s_or_b32 exec_lo, exec_lo, s13
	v_mov_b32_e32 v8, s15
	s_and_saveexec_b32 s13, s9
.LBB82_73:                              ;   in Loop: Header=BB82_57 Depth=1
	v_lshrrev_b32_e32 v8, 24, v9
	s_delay_alu instid0(VALU_DEP_1)
	v_and_or_b32 v8, 0x80, v8, v10
.LBB82_74:                              ;   in Loop: Header=BB82_57 Depth=1
	s_or_b32 exec_lo, exec_lo, s13
.LBB82_75:                              ;   in Loop: Header=BB82_57 Depth=1
	s_delay_alu instid0(SALU_CYCLE_1) | instskip(SKIP_3) | instid1(VALU_DEP_2)
	s_or_b32 exec_lo, exec_lo, s8
	v_mul_f32_e32 v7, v28, v7
	v_and_b32_e32 v3, 0xffff0000, v3
	s_mov_b32 s8, exec_lo
	v_bfe_u32 v9, v7, 16, 1
	v_cmp_o_f32_e32 vcc_lo, v7, v7
	s_delay_alu instid0(VALU_DEP_2) | instskip(NEXT) | instid1(VALU_DEP_1)
	v_add3_u32 v9, v7, v9, 0x7fff
	v_and_b32_e32 v9, 0xffff0000, v9
	s_delay_alu instid0(VALU_DEP_1) | instskip(NEXT) | instid1(VALU_DEP_1)
	v_cndmask_b32_e32 v7, 0x7fc00000, v9, vcc_lo
	v_mul_f32_e32 v3, v7, v3
	s_delay_alu instid0(VALU_DEP_1) | instskip(SKIP_1) | instid1(VALU_DEP_2)
	v_bfe_u32 v7, v3, 16, 1
	v_cmp_o_f32_e32 vcc_lo, v3, v3
	v_add3_u32 v7, v3, v7, 0x7fff
	s_delay_alu instid0(VALU_DEP_1) | instskip(NEXT) | instid1(VALU_DEP_1)
	v_and_b32_e32 v7, 0xffff0000, v7
	v_cndmask_b32_e32 v3, 0x7fc00000, v7, vcc_lo
	s_delay_alu instid0(VALU_DEP_1) | instskip(NEXT) | instid1(VALU_DEP_1)
	v_div_scale_f32 v7, null, v4, v4, v3
	v_rcp_f32_e32 v9, v7
	s_waitcnt_depctr 0xfff
	v_fma_f32 v10, -v7, v9, 1.0
	s_delay_alu instid0(VALU_DEP_1) | instskip(SKIP_1) | instid1(VALU_DEP_1)
	v_fmac_f32_e32 v9, v10, v9
	v_div_scale_f32 v10, vcc_lo, v3, v4, v3
	v_mul_f32_e32 v11, v10, v9
	s_delay_alu instid0(VALU_DEP_1) | instskip(NEXT) | instid1(VALU_DEP_1)
	v_fma_f32 v12, -v7, v11, v10
	v_fmac_f32_e32 v11, v12, v9
	s_delay_alu instid0(VALU_DEP_1) | instskip(NEXT) | instid1(VALU_DEP_1)
	v_fma_f32 v7, -v7, v11, v10
	v_div_fmas_f32 v7, v7, v9, v11
	s_delay_alu instid0(VALU_DEP_1) | instskip(NEXT) | instid1(VALU_DEP_1)
	v_div_fixup_f32 v3, v7, v4, v3
	v_minmax_f32 v3, v3, s7, 0xc3600000
	s_delay_alu instid0(VALU_DEP_1) | instskip(NEXT) | instid1(VALU_DEP_1)
	v_and_b32_e32 v4, 0x7fffffff, v3
	v_cmpx_gt_u32_e32 0x43800000, v4
	s_cbranch_execz .LBB82_81
; %bb.76:                               ;   in Loop: Header=BB82_57 Depth=1
	v_cmp_lt_u32_e32 vcc_lo, 0x3bffffff, v4
	s_mov_b32 s9, 0
                                        ; implicit-def: $vgpr4
	s_and_saveexec_b32 s13, vcc_lo
	s_delay_alu instid0(SALU_CYCLE_1)
	s_xor_b32 s13, exec_lo, s13
	s_cbranch_execnz .LBB82_160
; %bb.77:                               ;   in Loop: Header=BB82_57 Depth=1
	s_or_saveexec_b32 s13, s13
                                        ; implicit-def: $sgpr15
	s_delay_alu instid0(SALU_CYCLE_1)
	s_xor_b32 exec_lo, exec_lo, s13
	s_cbranch_execnz .LBB82_161
.LBB82_78:                              ;   in Loop: Header=BB82_57 Depth=1
	s_or_b32 exec_lo, exec_lo, s13
	v_mov_b32_e32 v2, s15
	s_and_saveexec_b32 s13, s9
.LBB82_79:                              ;   in Loop: Header=BB82_57 Depth=1
	v_lshrrev_b32_e32 v2, 24, v3
	s_delay_alu instid0(VALU_DEP_1)
	v_and_or_b32 v2, 0x80, v2, v4
.LBB82_80:                              ;   in Loop: Header=BB82_57 Depth=1
	s_or_b32 exec_lo, exec_lo, s13
.LBB82_81:                              ;   in Loop: Header=BB82_57 Depth=1
	s_delay_alu instid0(SALU_CYCLE_1)
	s_or_b32 exec_lo, exec_lo, s8
	v_lshlrev_b32_e32 v7, 16, v8
	v_lshlrev_b32_e32 v5, 8, v5
	v_lshlrev_b64 v[3:4], 2, v[0:1]
	v_and_b32_e32 v6, 0xff, v6
	s_mov_b32 s9, -1
	v_perm_b32 v7, v2, v7, 0x4020c0c
	v_and_b32_e32 v5, 0xff00, v5
	v_add_nc_u32_e32 v2, s34, v0
	v_add_co_u32 v3, vcc_lo, s2, v3
	v_add_co_ci_u32_e32 v4, vcc_lo, s3, v4, vcc_lo
	s_delay_alu instid0(VALU_DEP_4)
	v_or3_b32 v5, v7, v5, v6
	s_mov_b32 s8, exec_lo
	global_store_b32 v[3:4], v5, off
	v_cmpx_gt_u32_e64 s12, v2
	s_cbranch_execz .LBB82_56
; %bb.82:                               ;   in Loop: Header=BB82_57 Depth=1
	v_mov_b32_e32 v3, v1
	s_mov_b32 s9, exec_lo
	s_delay_alu instid0(VALU_DEP_1) | instskip(NEXT) | instid1(VALU_DEP_1)
	v_lshlrev_b64 v[4:5], 3, v[2:3]
	v_add_co_u32 v6, vcc_lo, s14, v4
	s_delay_alu instid0(VALU_DEP_2)
	v_add_co_ci_u32_e32 v7, vcc_lo, s30, v5, vcc_lo
	v_add_co_u32 v14, vcc_lo, s31, v4
	v_add_co_ci_u32_e32 v15, vcc_lo, s33, v5, vcc_lo
	v_add_co_u32 v4, vcc_lo, s10, v4
	v_add_co_ci_u32_e32 v5, vcc_lo, s11, v5, vcc_lo
	global_load_b64 v[7:8], v[6:7], off
	global_load_b64 v[9:10], v[14:15], off
	v_lshrrev_b32_e32 v6, 2, v2
	global_load_b64 v[4:5], v[4:5], off
	v_and_b32_e32 v6, 0xffffffc, v6
	global_load_b32 v6, v6, s[0:1]
	s_waitcnt vmcnt(3)
	v_lshlrev_b32_e32 v11, 16, v7
	v_and_b32_e32 v18, 0xffff0000, v7
	v_alignbit_b32 v7, v8, v7, 16
	v_and_b32_e32 v8, 0xffff0000, v8
	s_waitcnt vmcnt(1)
	v_lshlrev_b32_e32 v16, 16, v4
	v_lshlrev_b32_e32 v12, 16, v9
	s_delay_alu instid0(VALU_DEP_1) | instskip(NEXT) | instid1(VALU_DEP_1)
	v_add_f32_e32 v12, v11, v12
	v_mul_f32_e32 v11, v28, v12
	s_delay_alu instid0(VALU_DEP_1) | instskip(SKIP_1) | instid1(VALU_DEP_2)
	v_bfe_u32 v13, v11, 16, 1
	v_cmp_o_f32_e32 vcc_lo, v11, v11
	v_add3_u32 v13, v11, v13, 0x7fff
	s_delay_alu instid0(VALU_DEP_1) | instskip(NEXT) | instid1(VALU_DEP_1)
	v_and_b32_e32 v13, 0xffff0000, v13
	v_cndmask_b32_e32 v11, 0x7fc00000, v13, vcc_lo
	s_delay_alu instid0(VALU_DEP_1) | instskip(NEXT) | instid1(VALU_DEP_1)
	v_mul_f32_e32 v11, v11, v16
	v_bfe_u32 v13, v11, 16, 1
	v_cmp_o_f32_e32 vcc_lo, v11, v11
	s_delay_alu instid0(VALU_DEP_2) | instskip(NEXT) | instid1(VALU_DEP_1)
	v_add3_u32 v13, v11, v13, 0x7fff
	v_and_b32_e32 v13, 0xffff0000, v13
	s_delay_alu instid0(VALU_DEP_1) | instskip(SKIP_1) | instid1(VALU_DEP_1)
	v_cndmask_b32_e32 v13, 0x7fc00000, v13, vcc_lo
	s_waitcnt vmcnt(0)
	v_div_scale_f32 v16, null, v6, v6, v13
	v_div_scale_f32 v19, vcc_lo, v13, v6, v13
	s_delay_alu instid0(VALU_DEP_2) | instskip(SKIP_2) | instid1(VALU_DEP_1)
	v_rcp_f32_e32 v17, v16
	s_waitcnt_depctr 0xfff
	v_fma_f32 v11, -v16, v17, 1.0
	v_fmac_f32_e32 v17, v11, v17
	v_alignbit_b32 v11, v10, v9, 16
	v_and_b32_e32 v9, 0xffff0000, v9
	v_and_b32_e32 v10, 0xffff0000, v10
	s_delay_alu instid0(VALU_DEP_3) | instskip(NEXT) | instid1(VALU_DEP_3)
	v_dual_mul_f32 v20, v19, v17 :: v_dual_and_b32 v21, 0xffff0000, v11
	v_add_f32_e32 v11, v18, v9
	s_delay_alu instid0(VALU_DEP_2) | instskip(NEXT) | instid1(VALU_DEP_1)
	v_fma_f32 v18, -v16, v20, v19
	v_dual_fmac_f32 v20, v18, v17 :: v_dual_and_b32 v7, 0xffff0000, v7
	s_delay_alu instid0(VALU_DEP_1) | instskip(NEXT) | instid1(VALU_DEP_4)
	v_dual_add_f32 v9, v8, v10 :: v_dual_add_f32 v10, v7, v21
	v_bfe_u32 v8, v11, 16, 1
	v_bfe_u32 v7, v12, 16, 1
	s_delay_alu instid0(VALU_DEP_4) | instskip(NEXT) | instid1(VALU_DEP_4)
	v_fma_f32 v16, -v16, v20, v19
	v_bfe_u32 v18, v9, 16, 1
	v_bfe_u32 v21, v10, 16, 1
	v_add3_u32 v8, v11, v8, 0x7fff
	v_add3_u32 v7, v12, v7, 0x7fff
	v_div_fmas_f32 v16, v16, v17, v20
	v_cmp_o_f32_e32 vcc_lo, v11, v11
	v_add3_u32 v18, v9, v18, 0x7fff
	v_and_b32_e32 v8, 0xffff0000, v8
	v_lshrrev_b32_e32 v7, 16, v7
	v_add3_u32 v19, v10, v21, 0x7fff
	v_div_fixup_f32 v13, v16, v6, v13
	v_and_b32_e32 v17, 0xffff0000, v18
	v_cndmask_b32_e32 v8, 0x7fc00000, v8, vcc_lo
	v_cmp_o_f32_e32 vcc_lo, v12, v12
	v_lshrrev_b32_e32 v18, 16, v19
	v_minmax_f32 v12, v13, s7, 0xc3600000
	v_cndmask_b32_e32 v7, 0x7fc0, v7, vcc_lo
	v_cmp_o_f32_e32 vcc_lo, v9, v9
	s_delay_alu instid0(VALU_DEP_3) | instskip(NEXT) | instid1(VALU_DEP_3)
	v_and_b32_e32 v13, 0x7fffffff, v12
	v_or_b32_e32 v8, v7, v8
	v_cndmask_b32_e32 v16, 0x7fc00000, v17, vcc_lo
	v_cmp_o_f32_e32 vcc_lo, v10, v10
	v_mov_b32_e32 v7, 0x80
	v_cndmask_b32_e32 v17, 0x7fc0, v18, vcc_lo
	s_delay_alu instid0(VALU_DEP_1)
	v_or3_b32 v17, 0, v17, v16
	v_or3_b32 v16, v8, 0, 0
	v_mov_b32_e32 v8, 0x80
	global_store_b64 v[14:15], v[16:17], off
	v_cmpx_gt_u32_e32 0x43800000, v13
	s_cbranch_execz .LBB82_88
; %bb.83:                               ;   in Loop: Header=BB82_57 Depth=1
	v_cmp_lt_u32_e32 vcc_lo, 0x3bffffff, v13
	s_mov_b32 s13, 0
                                        ; implicit-def: $vgpr13
	s_and_saveexec_b32 s15, vcc_lo
	s_delay_alu instid0(SALU_CYCLE_1)
	s_xor_b32 s15, exec_lo, s15
	s_cbranch_execnz .LBB82_162
; %bb.84:                               ;   in Loop: Header=BB82_57 Depth=1
	s_or_saveexec_b32 s15, s15
                                        ; implicit-def: $sgpr16
	s_delay_alu instid0(SALU_CYCLE_1)
	s_xor_b32 exec_lo, exec_lo, s15
	s_cbranch_execnz .LBB82_163
.LBB82_85:                              ;   in Loop: Header=BB82_57 Depth=1
	s_or_b32 exec_lo, exec_lo, s15
	v_mov_b32_e32 v8, s16
	s_and_saveexec_b32 s15, s13
.LBB82_86:                              ;   in Loop: Header=BB82_57 Depth=1
	v_lshrrev_b32_e32 v8, 24, v12
	s_delay_alu instid0(VALU_DEP_1)
	v_and_or_b32 v8, 0x80, v8, v13
.LBB82_87:                              ;   in Loop: Header=BB82_57 Depth=1
	s_or_b32 exec_lo, exec_lo, s15
.LBB82_88:                              ;   in Loop: Header=BB82_57 Depth=1
	s_delay_alu instid0(SALU_CYCLE_1) | instskip(SKIP_3) | instid1(VALU_DEP_2)
	s_or_b32 exec_lo, exec_lo, s9
	v_mul_f32_e32 v11, v28, v11
	v_and_b32_e32 v13, 0xffff0000, v4
	s_mov_b32 s9, exec_lo
	v_bfe_u32 v12, v11, 16, 1
	s_delay_alu instid0(VALU_DEP_1) | instskip(NEXT) | instid1(VALU_DEP_1)
	v_add3_u32 v12, v11, v12, 0x7fff
	v_and_b32_e32 v12, 0xffff0000, v12
	v_cmp_o_f32_e32 vcc_lo, v11, v11
	s_delay_alu instid0(VALU_DEP_2) | instskip(NEXT) | instid1(VALU_DEP_1)
	v_cndmask_b32_e32 v11, 0x7fc00000, v12, vcc_lo
	v_mul_f32_e32 v11, v11, v13
	s_delay_alu instid0(VALU_DEP_1) | instskip(NEXT) | instid1(VALU_DEP_1)
	v_bfe_u32 v12, v11, 16, 1
	v_add3_u32 v12, v11, v12, 0x7fff
	s_delay_alu instid0(VALU_DEP_1) | instskip(SKIP_1) | instid1(VALU_DEP_2)
	v_and_b32_e32 v12, 0xffff0000, v12
	v_cmp_o_f32_e32 vcc_lo, v11, v11
	v_cndmask_b32_e32 v11, 0x7fc00000, v12, vcc_lo
	s_delay_alu instid0(VALU_DEP_1) | instskip(NEXT) | instid1(VALU_DEP_1)
	v_div_scale_f32 v12, null, v6, v6, v11
	v_rcp_f32_e32 v13, v12
	s_waitcnt_depctr 0xfff
	v_fma_f32 v14, -v12, v13, 1.0
	s_delay_alu instid0(VALU_DEP_1) | instskip(SKIP_1) | instid1(VALU_DEP_1)
	v_fmac_f32_e32 v13, v14, v13
	v_div_scale_f32 v14, vcc_lo, v11, v6, v11
	v_mul_f32_e32 v15, v14, v13
	s_delay_alu instid0(VALU_DEP_1) | instskip(NEXT) | instid1(VALU_DEP_1)
	v_fma_f32 v16, -v12, v15, v14
	v_fmac_f32_e32 v15, v16, v13
	s_delay_alu instid0(VALU_DEP_1) | instskip(NEXT) | instid1(VALU_DEP_1)
	v_fma_f32 v12, -v12, v15, v14
	v_div_fmas_f32 v12, v12, v13, v15
	s_delay_alu instid0(VALU_DEP_1) | instskip(NEXT) | instid1(VALU_DEP_1)
	v_div_fixup_f32 v11, v12, v6, v11
	v_minmax_f32 v11, v11, s7, 0xc3600000
	s_delay_alu instid0(VALU_DEP_1) | instskip(NEXT) | instid1(VALU_DEP_1)
	v_and_b32_e32 v12, 0x7fffffff, v11
	v_cmpx_gt_u32_e32 0x43800000, v12
	s_cbranch_execz .LBB82_94
; %bb.89:                               ;   in Loop: Header=BB82_57 Depth=1
	v_cmp_lt_u32_e32 vcc_lo, 0x3bffffff, v12
	s_mov_b32 s13, 0
                                        ; implicit-def: $vgpr12
	s_and_saveexec_b32 s15, vcc_lo
	s_delay_alu instid0(SALU_CYCLE_1)
	s_xor_b32 s15, exec_lo, s15
	s_cbranch_execnz .LBB82_164
; %bb.90:                               ;   in Loop: Header=BB82_57 Depth=1
	s_or_saveexec_b32 s15, s15
                                        ; implicit-def: $sgpr16
	s_delay_alu instid0(SALU_CYCLE_1)
	s_xor_b32 exec_lo, exec_lo, s15
	s_cbranch_execnz .LBB82_165
.LBB82_91:                              ;   in Loop: Header=BB82_57 Depth=1
	s_or_b32 exec_lo, exec_lo, s15
	v_mov_b32_e32 v7, s16
	s_and_saveexec_b32 s15, s13
.LBB82_92:                              ;   in Loop: Header=BB82_57 Depth=1
	v_lshrrev_b32_e32 v7, 24, v11
	s_delay_alu instid0(VALU_DEP_1)
	v_and_or_b32 v7, 0x80, v7, v12
.LBB82_93:                              ;   in Loop: Header=BB82_57 Depth=1
	s_or_b32 exec_lo, exec_lo, s15
.LBB82_94:                              ;   in Loop: Header=BB82_57 Depth=1
	s_delay_alu instid0(SALU_CYCLE_1) | instskip(SKIP_3) | instid1(VALU_DEP_2)
	s_or_b32 exec_lo, exec_lo, s9
	v_mul_f32_e32 v10, v28, v10
	v_alignbit_b32 v4, v5, v4, 16
	s_mov_b32 s9, exec_lo
	v_bfe_u32 v11, v10, 16, 1
	s_delay_alu instid0(VALU_DEP_2) | instskip(NEXT) | instid1(VALU_DEP_2)
	v_and_b32_e32 v4, 0xffff0000, v4
	v_add3_u32 v11, v10, v11, 0x7fff
	s_delay_alu instid0(VALU_DEP_1) | instskip(SKIP_1) | instid1(VALU_DEP_2)
	v_and_b32_e32 v11, 0xffff0000, v11
	v_cmp_o_f32_e32 vcc_lo, v10, v10
	v_cndmask_b32_e32 v10, 0x7fc00000, v11, vcc_lo
	s_delay_alu instid0(VALU_DEP_1) | instskip(NEXT) | instid1(VALU_DEP_1)
	v_mul_f32_e32 v4, v10, v4
	v_bfe_u32 v10, v4, 16, 1
	v_cmp_o_f32_e32 vcc_lo, v4, v4
	s_delay_alu instid0(VALU_DEP_2) | instskip(NEXT) | instid1(VALU_DEP_1)
	v_add3_u32 v10, v4, v10, 0x7fff
	v_and_b32_e32 v10, 0xffff0000, v10
	s_delay_alu instid0(VALU_DEP_1) | instskip(NEXT) | instid1(VALU_DEP_1)
	v_cndmask_b32_e32 v4, 0x7fc00000, v10, vcc_lo
	v_div_scale_f32 v10, null, v6, v6, v4
	v_div_scale_f32 v13, vcc_lo, v4, v6, v4
	s_delay_alu instid0(VALU_DEP_2) | instskip(SKIP_2) | instid1(VALU_DEP_1)
	v_rcp_f32_e32 v11, v10
	s_waitcnt_depctr 0xfff
	v_fma_f32 v12, -v10, v11, 1.0
	v_fmac_f32_e32 v11, v12, v11
	s_delay_alu instid0(VALU_DEP_1) | instskip(NEXT) | instid1(VALU_DEP_1)
	v_mul_f32_e32 v12, v13, v11
	v_fma_f32 v14, -v10, v12, v13
	s_delay_alu instid0(VALU_DEP_1) | instskip(NEXT) | instid1(VALU_DEP_1)
	v_fmac_f32_e32 v12, v14, v11
	v_fma_f32 v10, -v10, v12, v13
	s_delay_alu instid0(VALU_DEP_1) | instskip(NEXT) | instid1(VALU_DEP_1)
	v_div_fmas_f32 v10, v10, v11, v12
	v_div_fixup_f32 v4, v10, v6, v4
	v_mov_b32_e32 v10, 0x80
	s_delay_alu instid0(VALU_DEP_2) | instskip(SKIP_1) | instid1(VALU_DEP_2)
	v_minmax_f32 v11, v4, s7, 0xc3600000
	v_mov_b32_e32 v4, 0x80
	v_and_b32_e32 v12, 0x7fffffff, v11
	s_delay_alu instid0(VALU_DEP_1)
	v_cmpx_gt_u32_e32 0x43800000, v12
	s_cbranch_execz .LBB82_100
; %bb.95:                               ;   in Loop: Header=BB82_57 Depth=1
	v_cmp_lt_u32_e32 vcc_lo, 0x3bffffff, v12
	s_mov_b32 s13, 0
                                        ; implicit-def: $vgpr12
	s_and_saveexec_b32 s15, vcc_lo
	s_delay_alu instid0(SALU_CYCLE_1)
	s_xor_b32 s15, exec_lo, s15
	s_cbranch_execnz .LBB82_166
; %bb.96:                               ;   in Loop: Header=BB82_57 Depth=1
	s_or_saveexec_b32 s15, s15
                                        ; implicit-def: $sgpr16
	s_delay_alu instid0(SALU_CYCLE_1)
	s_xor_b32 exec_lo, exec_lo, s15
	s_cbranch_execnz .LBB82_167
.LBB82_97:                              ;   in Loop: Header=BB82_57 Depth=1
	s_or_b32 exec_lo, exec_lo, s15
	v_mov_b32_e32 v10, s16
	s_and_saveexec_b32 s15, s13
.LBB82_98:                              ;   in Loop: Header=BB82_57 Depth=1
	v_lshrrev_b32_e32 v10, 24, v11
	s_delay_alu instid0(VALU_DEP_1)
	v_and_or_b32 v10, 0x80, v10, v12
.LBB82_99:                              ;   in Loop: Header=BB82_57 Depth=1
	s_or_b32 exec_lo, exec_lo, s15
.LBB82_100:                             ;   in Loop: Header=BB82_57 Depth=1
	s_delay_alu instid0(SALU_CYCLE_1) | instskip(SKIP_3) | instid1(VALU_DEP_2)
	s_or_b32 exec_lo, exec_lo, s9
	v_mul_f32_e32 v9, v28, v9
	v_and_b32_e32 v5, 0xffff0000, v5
	s_mov_b32 s9, exec_lo
	v_bfe_u32 v11, v9, 16, 1
	v_cmp_o_f32_e32 vcc_lo, v9, v9
	s_delay_alu instid0(VALU_DEP_2) | instskip(NEXT) | instid1(VALU_DEP_1)
	v_add3_u32 v11, v9, v11, 0x7fff
	v_and_b32_e32 v11, 0xffff0000, v11
	s_delay_alu instid0(VALU_DEP_1) | instskip(NEXT) | instid1(VALU_DEP_1)
	v_cndmask_b32_e32 v9, 0x7fc00000, v11, vcc_lo
	v_mul_f32_e32 v5, v9, v5
	s_delay_alu instid0(VALU_DEP_1) | instskip(SKIP_1) | instid1(VALU_DEP_2)
	v_bfe_u32 v9, v5, 16, 1
	v_cmp_o_f32_e32 vcc_lo, v5, v5
	v_add3_u32 v9, v5, v9, 0x7fff
	s_delay_alu instid0(VALU_DEP_1) | instskip(NEXT) | instid1(VALU_DEP_1)
	v_and_b32_e32 v9, 0xffff0000, v9
	v_cndmask_b32_e32 v5, 0x7fc00000, v9, vcc_lo
	s_delay_alu instid0(VALU_DEP_1) | instskip(NEXT) | instid1(VALU_DEP_1)
	v_div_scale_f32 v9, null, v6, v6, v5
	v_rcp_f32_e32 v11, v9
	s_waitcnt_depctr 0xfff
	v_fma_f32 v12, -v9, v11, 1.0
	s_delay_alu instid0(VALU_DEP_1) | instskip(SKIP_1) | instid1(VALU_DEP_1)
	v_fmac_f32_e32 v11, v12, v11
	v_div_scale_f32 v12, vcc_lo, v5, v6, v5
	v_mul_f32_e32 v13, v12, v11
	s_delay_alu instid0(VALU_DEP_1) | instskip(NEXT) | instid1(VALU_DEP_1)
	v_fma_f32 v14, -v9, v13, v12
	v_fmac_f32_e32 v13, v14, v11
	s_delay_alu instid0(VALU_DEP_1) | instskip(NEXT) | instid1(VALU_DEP_1)
	v_fma_f32 v9, -v9, v13, v12
	v_div_fmas_f32 v9, v9, v11, v13
	s_delay_alu instid0(VALU_DEP_1) | instskip(NEXT) | instid1(VALU_DEP_1)
	v_div_fixup_f32 v5, v9, v6, v5
	v_minmax_f32 v5, v5, s7, 0xc3600000
	s_delay_alu instid0(VALU_DEP_1) | instskip(NEXT) | instid1(VALU_DEP_1)
	v_and_b32_e32 v6, 0x7fffffff, v5
	v_cmpx_gt_u32_e32 0x43800000, v6
	s_cbranch_execz .LBB82_106
; %bb.101:                              ;   in Loop: Header=BB82_57 Depth=1
	v_cmp_lt_u32_e32 vcc_lo, 0x3bffffff, v6
	s_mov_b32 s13, 0
                                        ; implicit-def: $vgpr6
	s_and_saveexec_b32 s15, vcc_lo
	s_delay_alu instid0(SALU_CYCLE_1)
	s_xor_b32 s15, exec_lo, s15
	s_cbranch_execnz .LBB82_168
; %bb.102:                              ;   in Loop: Header=BB82_57 Depth=1
	s_or_saveexec_b32 s15, s15
                                        ; implicit-def: $sgpr16
	s_delay_alu instid0(SALU_CYCLE_1)
	s_xor_b32 exec_lo, exec_lo, s15
	s_cbranch_execnz .LBB82_169
.LBB82_103:                             ;   in Loop: Header=BB82_57 Depth=1
	s_or_b32 exec_lo, exec_lo, s15
	v_mov_b32_e32 v4, s16
	s_and_saveexec_b32 s15, s13
.LBB82_104:                             ;   in Loop: Header=BB82_57 Depth=1
	v_lshrrev_b32_e32 v4, 24, v5
	s_delay_alu instid0(VALU_DEP_1)
	v_and_or_b32 v4, 0x80, v4, v6
.LBB82_105:                             ;   in Loop: Header=BB82_57 Depth=1
	s_or_b32 exec_lo, exec_lo, s15
.LBB82_106:                             ;   in Loop: Header=BB82_57 Depth=1
	s_delay_alu instid0(SALU_CYCLE_1)
	s_or_b32 exec_lo, exec_lo, s9
	v_lshlrev_b32_e32 v9, 16, v10
	v_lshlrev_b32_e32 v7, 8, v7
	v_lshlrev_b64 v[5:6], 2, v[2:3]
	v_and_b32_e32 v8, 0xff, v8
	v_add_nc_u32_e32 v3, s5, v0
	v_perm_b32 v9, v4, v9, 0x4020c0c
	v_and_b32_e32 v7, 0xff00, v7
	s_mov_b32 s13, -1
	v_add_co_u32 v4, vcc_lo, s2, v5
	v_add_co_ci_u32_e32 v5, vcc_lo, s3, v6, vcc_lo
	s_delay_alu instid0(VALU_DEP_3)
	v_or3_b32 v6, v9, v7, v8
	s_mov_b32 s9, exec_lo
	global_store_b32 v[4:5], v6, off
	v_cmpx_gt_u32_e64 s12, v3
	s_cbranch_execz .LBB82_55
; %bb.107:                              ;   in Loop: Header=BB82_57 Depth=1
	v_mov_b32_e32 v4, v1
	s_mov_b32 s13, exec_lo
	s_delay_alu instid0(VALU_DEP_1) | instskip(NEXT) | instid1(VALU_DEP_1)
	v_lshlrev_b64 v[5:6], 3, v[3:4]
	v_add_co_u32 v7, vcc_lo, s14, v5
	s_delay_alu instid0(VALU_DEP_2)
	v_add_co_ci_u32_e32 v8, vcc_lo, s30, v6, vcc_lo
	v_add_co_u32 v15, vcc_lo, s31, v5
	v_add_co_ci_u32_e32 v16, vcc_lo, s33, v6, vcc_lo
	v_add_co_u32 v5, vcc_lo, s10, v5
	v_add_co_ci_u32_e32 v6, vcc_lo, s11, v6, vcc_lo
	global_load_b64 v[8:9], v[7:8], off
	global_load_b64 v[10:11], v[15:16], off
	v_lshrrev_b32_e32 v7, 2, v3
	global_load_b64 v[5:6], v[5:6], off
	v_and_b32_e32 v7, 0xffffffc, v7
	global_load_b32 v7, v7, s[0:1]
	s_waitcnt vmcnt(3)
	v_lshlrev_b32_e32 v12, 16, v8
	v_and_b32_e32 v19, 0xffff0000, v8
	v_alignbit_b32 v8, v9, v8, 16
	v_and_b32_e32 v9, 0xffff0000, v9
	s_waitcnt vmcnt(1)
	v_lshlrev_b32_e32 v17, 16, v5
	v_lshlrev_b32_e32 v13, 16, v10
	s_delay_alu instid0(VALU_DEP_1) | instskip(NEXT) | instid1(VALU_DEP_1)
	v_add_f32_e32 v13, v12, v13
	v_mul_f32_e32 v12, v28, v13
	s_delay_alu instid0(VALU_DEP_1) | instskip(SKIP_1) | instid1(VALU_DEP_2)
	v_bfe_u32 v14, v12, 16, 1
	v_cmp_o_f32_e32 vcc_lo, v12, v12
	v_add3_u32 v14, v12, v14, 0x7fff
	s_delay_alu instid0(VALU_DEP_1) | instskip(NEXT) | instid1(VALU_DEP_1)
	v_and_b32_e32 v14, 0xffff0000, v14
	v_cndmask_b32_e32 v12, 0x7fc00000, v14, vcc_lo
	s_delay_alu instid0(VALU_DEP_1) | instskip(NEXT) | instid1(VALU_DEP_1)
	v_mul_f32_e32 v12, v12, v17
	v_bfe_u32 v14, v12, 16, 1
	v_cmp_o_f32_e32 vcc_lo, v12, v12
	s_delay_alu instid0(VALU_DEP_2) | instskip(NEXT) | instid1(VALU_DEP_1)
	v_add3_u32 v14, v12, v14, 0x7fff
	v_and_b32_e32 v14, 0xffff0000, v14
	s_delay_alu instid0(VALU_DEP_1) | instskip(SKIP_1) | instid1(VALU_DEP_1)
	v_cndmask_b32_e32 v14, 0x7fc00000, v14, vcc_lo
	s_waitcnt vmcnt(0)
	v_div_scale_f32 v17, null, v7, v7, v14
	v_div_scale_f32 v20, vcc_lo, v14, v7, v14
	s_delay_alu instid0(VALU_DEP_2) | instskip(SKIP_2) | instid1(VALU_DEP_1)
	v_rcp_f32_e32 v18, v17
	s_waitcnt_depctr 0xfff
	v_fma_f32 v12, -v17, v18, 1.0
	v_fmac_f32_e32 v18, v12, v18
	v_alignbit_b32 v12, v11, v10, 16
	v_and_b32_e32 v10, 0xffff0000, v10
	v_and_b32_e32 v11, 0xffff0000, v11
	s_delay_alu instid0(VALU_DEP_3) | instskip(NEXT) | instid1(VALU_DEP_3)
	v_dual_mul_f32 v21, v20, v18 :: v_dual_and_b32 v22, 0xffff0000, v12
	v_add_f32_e32 v12, v19, v10
	s_delay_alu instid0(VALU_DEP_2) | instskip(NEXT) | instid1(VALU_DEP_1)
	v_fma_f32 v19, -v17, v21, v20
	v_dual_fmac_f32 v21, v19, v18 :: v_dual_and_b32 v8, 0xffff0000, v8
	s_delay_alu instid0(VALU_DEP_1) | instskip(NEXT) | instid1(VALU_DEP_4)
	v_dual_add_f32 v10, v9, v11 :: v_dual_add_f32 v11, v8, v22
	v_bfe_u32 v9, v12, 16, 1
	v_bfe_u32 v8, v13, 16, 1
	s_delay_alu instid0(VALU_DEP_4) | instskip(NEXT) | instid1(VALU_DEP_4)
	v_fma_f32 v17, -v17, v21, v20
	v_bfe_u32 v19, v10, 16, 1
	v_bfe_u32 v22, v11, 16, 1
	v_add3_u32 v9, v12, v9, 0x7fff
	v_add3_u32 v8, v13, v8, 0x7fff
	v_div_fmas_f32 v17, v17, v18, v21
	v_cmp_o_f32_e32 vcc_lo, v12, v12
	v_add3_u32 v19, v10, v19, 0x7fff
	v_and_b32_e32 v9, 0xffff0000, v9
	v_lshrrev_b32_e32 v8, 16, v8
	v_add3_u32 v20, v11, v22, 0x7fff
	v_div_fixup_f32 v14, v17, v7, v14
	v_and_b32_e32 v18, 0xffff0000, v19
	v_cndmask_b32_e32 v9, 0x7fc00000, v9, vcc_lo
	v_cmp_o_f32_e32 vcc_lo, v13, v13
	v_lshrrev_b32_e32 v19, 16, v20
	v_minmax_f32 v13, v14, s7, 0xc3600000
	v_cndmask_b32_e32 v8, 0x7fc0, v8, vcc_lo
	v_cmp_o_f32_e32 vcc_lo, v10, v10
	s_delay_alu instid0(VALU_DEP_3) | instskip(NEXT) | instid1(VALU_DEP_3)
	v_and_b32_e32 v14, 0x7fffffff, v13
	v_or_b32_e32 v9, v8, v9
	v_cndmask_b32_e32 v17, 0x7fc00000, v18, vcc_lo
	v_cmp_o_f32_e32 vcc_lo, v11, v11
	v_mov_b32_e32 v8, 0x80
	v_cndmask_b32_e32 v18, 0x7fc0, v19, vcc_lo
	s_delay_alu instid0(VALU_DEP_1)
	v_or3_b32 v18, 0, v18, v17
	v_or3_b32 v17, v9, 0, 0
	v_mov_b32_e32 v9, 0x80
	global_store_b64 v[15:16], v[17:18], off
	v_cmpx_gt_u32_e32 0x43800000, v14
	s_cbranch_execz .LBB82_113
; %bb.108:                              ;   in Loop: Header=BB82_57 Depth=1
	v_cmp_lt_u32_e32 vcc_lo, 0x3bffffff, v14
	s_mov_b32 s15, 0
                                        ; implicit-def: $vgpr14
	s_and_saveexec_b32 s16, vcc_lo
	s_delay_alu instid0(SALU_CYCLE_1)
	s_xor_b32 s16, exec_lo, s16
	s_cbranch_execnz .LBB82_170
; %bb.109:                              ;   in Loop: Header=BB82_57 Depth=1
	s_or_saveexec_b32 s16, s16
                                        ; implicit-def: $sgpr17
	s_delay_alu instid0(SALU_CYCLE_1)
	s_xor_b32 exec_lo, exec_lo, s16
	s_cbranch_execnz .LBB82_171
.LBB82_110:                             ;   in Loop: Header=BB82_57 Depth=1
	s_or_b32 exec_lo, exec_lo, s16
	v_mov_b32_e32 v9, s17
	s_and_saveexec_b32 s16, s15
.LBB82_111:                             ;   in Loop: Header=BB82_57 Depth=1
	v_lshrrev_b32_e32 v9, 24, v13
	s_delay_alu instid0(VALU_DEP_1)
	v_and_or_b32 v9, 0x80, v9, v14
.LBB82_112:                             ;   in Loop: Header=BB82_57 Depth=1
	s_or_b32 exec_lo, exec_lo, s16
.LBB82_113:                             ;   in Loop: Header=BB82_57 Depth=1
	s_delay_alu instid0(SALU_CYCLE_1) | instskip(SKIP_3) | instid1(VALU_DEP_2)
	s_or_b32 exec_lo, exec_lo, s13
	v_mul_f32_e32 v12, v28, v12
	v_and_b32_e32 v14, 0xffff0000, v5
	s_mov_b32 s13, exec_lo
	v_bfe_u32 v13, v12, 16, 1
	s_delay_alu instid0(VALU_DEP_1) | instskip(NEXT) | instid1(VALU_DEP_1)
	v_add3_u32 v13, v12, v13, 0x7fff
	v_and_b32_e32 v13, 0xffff0000, v13
	v_cmp_o_f32_e32 vcc_lo, v12, v12
	s_delay_alu instid0(VALU_DEP_2) | instskip(NEXT) | instid1(VALU_DEP_1)
	v_cndmask_b32_e32 v12, 0x7fc00000, v13, vcc_lo
	v_mul_f32_e32 v12, v12, v14
	s_delay_alu instid0(VALU_DEP_1) | instskip(NEXT) | instid1(VALU_DEP_1)
	v_bfe_u32 v13, v12, 16, 1
	v_add3_u32 v13, v12, v13, 0x7fff
	s_delay_alu instid0(VALU_DEP_1) | instskip(SKIP_1) | instid1(VALU_DEP_2)
	v_and_b32_e32 v13, 0xffff0000, v13
	v_cmp_o_f32_e32 vcc_lo, v12, v12
	v_cndmask_b32_e32 v12, 0x7fc00000, v13, vcc_lo
	s_delay_alu instid0(VALU_DEP_1) | instskip(NEXT) | instid1(VALU_DEP_1)
	v_div_scale_f32 v13, null, v7, v7, v12
	v_rcp_f32_e32 v14, v13
	s_waitcnt_depctr 0xfff
	v_fma_f32 v15, -v13, v14, 1.0
	s_delay_alu instid0(VALU_DEP_1) | instskip(SKIP_1) | instid1(VALU_DEP_1)
	v_fmac_f32_e32 v14, v15, v14
	v_div_scale_f32 v15, vcc_lo, v12, v7, v12
	v_mul_f32_e32 v16, v15, v14
	s_delay_alu instid0(VALU_DEP_1) | instskip(NEXT) | instid1(VALU_DEP_1)
	v_fma_f32 v17, -v13, v16, v15
	v_fmac_f32_e32 v16, v17, v14
	s_delay_alu instid0(VALU_DEP_1) | instskip(NEXT) | instid1(VALU_DEP_1)
	v_fma_f32 v13, -v13, v16, v15
	v_div_fmas_f32 v13, v13, v14, v16
	s_delay_alu instid0(VALU_DEP_1) | instskip(NEXT) | instid1(VALU_DEP_1)
	v_div_fixup_f32 v12, v13, v7, v12
	v_minmax_f32 v12, v12, s7, 0xc3600000
	s_delay_alu instid0(VALU_DEP_1) | instskip(NEXT) | instid1(VALU_DEP_1)
	v_and_b32_e32 v13, 0x7fffffff, v12
	v_cmpx_gt_u32_e32 0x43800000, v13
	s_cbranch_execz .LBB82_119
; %bb.114:                              ;   in Loop: Header=BB82_57 Depth=1
	v_cmp_lt_u32_e32 vcc_lo, 0x3bffffff, v13
	s_mov_b32 s15, 0
                                        ; implicit-def: $vgpr13
	s_and_saveexec_b32 s16, vcc_lo
	s_delay_alu instid0(SALU_CYCLE_1)
	s_xor_b32 s16, exec_lo, s16
	s_cbranch_execnz .LBB82_172
; %bb.115:                              ;   in Loop: Header=BB82_57 Depth=1
	s_or_saveexec_b32 s16, s16
                                        ; implicit-def: $sgpr17
	s_delay_alu instid0(SALU_CYCLE_1)
	s_xor_b32 exec_lo, exec_lo, s16
	s_cbranch_execnz .LBB82_173
.LBB82_116:                             ;   in Loop: Header=BB82_57 Depth=1
	s_or_b32 exec_lo, exec_lo, s16
	v_mov_b32_e32 v8, s17
	s_and_saveexec_b32 s16, s15
.LBB82_117:                             ;   in Loop: Header=BB82_57 Depth=1
	v_lshrrev_b32_e32 v8, 24, v12
	s_delay_alu instid0(VALU_DEP_1)
	v_and_or_b32 v8, 0x80, v8, v13
.LBB82_118:                             ;   in Loop: Header=BB82_57 Depth=1
	s_or_b32 exec_lo, exec_lo, s16
.LBB82_119:                             ;   in Loop: Header=BB82_57 Depth=1
	s_delay_alu instid0(SALU_CYCLE_1) | instskip(SKIP_3) | instid1(VALU_DEP_2)
	s_or_b32 exec_lo, exec_lo, s13
	v_mul_f32_e32 v11, v28, v11
	v_alignbit_b32 v5, v6, v5, 16
	s_mov_b32 s13, exec_lo
	v_bfe_u32 v12, v11, 16, 1
	s_delay_alu instid0(VALU_DEP_2) | instskip(NEXT) | instid1(VALU_DEP_2)
	v_and_b32_e32 v5, 0xffff0000, v5
	v_add3_u32 v12, v11, v12, 0x7fff
	s_delay_alu instid0(VALU_DEP_1) | instskip(SKIP_1) | instid1(VALU_DEP_2)
	v_and_b32_e32 v12, 0xffff0000, v12
	v_cmp_o_f32_e32 vcc_lo, v11, v11
	v_cndmask_b32_e32 v11, 0x7fc00000, v12, vcc_lo
	s_delay_alu instid0(VALU_DEP_1) | instskip(NEXT) | instid1(VALU_DEP_1)
	v_mul_f32_e32 v5, v11, v5
	v_bfe_u32 v11, v5, 16, 1
	v_cmp_o_f32_e32 vcc_lo, v5, v5
	s_delay_alu instid0(VALU_DEP_2) | instskip(NEXT) | instid1(VALU_DEP_1)
	v_add3_u32 v11, v5, v11, 0x7fff
	v_and_b32_e32 v11, 0xffff0000, v11
	s_delay_alu instid0(VALU_DEP_1) | instskip(NEXT) | instid1(VALU_DEP_1)
	v_cndmask_b32_e32 v5, 0x7fc00000, v11, vcc_lo
	v_div_scale_f32 v11, null, v7, v7, v5
	v_div_scale_f32 v14, vcc_lo, v5, v7, v5
	s_delay_alu instid0(VALU_DEP_2) | instskip(SKIP_2) | instid1(VALU_DEP_1)
	v_rcp_f32_e32 v12, v11
	s_waitcnt_depctr 0xfff
	v_fma_f32 v13, -v11, v12, 1.0
	v_fmac_f32_e32 v12, v13, v12
	s_delay_alu instid0(VALU_DEP_1) | instskip(NEXT) | instid1(VALU_DEP_1)
	v_mul_f32_e32 v13, v14, v12
	v_fma_f32 v15, -v11, v13, v14
	s_delay_alu instid0(VALU_DEP_1) | instskip(NEXT) | instid1(VALU_DEP_1)
	v_fmac_f32_e32 v13, v15, v12
	v_fma_f32 v11, -v11, v13, v14
	s_delay_alu instid0(VALU_DEP_1) | instskip(NEXT) | instid1(VALU_DEP_1)
	v_div_fmas_f32 v11, v11, v12, v13
	v_div_fixup_f32 v5, v11, v7, v5
	v_mov_b32_e32 v11, 0x80
	s_delay_alu instid0(VALU_DEP_2) | instskip(SKIP_1) | instid1(VALU_DEP_2)
	v_minmax_f32 v12, v5, s7, 0xc3600000
	v_mov_b32_e32 v5, 0x80
	v_and_b32_e32 v13, 0x7fffffff, v12
	s_delay_alu instid0(VALU_DEP_1)
	v_cmpx_gt_u32_e32 0x43800000, v13
	s_cbranch_execz .LBB82_125
; %bb.120:                              ;   in Loop: Header=BB82_57 Depth=1
	v_cmp_lt_u32_e32 vcc_lo, 0x3bffffff, v13
	s_mov_b32 s15, 0
                                        ; implicit-def: $vgpr13
	s_and_saveexec_b32 s16, vcc_lo
	s_delay_alu instid0(SALU_CYCLE_1)
	s_xor_b32 s16, exec_lo, s16
	s_cbranch_execnz .LBB82_174
; %bb.121:                              ;   in Loop: Header=BB82_57 Depth=1
	s_or_saveexec_b32 s16, s16
                                        ; implicit-def: $sgpr17
	s_delay_alu instid0(SALU_CYCLE_1)
	s_xor_b32 exec_lo, exec_lo, s16
	s_cbranch_execnz .LBB82_175
.LBB82_122:                             ;   in Loop: Header=BB82_57 Depth=1
	s_or_b32 exec_lo, exec_lo, s16
	v_mov_b32_e32 v11, s17
	s_and_saveexec_b32 s16, s15
.LBB82_123:                             ;   in Loop: Header=BB82_57 Depth=1
	v_lshrrev_b32_e32 v11, 24, v12
	s_delay_alu instid0(VALU_DEP_1)
	v_and_or_b32 v11, 0x80, v11, v13
.LBB82_124:                             ;   in Loop: Header=BB82_57 Depth=1
	s_or_b32 exec_lo, exec_lo, s16
.LBB82_125:                             ;   in Loop: Header=BB82_57 Depth=1
	s_delay_alu instid0(SALU_CYCLE_1) | instskip(SKIP_3) | instid1(VALU_DEP_2)
	s_or_b32 exec_lo, exec_lo, s13
	v_mul_f32_e32 v10, v28, v10
	v_and_b32_e32 v6, 0xffff0000, v6
	s_mov_b32 s13, exec_lo
	v_bfe_u32 v12, v10, 16, 1
	v_cmp_o_f32_e32 vcc_lo, v10, v10
	s_delay_alu instid0(VALU_DEP_2) | instskip(NEXT) | instid1(VALU_DEP_1)
	v_add3_u32 v12, v10, v12, 0x7fff
	v_and_b32_e32 v12, 0xffff0000, v12
	s_delay_alu instid0(VALU_DEP_1) | instskip(NEXT) | instid1(VALU_DEP_1)
	v_cndmask_b32_e32 v10, 0x7fc00000, v12, vcc_lo
	v_mul_f32_e32 v6, v10, v6
	s_delay_alu instid0(VALU_DEP_1) | instskip(SKIP_1) | instid1(VALU_DEP_2)
	v_bfe_u32 v10, v6, 16, 1
	v_cmp_o_f32_e32 vcc_lo, v6, v6
	v_add3_u32 v10, v6, v10, 0x7fff
	s_delay_alu instid0(VALU_DEP_1) | instskip(NEXT) | instid1(VALU_DEP_1)
	v_and_b32_e32 v10, 0xffff0000, v10
	v_cndmask_b32_e32 v6, 0x7fc00000, v10, vcc_lo
	s_delay_alu instid0(VALU_DEP_1) | instskip(NEXT) | instid1(VALU_DEP_1)
	v_div_scale_f32 v10, null, v7, v7, v6
	v_rcp_f32_e32 v12, v10
	s_waitcnt_depctr 0xfff
	v_fma_f32 v13, -v10, v12, 1.0
	s_delay_alu instid0(VALU_DEP_1) | instskip(SKIP_1) | instid1(VALU_DEP_1)
	v_fmac_f32_e32 v12, v13, v12
	v_div_scale_f32 v13, vcc_lo, v6, v7, v6
	v_mul_f32_e32 v14, v13, v12
	s_delay_alu instid0(VALU_DEP_1) | instskip(NEXT) | instid1(VALU_DEP_1)
	v_fma_f32 v15, -v10, v14, v13
	v_fmac_f32_e32 v14, v15, v12
	s_delay_alu instid0(VALU_DEP_1) | instskip(NEXT) | instid1(VALU_DEP_1)
	v_fma_f32 v10, -v10, v14, v13
	v_div_fmas_f32 v10, v10, v12, v14
	s_delay_alu instid0(VALU_DEP_1) | instskip(NEXT) | instid1(VALU_DEP_1)
	v_div_fixup_f32 v6, v10, v7, v6
	v_minmax_f32 v6, v6, s7, 0xc3600000
	s_delay_alu instid0(VALU_DEP_1) | instskip(NEXT) | instid1(VALU_DEP_1)
	v_and_b32_e32 v7, 0x7fffffff, v6
	v_cmpx_gt_u32_e32 0x43800000, v7
	s_cbranch_execz .LBB82_131
; %bb.126:                              ;   in Loop: Header=BB82_57 Depth=1
	v_cmp_lt_u32_e32 vcc_lo, 0x3bffffff, v7
	s_mov_b32 s15, 0
                                        ; implicit-def: $vgpr7
	s_and_saveexec_b32 s16, vcc_lo
	s_delay_alu instid0(SALU_CYCLE_1)
	s_xor_b32 s16, exec_lo, s16
	s_cbranch_execnz .LBB82_176
; %bb.127:                              ;   in Loop: Header=BB82_57 Depth=1
	s_or_saveexec_b32 s16, s16
                                        ; implicit-def: $sgpr17
	s_delay_alu instid0(SALU_CYCLE_1)
	s_xor_b32 exec_lo, exec_lo, s16
	s_cbranch_execnz .LBB82_177
.LBB82_128:                             ;   in Loop: Header=BB82_57 Depth=1
	s_or_b32 exec_lo, exec_lo, s16
	v_mov_b32_e32 v5, s17
	s_and_saveexec_b32 s16, s15
.LBB82_129:                             ;   in Loop: Header=BB82_57 Depth=1
	v_lshrrev_b32_e32 v5, 24, v6
	s_delay_alu instid0(VALU_DEP_1)
	v_and_or_b32 v5, 0x80, v5, v7
.LBB82_130:                             ;   in Loop: Header=BB82_57 Depth=1
	s_or_b32 exec_lo, exec_lo, s16
.LBB82_131:                             ;   in Loop: Header=BB82_57 Depth=1
	s_delay_alu instid0(SALU_CYCLE_1)
	s_or_b32 exec_lo, exec_lo, s13
	v_lshlrev_b32_e32 v6, 16, v11
	v_lshlrev_b32_e32 v7, 8, v8
	v_lshlrev_b64 v[3:4], 2, v[3:4]
	v_and_b32_e32 v8, 0xff, v9
	v_add_nc_u32_e32 v0, s4, v0
	v_perm_b32 v5, v5, v6, 0x4020c0c
	v_and_b32_e32 v6, 0xff00, v7
	s_mov_b32 s15, -1
	v_add_co_u32 v3, vcc_lo, s2, v3
	v_add_co_ci_u32_e32 v4, vcc_lo, s3, v4, vcc_lo
	s_delay_alu instid0(VALU_DEP_3)
	v_or3_b32 v5, v5, v6, v8
	s_mov_b32 s13, exec_lo
	global_store_b32 v[3:4], v5, off
	v_cmpx_gt_u32_e64 s12, v0
	s_cbranch_execz .LBB82_54
; %bb.132:                              ;   in Loop: Header=BB82_57 Depth=1
	v_lshlrev_b64 v[3:4], 3, v[0:1]
	s_mov_b32 s15, exec_lo
	s_delay_alu instid0(VALU_DEP_1) | instskip(NEXT) | instid1(VALU_DEP_2)
	v_add_co_u32 v5, vcc_lo, s14, v3
	v_add_co_ci_u32_e32 v6, vcc_lo, s30, v4, vcc_lo
	v_add_co_u32 v13, vcc_lo, s31, v3
	v_add_co_ci_u32_e32 v14, vcc_lo, s33, v4, vcc_lo
	;; [unrolled: 2-line block ×3, first 2 shown]
	global_load_b64 v[6:7], v[5:6], off
	global_load_b64 v[8:9], v[13:14], off
	v_lshrrev_b32_e32 v5, 2, v0
	global_load_b64 v[3:4], v[3:4], off
	s_waitcnt vmcnt(2)
	v_lshlrev_b32_e32 v10, 16, v6
	s_waitcnt vmcnt(0)
	v_lshlrev_b32_e32 v15, 16, v3
	v_lshlrev_b32_e32 v11, 16, v8
	s_delay_alu instid0(VALU_DEP_1) | instskip(NEXT) | instid1(VALU_DEP_1)
	v_add_f32_e32 v11, v10, v11
	v_dual_mul_f32 v10, v28, v11 :: v_dual_and_b32 v5, 0xffffffc, v5
	global_load_b32 v5, v5, s[0:1]
	v_bfe_u32 v12, v10, 16, 1
	v_cmp_o_f32_e32 vcc_lo, v10, v10
	s_delay_alu instid0(VALU_DEP_2) | instskip(NEXT) | instid1(VALU_DEP_1)
	v_add3_u32 v12, v10, v12, 0x7fff
	v_and_b32_e32 v12, 0xffff0000, v12
	s_delay_alu instid0(VALU_DEP_1) | instskip(NEXT) | instid1(VALU_DEP_1)
	v_cndmask_b32_e32 v10, 0x7fc00000, v12, vcc_lo
	v_mul_f32_e32 v10, v10, v15
	s_delay_alu instid0(VALU_DEP_1) | instskip(SKIP_1) | instid1(VALU_DEP_2)
	v_bfe_u32 v12, v10, 16, 1
	v_cmp_o_f32_e32 vcc_lo, v10, v10
	v_add3_u32 v12, v10, v12, 0x7fff
	s_delay_alu instid0(VALU_DEP_1) | instskip(NEXT) | instid1(VALU_DEP_1)
	v_and_b32_e32 v12, 0xffff0000, v12
	v_cndmask_b32_e32 v12, 0x7fc00000, v12, vcc_lo
	s_waitcnt vmcnt(0)
	s_delay_alu instid0(VALU_DEP_1) | instskip(SKIP_1) | instid1(VALU_DEP_2)
	v_div_scale_f32 v15, null, v5, v5, v12
	v_div_scale_f32 v18, vcc_lo, v12, v5, v12
	v_rcp_f32_e32 v16, v15
	s_waitcnt_depctr 0xfff
	v_fma_f32 v10, -v15, v16, 1.0
	v_and_b32_e32 v17, 0xffff0000, v6
	v_alignbit_b32 v6, v7, v6, 16
	s_delay_alu instid0(VALU_DEP_3) | instskip(SKIP_4) | instid1(VALU_DEP_4)
	v_fmac_f32_e32 v16, v10, v16
	v_alignbit_b32 v10, v9, v8, 16
	v_and_b32_e32 v8, 0xffff0000, v8
	v_and_b32_e32 v7, 0xffff0000, v7
	;; [unrolled: 1-line block ×3, first 2 shown]
	v_dual_mul_f32 v19, v18, v16 :: v_dual_and_b32 v20, 0xffff0000, v10
	s_delay_alu instid0(VALU_DEP_4) | instskip(NEXT) | instid1(VALU_DEP_2)
	v_add_f32_e32 v10, v17, v8
	v_fma_f32 v17, -v15, v19, v18
	s_delay_alu instid0(VALU_DEP_1) | instskip(NEXT) | instid1(VALU_DEP_1)
	v_dual_fmac_f32 v19, v17, v16 :: v_dual_and_b32 v6, 0xffff0000, v6
	v_dual_add_f32 v8, v7, v9 :: v_dual_add_f32 v9, v6, v20
	s_delay_alu instid0(VALU_DEP_4) | instskip(SKIP_1) | instid1(VALU_DEP_4)
	v_bfe_u32 v7, v10, 16, 1
	v_bfe_u32 v6, v11, 16, 1
	v_fma_f32 v15, -v15, v19, v18
	s_delay_alu instid0(VALU_DEP_4)
	v_bfe_u32 v17, v8, 16, 1
	v_bfe_u32 v20, v9, 16, 1
	v_add3_u32 v7, v10, v7, 0x7fff
	v_add3_u32 v6, v11, v6, 0x7fff
	v_div_fmas_f32 v15, v15, v16, v19
	v_cmp_o_f32_e32 vcc_lo, v10, v10
	v_add3_u32 v17, v8, v17, 0x7fff
	v_and_b32_e32 v7, 0xffff0000, v7
	v_lshrrev_b32_e32 v6, 16, v6
	v_add3_u32 v18, v9, v20, 0x7fff
	v_div_fixup_f32 v12, v15, v5, v12
	v_and_b32_e32 v16, 0xffff0000, v17
	v_cndmask_b32_e32 v7, 0x7fc00000, v7, vcc_lo
	v_cmp_o_f32_e32 vcc_lo, v11, v11
	v_lshrrev_b32_e32 v17, 16, v18
	v_minmax_f32 v11, v12, s7, 0xc3600000
	v_cndmask_b32_e32 v6, 0x7fc0, v6, vcc_lo
	v_cmp_o_f32_e32 vcc_lo, v8, v8
	s_delay_alu instid0(VALU_DEP_3) | instskip(NEXT) | instid1(VALU_DEP_3)
	v_and_b32_e32 v12, 0x7fffffff, v11
	v_or_b32_e32 v6, v6, v7
	v_cndmask_b32_e32 v15, 0x7fc00000, v16, vcc_lo
	v_cmp_o_f32_e32 vcc_lo, v9, v9
	v_mov_b32_e32 v7, 0x80
	v_cndmask_b32_e32 v16, 0x7fc0, v17, vcc_lo
	s_delay_alu instid0(VALU_DEP_1)
	v_or3_b32 v16, 0, v16, v15
	v_or3_b32 v15, v6, 0, 0
	v_mov_b32_e32 v6, 0x80
	global_store_b64 v[13:14], v[15:16], off
	v_cmpx_gt_u32_e32 0x43800000, v12
	s_cbranch_execz .LBB82_138
; %bb.133:                              ;   in Loop: Header=BB82_57 Depth=1
	v_cmp_lt_u32_e32 vcc_lo, 0x3bffffff, v12
	s_mov_b32 s16, 0
                                        ; implicit-def: $vgpr12
	s_and_saveexec_b32 s17, vcc_lo
	s_delay_alu instid0(SALU_CYCLE_1)
	s_xor_b32 s17, exec_lo, s17
	s_cbranch_execnz .LBB82_178
; %bb.134:                              ;   in Loop: Header=BB82_57 Depth=1
	s_or_saveexec_b32 s17, s17
                                        ; implicit-def: $sgpr18
	s_delay_alu instid0(SALU_CYCLE_1)
	s_xor_b32 exec_lo, exec_lo, s17
	s_cbranch_execnz .LBB82_179
.LBB82_135:                             ;   in Loop: Header=BB82_57 Depth=1
	s_or_b32 exec_lo, exec_lo, s17
	v_mov_b32_e32 v6, s18
	s_and_saveexec_b32 s17, s16
.LBB82_136:                             ;   in Loop: Header=BB82_57 Depth=1
	v_lshrrev_b32_e32 v6, 24, v11
	s_delay_alu instid0(VALU_DEP_1)
	v_and_or_b32 v6, 0x80, v6, v12
.LBB82_137:                             ;   in Loop: Header=BB82_57 Depth=1
	s_or_b32 exec_lo, exec_lo, s17
.LBB82_138:                             ;   in Loop: Header=BB82_57 Depth=1
	s_delay_alu instid0(SALU_CYCLE_1) | instskip(SKIP_3) | instid1(VALU_DEP_2)
	s_or_b32 exec_lo, exec_lo, s15
	v_mul_f32_e32 v10, v28, v10
	v_and_b32_e32 v12, 0xffff0000, v3
	s_mov_b32 s15, exec_lo
	v_bfe_u32 v11, v10, 16, 1
	s_delay_alu instid0(VALU_DEP_1) | instskip(NEXT) | instid1(VALU_DEP_1)
	v_add3_u32 v11, v10, v11, 0x7fff
	v_and_b32_e32 v11, 0xffff0000, v11
	v_cmp_o_f32_e32 vcc_lo, v10, v10
	s_delay_alu instid0(VALU_DEP_2) | instskip(NEXT) | instid1(VALU_DEP_1)
	v_cndmask_b32_e32 v10, 0x7fc00000, v11, vcc_lo
	v_mul_f32_e32 v10, v10, v12
	s_delay_alu instid0(VALU_DEP_1) | instskip(NEXT) | instid1(VALU_DEP_1)
	v_bfe_u32 v11, v10, 16, 1
	v_add3_u32 v11, v10, v11, 0x7fff
	s_delay_alu instid0(VALU_DEP_1) | instskip(SKIP_1) | instid1(VALU_DEP_2)
	v_and_b32_e32 v11, 0xffff0000, v11
	v_cmp_o_f32_e32 vcc_lo, v10, v10
	v_cndmask_b32_e32 v10, 0x7fc00000, v11, vcc_lo
	s_delay_alu instid0(VALU_DEP_1) | instskip(NEXT) | instid1(VALU_DEP_1)
	v_div_scale_f32 v11, null, v5, v5, v10
	v_rcp_f32_e32 v12, v11
	s_waitcnt_depctr 0xfff
	v_fma_f32 v13, -v11, v12, 1.0
	s_delay_alu instid0(VALU_DEP_1) | instskip(SKIP_1) | instid1(VALU_DEP_1)
	v_fmac_f32_e32 v12, v13, v12
	v_div_scale_f32 v13, vcc_lo, v10, v5, v10
	v_mul_f32_e32 v14, v13, v12
	s_delay_alu instid0(VALU_DEP_1) | instskip(NEXT) | instid1(VALU_DEP_1)
	v_fma_f32 v15, -v11, v14, v13
	v_fmac_f32_e32 v14, v15, v12
	s_delay_alu instid0(VALU_DEP_1) | instskip(NEXT) | instid1(VALU_DEP_1)
	v_fma_f32 v11, -v11, v14, v13
	v_div_fmas_f32 v11, v11, v12, v14
	s_delay_alu instid0(VALU_DEP_1) | instskip(NEXT) | instid1(VALU_DEP_1)
	v_div_fixup_f32 v10, v11, v5, v10
	v_minmax_f32 v10, v10, s7, 0xc3600000
	s_delay_alu instid0(VALU_DEP_1) | instskip(NEXT) | instid1(VALU_DEP_1)
	v_and_b32_e32 v11, 0x7fffffff, v10
	v_cmpx_gt_u32_e32 0x43800000, v11
	s_cbranch_execz .LBB82_144
; %bb.139:                              ;   in Loop: Header=BB82_57 Depth=1
	v_cmp_lt_u32_e32 vcc_lo, 0x3bffffff, v11
	s_mov_b32 s16, 0
                                        ; implicit-def: $vgpr11
	s_and_saveexec_b32 s17, vcc_lo
	s_delay_alu instid0(SALU_CYCLE_1)
	s_xor_b32 s17, exec_lo, s17
	s_cbranch_execnz .LBB82_180
; %bb.140:                              ;   in Loop: Header=BB82_57 Depth=1
	s_or_saveexec_b32 s17, s17
                                        ; implicit-def: $sgpr18
	s_delay_alu instid0(SALU_CYCLE_1)
	s_xor_b32 exec_lo, exec_lo, s17
	s_cbranch_execnz .LBB82_181
.LBB82_141:                             ;   in Loop: Header=BB82_57 Depth=1
	s_or_b32 exec_lo, exec_lo, s17
	v_mov_b32_e32 v7, s18
	s_and_saveexec_b32 s17, s16
.LBB82_142:                             ;   in Loop: Header=BB82_57 Depth=1
	v_lshrrev_b32_e32 v7, 24, v10
	s_delay_alu instid0(VALU_DEP_1)
	v_and_or_b32 v7, 0x80, v7, v11
.LBB82_143:                             ;   in Loop: Header=BB82_57 Depth=1
	s_or_b32 exec_lo, exec_lo, s17
.LBB82_144:                             ;   in Loop: Header=BB82_57 Depth=1
	s_delay_alu instid0(SALU_CYCLE_1) | instskip(SKIP_3) | instid1(VALU_DEP_2)
	s_or_b32 exec_lo, exec_lo, s15
	v_mul_f32_e32 v9, v28, v9
	v_alignbit_b32 v3, v4, v3, 16
	s_mov_b32 s15, exec_lo
	v_bfe_u32 v10, v9, 16, 1
	s_delay_alu instid0(VALU_DEP_2) | instskip(NEXT) | instid1(VALU_DEP_2)
	v_and_b32_e32 v3, 0xffff0000, v3
	v_add3_u32 v10, v9, v10, 0x7fff
	s_delay_alu instid0(VALU_DEP_1) | instskip(SKIP_1) | instid1(VALU_DEP_2)
	v_and_b32_e32 v10, 0xffff0000, v10
	v_cmp_o_f32_e32 vcc_lo, v9, v9
	v_cndmask_b32_e32 v9, 0x7fc00000, v10, vcc_lo
	s_delay_alu instid0(VALU_DEP_1) | instskip(NEXT) | instid1(VALU_DEP_1)
	v_mul_f32_e32 v3, v9, v3
	v_bfe_u32 v9, v3, 16, 1
	v_cmp_o_f32_e32 vcc_lo, v3, v3
	s_delay_alu instid0(VALU_DEP_2) | instskip(NEXT) | instid1(VALU_DEP_1)
	v_add3_u32 v9, v3, v9, 0x7fff
	v_and_b32_e32 v9, 0xffff0000, v9
	s_delay_alu instid0(VALU_DEP_1) | instskip(NEXT) | instid1(VALU_DEP_1)
	v_cndmask_b32_e32 v3, 0x7fc00000, v9, vcc_lo
	v_div_scale_f32 v9, null, v5, v5, v3
	v_div_scale_f32 v12, vcc_lo, v3, v5, v3
	s_delay_alu instid0(VALU_DEP_2) | instskip(SKIP_2) | instid1(VALU_DEP_1)
	v_rcp_f32_e32 v10, v9
	s_waitcnt_depctr 0xfff
	v_fma_f32 v11, -v9, v10, 1.0
	v_fmac_f32_e32 v10, v11, v10
	s_delay_alu instid0(VALU_DEP_1) | instskip(NEXT) | instid1(VALU_DEP_1)
	v_mul_f32_e32 v11, v12, v10
	v_fma_f32 v13, -v9, v11, v12
	s_delay_alu instid0(VALU_DEP_1) | instskip(NEXT) | instid1(VALU_DEP_1)
	v_fmac_f32_e32 v11, v13, v10
	v_fma_f32 v9, -v9, v11, v12
	s_delay_alu instid0(VALU_DEP_1) | instskip(NEXT) | instid1(VALU_DEP_1)
	v_div_fmas_f32 v9, v9, v10, v11
	v_div_fixup_f32 v3, v9, v5, v3
	v_mov_b32_e32 v9, 0x80
	s_delay_alu instid0(VALU_DEP_2) | instskip(SKIP_1) | instid1(VALU_DEP_2)
	v_minmax_f32 v10, v3, s7, 0xc3600000
	v_mov_b32_e32 v3, 0x80
	v_and_b32_e32 v11, 0x7fffffff, v10
	s_delay_alu instid0(VALU_DEP_1)
	v_cmpx_gt_u32_e32 0x43800000, v11
	s_cbranch_execz .LBB82_150
; %bb.145:                              ;   in Loop: Header=BB82_57 Depth=1
	v_cmp_lt_u32_e32 vcc_lo, 0x3bffffff, v11
	s_mov_b32 s16, 0
                                        ; implicit-def: $vgpr11
	s_and_saveexec_b32 s17, vcc_lo
	s_delay_alu instid0(SALU_CYCLE_1)
	s_xor_b32 s17, exec_lo, s17
	s_cbranch_execnz .LBB82_182
; %bb.146:                              ;   in Loop: Header=BB82_57 Depth=1
	s_or_saveexec_b32 s17, s17
                                        ; implicit-def: $sgpr18
	s_delay_alu instid0(SALU_CYCLE_1)
	s_xor_b32 exec_lo, exec_lo, s17
	s_cbranch_execnz .LBB82_183
.LBB82_147:                             ;   in Loop: Header=BB82_57 Depth=1
	s_or_b32 exec_lo, exec_lo, s17
	v_mov_b32_e32 v9, s18
	s_and_saveexec_b32 s17, s16
.LBB82_148:                             ;   in Loop: Header=BB82_57 Depth=1
	v_lshrrev_b32_e32 v9, 24, v10
	s_delay_alu instid0(VALU_DEP_1)
	v_and_or_b32 v9, 0x80, v9, v11
.LBB82_149:                             ;   in Loop: Header=BB82_57 Depth=1
	s_or_b32 exec_lo, exec_lo, s17
.LBB82_150:                             ;   in Loop: Header=BB82_57 Depth=1
	s_delay_alu instid0(SALU_CYCLE_1) | instskip(SKIP_3) | instid1(VALU_DEP_2)
	s_or_b32 exec_lo, exec_lo, s15
	v_mul_f32_e32 v8, v28, v8
	v_and_b32_e32 v4, 0xffff0000, v4
	s_mov_b32 s15, exec_lo
	v_bfe_u32 v10, v8, 16, 1
	v_cmp_o_f32_e32 vcc_lo, v8, v8
	s_delay_alu instid0(VALU_DEP_2) | instskip(NEXT) | instid1(VALU_DEP_1)
	v_add3_u32 v10, v8, v10, 0x7fff
	v_and_b32_e32 v10, 0xffff0000, v10
	s_delay_alu instid0(VALU_DEP_1) | instskip(NEXT) | instid1(VALU_DEP_1)
	v_cndmask_b32_e32 v8, 0x7fc00000, v10, vcc_lo
	v_mul_f32_e32 v4, v8, v4
	s_delay_alu instid0(VALU_DEP_1) | instskip(SKIP_1) | instid1(VALU_DEP_2)
	v_bfe_u32 v8, v4, 16, 1
	v_cmp_o_f32_e32 vcc_lo, v4, v4
	v_add3_u32 v8, v4, v8, 0x7fff
	s_delay_alu instid0(VALU_DEP_1) | instskip(NEXT) | instid1(VALU_DEP_1)
	v_and_b32_e32 v8, 0xffff0000, v8
	v_cndmask_b32_e32 v4, 0x7fc00000, v8, vcc_lo
	s_delay_alu instid0(VALU_DEP_1) | instskip(NEXT) | instid1(VALU_DEP_1)
	v_div_scale_f32 v8, null, v5, v5, v4
	v_rcp_f32_e32 v10, v8
	s_waitcnt_depctr 0xfff
	v_fma_f32 v11, -v8, v10, 1.0
	s_delay_alu instid0(VALU_DEP_1) | instskip(SKIP_1) | instid1(VALU_DEP_1)
	v_fmac_f32_e32 v10, v11, v10
	v_div_scale_f32 v11, vcc_lo, v4, v5, v4
	v_mul_f32_e32 v12, v11, v10
	s_delay_alu instid0(VALU_DEP_1) | instskip(NEXT) | instid1(VALU_DEP_1)
	v_fma_f32 v13, -v8, v12, v11
	v_fmac_f32_e32 v12, v13, v10
	s_delay_alu instid0(VALU_DEP_1) | instskip(NEXT) | instid1(VALU_DEP_1)
	v_fma_f32 v8, -v8, v12, v11
	v_div_fmas_f32 v8, v8, v10, v12
	s_delay_alu instid0(VALU_DEP_1) | instskip(NEXT) | instid1(VALU_DEP_1)
	v_div_fixup_f32 v4, v8, v5, v4
	v_minmax_f32 v4, v4, s7, 0xc3600000
	s_delay_alu instid0(VALU_DEP_1) | instskip(NEXT) | instid1(VALU_DEP_1)
	v_and_b32_e32 v5, 0x7fffffff, v4
	v_cmpx_gt_u32_e32 0x43800000, v5
	s_cbranch_execz .LBB82_53
; %bb.151:                              ;   in Loop: Header=BB82_57 Depth=1
	v_cmp_lt_u32_e32 vcc_lo, 0x3bffffff, v5
	s_mov_b32 s16, 0
                                        ; implicit-def: $vgpr5
	s_and_saveexec_b32 s17, vcc_lo
	s_delay_alu instid0(SALU_CYCLE_1)
	s_xor_b32 s17, exec_lo, s17
	s_cbranch_execnz .LBB82_184
; %bb.152:                              ;   in Loop: Header=BB82_57 Depth=1
	s_or_saveexec_b32 s17, s17
                                        ; implicit-def: $sgpr18
	s_delay_alu instid0(SALU_CYCLE_1)
	s_xor_b32 exec_lo, exec_lo, s17
	s_cbranch_execnz .LBB82_185
.LBB82_153:                             ;   in Loop: Header=BB82_57 Depth=1
	s_or_b32 exec_lo, exec_lo, s17
	v_mov_b32_e32 v3, s18
	s_and_saveexec_b32 s17, s16
	s_cbranch_execz .LBB82_52
	s_branch .LBB82_186
.LBB82_154:                             ;   in Loop: Header=BB82_57 Depth=1
	v_bfe_u32 v6, v10, 20, 1
	s_mov_b32 s9, exec_lo
	s_delay_alu instid0(VALU_DEP_1) | instskip(NEXT) | instid1(VALU_DEP_1)
	v_add3_u32 v6, v10, v6, 0x487ffff
	v_lshrrev_b32_e32 v11, 20, v6
	s_or_saveexec_b32 s13, s13
                                        ; implicit-def: $sgpr15
	s_delay_alu instid0(SALU_CYCLE_1)
	s_xor_b32 exec_lo, exec_lo, s13
	s_cbranch_execz .LBB82_60
.LBB82_155:                             ;   in Loop: Header=BB82_57 Depth=1
	v_add_f32_e64 v6, 0x46000000, |v10|
	s_and_not1_b32 s9, s9, exec_lo
	s_mov_b32 s15, 0
	s_delay_alu instid0(VALU_DEP_1) | instskip(NEXT) | instid1(VALU_DEP_1)
	v_and_b32_e32 v11, 0xff, v6
	v_cmp_ne_u32_e32 vcc_lo, 0, v11
	s_and_b32 s16, vcc_lo, exec_lo
	s_delay_alu instid0(SALU_CYCLE_1)
	s_or_b32 s9, s9, s16
	s_or_b32 exec_lo, exec_lo, s13
	v_mov_b32_e32 v6, s15
	s_and_saveexec_b32 s13, s9
	s_cbranch_execnz .LBB82_61
	s_branch .LBB82_62
.LBB82_156:                             ;   in Loop: Header=BB82_57 Depth=1
	v_bfe_u32 v5, v9, 20, 1
	s_mov_b32 s9, exec_lo
	s_delay_alu instid0(VALU_DEP_1) | instskip(NEXT) | instid1(VALU_DEP_1)
	v_add3_u32 v5, v9, v5, 0x487ffff
	v_lshrrev_b32_e32 v10, 20, v5
	s_or_saveexec_b32 s13, s13
                                        ; implicit-def: $sgpr15
	s_delay_alu instid0(SALU_CYCLE_1)
	s_xor_b32 exec_lo, exec_lo, s13
	s_cbranch_execz .LBB82_66
.LBB82_157:                             ;   in Loop: Header=BB82_57 Depth=1
	v_add_f32_e64 v5, 0x46000000, |v9|
	s_and_not1_b32 s9, s9, exec_lo
	s_mov_b32 s15, 0
	s_delay_alu instid0(VALU_DEP_1) | instskip(NEXT) | instid1(VALU_DEP_1)
	v_and_b32_e32 v10, 0xff, v5
	v_cmp_ne_u32_e32 vcc_lo, 0, v10
	s_and_b32 s16, vcc_lo, exec_lo
	s_delay_alu instid0(SALU_CYCLE_1)
	s_or_b32 s9, s9, s16
	s_or_b32 exec_lo, exec_lo, s13
	v_mov_b32_e32 v5, s15
	s_and_saveexec_b32 s13, s9
	s_cbranch_execnz .LBB82_67
	s_branch .LBB82_68
.LBB82_158:                             ;   in Loop: Header=BB82_57 Depth=1
	v_bfe_u32 v8, v9, 20, 1
	s_mov_b32 s9, exec_lo
	s_delay_alu instid0(VALU_DEP_1) | instskip(NEXT) | instid1(VALU_DEP_1)
	v_add3_u32 v8, v9, v8, 0x487ffff
	v_lshrrev_b32_e32 v10, 20, v8
	s_or_saveexec_b32 s13, s13
                                        ; implicit-def: $sgpr15
	s_delay_alu instid0(SALU_CYCLE_1)
	s_xor_b32 exec_lo, exec_lo, s13
	s_cbranch_execz .LBB82_72
.LBB82_159:                             ;   in Loop: Header=BB82_57 Depth=1
	v_add_f32_e64 v8, 0x46000000, |v9|
	s_and_not1_b32 s9, s9, exec_lo
	s_mov_b32 s15, 0
	s_delay_alu instid0(VALU_DEP_1) | instskip(NEXT) | instid1(VALU_DEP_1)
	v_and_b32_e32 v10, 0xff, v8
	v_cmp_ne_u32_e32 vcc_lo, 0, v10
	s_and_b32 s16, vcc_lo, exec_lo
	s_delay_alu instid0(SALU_CYCLE_1)
	s_or_b32 s9, s9, s16
	s_or_b32 exec_lo, exec_lo, s13
	v_mov_b32_e32 v8, s15
	s_and_saveexec_b32 s13, s9
	s_cbranch_execnz .LBB82_73
	s_branch .LBB82_74
.LBB82_160:                             ;   in Loop: Header=BB82_57 Depth=1
	v_bfe_u32 v2, v3, 20, 1
	s_mov_b32 s9, exec_lo
	s_delay_alu instid0(VALU_DEP_1) | instskip(NEXT) | instid1(VALU_DEP_1)
	v_add3_u32 v2, v3, v2, 0x487ffff
	v_lshrrev_b32_e32 v4, 20, v2
	s_or_saveexec_b32 s13, s13
                                        ; implicit-def: $sgpr15
	s_delay_alu instid0(SALU_CYCLE_1)
	s_xor_b32 exec_lo, exec_lo, s13
	s_cbranch_execz .LBB82_78
.LBB82_161:                             ;   in Loop: Header=BB82_57 Depth=1
	v_add_f32_e64 v2, 0x46000000, |v3|
	s_and_not1_b32 s9, s9, exec_lo
	s_mov_b32 s15, 0
	s_delay_alu instid0(VALU_DEP_1) | instskip(NEXT) | instid1(VALU_DEP_1)
	v_and_b32_e32 v4, 0xff, v2
	v_cmp_ne_u32_e32 vcc_lo, 0, v4
	s_and_b32 s16, vcc_lo, exec_lo
	s_delay_alu instid0(SALU_CYCLE_1)
	s_or_b32 s9, s9, s16
	s_or_b32 exec_lo, exec_lo, s13
	v_mov_b32_e32 v2, s15
	s_and_saveexec_b32 s13, s9
	s_cbranch_execnz .LBB82_79
	s_branch .LBB82_80
.LBB82_162:                             ;   in Loop: Header=BB82_57 Depth=1
	v_bfe_u32 v8, v12, 20, 1
	s_mov_b32 s13, exec_lo
	s_delay_alu instid0(VALU_DEP_1) | instskip(NEXT) | instid1(VALU_DEP_1)
	v_add3_u32 v8, v12, v8, 0x487ffff
	v_lshrrev_b32_e32 v13, 20, v8
	s_or_saveexec_b32 s15, s15
                                        ; implicit-def: $sgpr16
	s_delay_alu instid0(SALU_CYCLE_1)
	s_xor_b32 exec_lo, exec_lo, s15
	s_cbranch_execz .LBB82_85
.LBB82_163:                             ;   in Loop: Header=BB82_57 Depth=1
	v_add_f32_e64 v8, 0x46000000, |v12|
	s_and_not1_b32 s13, s13, exec_lo
	s_mov_b32 s16, 0
	s_delay_alu instid0(VALU_DEP_1) | instskip(NEXT) | instid1(VALU_DEP_1)
	v_and_b32_e32 v13, 0xff, v8
	v_cmp_ne_u32_e32 vcc_lo, 0, v13
	s_and_b32 s17, vcc_lo, exec_lo
	s_delay_alu instid0(SALU_CYCLE_1)
	s_or_b32 s13, s13, s17
	s_or_b32 exec_lo, exec_lo, s15
	v_mov_b32_e32 v8, s16
	s_and_saveexec_b32 s15, s13
	s_cbranch_execnz .LBB82_86
	s_branch .LBB82_87
.LBB82_164:                             ;   in Loop: Header=BB82_57 Depth=1
	v_bfe_u32 v7, v11, 20, 1
	s_mov_b32 s13, exec_lo
	s_delay_alu instid0(VALU_DEP_1) | instskip(NEXT) | instid1(VALU_DEP_1)
	v_add3_u32 v7, v11, v7, 0x487ffff
	v_lshrrev_b32_e32 v12, 20, v7
	s_or_saveexec_b32 s15, s15
                                        ; implicit-def: $sgpr16
	s_delay_alu instid0(SALU_CYCLE_1)
	s_xor_b32 exec_lo, exec_lo, s15
	s_cbranch_execz .LBB82_91
.LBB82_165:                             ;   in Loop: Header=BB82_57 Depth=1
	v_add_f32_e64 v7, 0x46000000, |v11|
	s_and_not1_b32 s13, s13, exec_lo
	s_mov_b32 s16, 0
	s_delay_alu instid0(VALU_DEP_1) | instskip(NEXT) | instid1(VALU_DEP_1)
	v_and_b32_e32 v12, 0xff, v7
	v_cmp_ne_u32_e32 vcc_lo, 0, v12
	s_and_b32 s17, vcc_lo, exec_lo
	s_delay_alu instid0(SALU_CYCLE_1)
	s_or_b32 s13, s13, s17
	s_or_b32 exec_lo, exec_lo, s15
	v_mov_b32_e32 v7, s16
	s_and_saveexec_b32 s15, s13
	s_cbranch_execnz .LBB82_92
	s_branch .LBB82_93
.LBB82_166:                             ;   in Loop: Header=BB82_57 Depth=1
	v_bfe_u32 v10, v11, 20, 1
	s_mov_b32 s13, exec_lo
	s_delay_alu instid0(VALU_DEP_1) | instskip(NEXT) | instid1(VALU_DEP_1)
	v_add3_u32 v10, v11, v10, 0x487ffff
	v_lshrrev_b32_e32 v12, 20, v10
	s_or_saveexec_b32 s15, s15
                                        ; implicit-def: $sgpr16
	s_delay_alu instid0(SALU_CYCLE_1)
	s_xor_b32 exec_lo, exec_lo, s15
	s_cbranch_execz .LBB82_97
.LBB82_167:                             ;   in Loop: Header=BB82_57 Depth=1
	v_add_f32_e64 v10, 0x46000000, |v11|
	s_and_not1_b32 s13, s13, exec_lo
	s_mov_b32 s16, 0
	s_delay_alu instid0(VALU_DEP_1) | instskip(NEXT) | instid1(VALU_DEP_1)
	v_and_b32_e32 v12, 0xff, v10
	v_cmp_ne_u32_e32 vcc_lo, 0, v12
	s_and_b32 s17, vcc_lo, exec_lo
	s_delay_alu instid0(SALU_CYCLE_1)
	s_or_b32 s13, s13, s17
	s_or_b32 exec_lo, exec_lo, s15
	v_mov_b32_e32 v10, s16
	s_and_saveexec_b32 s15, s13
	s_cbranch_execnz .LBB82_98
	s_branch .LBB82_99
.LBB82_168:                             ;   in Loop: Header=BB82_57 Depth=1
	v_bfe_u32 v4, v5, 20, 1
	s_mov_b32 s13, exec_lo
	s_delay_alu instid0(VALU_DEP_1) | instskip(NEXT) | instid1(VALU_DEP_1)
	v_add3_u32 v4, v5, v4, 0x487ffff
	v_lshrrev_b32_e32 v6, 20, v4
	s_or_saveexec_b32 s15, s15
                                        ; implicit-def: $sgpr16
	s_delay_alu instid0(SALU_CYCLE_1)
	s_xor_b32 exec_lo, exec_lo, s15
	s_cbranch_execz .LBB82_103
.LBB82_169:                             ;   in Loop: Header=BB82_57 Depth=1
	v_add_f32_e64 v4, 0x46000000, |v5|
	s_and_not1_b32 s13, s13, exec_lo
	s_mov_b32 s16, 0
	s_delay_alu instid0(VALU_DEP_1) | instskip(NEXT) | instid1(VALU_DEP_1)
	v_and_b32_e32 v6, 0xff, v4
	v_cmp_ne_u32_e32 vcc_lo, 0, v6
	s_and_b32 s17, vcc_lo, exec_lo
	s_delay_alu instid0(SALU_CYCLE_1)
	s_or_b32 s13, s13, s17
	s_or_b32 exec_lo, exec_lo, s15
	v_mov_b32_e32 v4, s16
	s_and_saveexec_b32 s15, s13
	s_cbranch_execnz .LBB82_104
	s_branch .LBB82_105
.LBB82_170:                             ;   in Loop: Header=BB82_57 Depth=1
	v_bfe_u32 v9, v13, 20, 1
	s_mov_b32 s15, exec_lo
	s_delay_alu instid0(VALU_DEP_1) | instskip(NEXT) | instid1(VALU_DEP_1)
	v_add3_u32 v9, v13, v9, 0x487ffff
	v_lshrrev_b32_e32 v14, 20, v9
	s_or_saveexec_b32 s16, s16
                                        ; implicit-def: $sgpr17
	s_delay_alu instid0(SALU_CYCLE_1)
	s_xor_b32 exec_lo, exec_lo, s16
	s_cbranch_execz .LBB82_110
.LBB82_171:                             ;   in Loop: Header=BB82_57 Depth=1
	v_add_f32_e64 v9, 0x46000000, |v13|
	s_and_not1_b32 s15, s15, exec_lo
	s_mov_b32 s17, 0
	s_delay_alu instid0(VALU_DEP_1) | instskip(NEXT) | instid1(VALU_DEP_1)
	v_and_b32_e32 v14, 0xff, v9
	v_cmp_ne_u32_e32 vcc_lo, 0, v14
	s_and_b32 s18, vcc_lo, exec_lo
	s_delay_alu instid0(SALU_CYCLE_1)
	s_or_b32 s15, s15, s18
	s_or_b32 exec_lo, exec_lo, s16
	v_mov_b32_e32 v9, s17
	s_and_saveexec_b32 s16, s15
	s_cbranch_execnz .LBB82_111
	s_branch .LBB82_112
.LBB82_172:                             ;   in Loop: Header=BB82_57 Depth=1
	v_bfe_u32 v8, v12, 20, 1
	s_mov_b32 s15, exec_lo
	s_delay_alu instid0(VALU_DEP_1) | instskip(NEXT) | instid1(VALU_DEP_1)
	v_add3_u32 v8, v12, v8, 0x487ffff
	v_lshrrev_b32_e32 v13, 20, v8
	s_or_saveexec_b32 s16, s16
                                        ; implicit-def: $sgpr17
	s_delay_alu instid0(SALU_CYCLE_1)
	s_xor_b32 exec_lo, exec_lo, s16
	s_cbranch_execz .LBB82_116
.LBB82_173:                             ;   in Loop: Header=BB82_57 Depth=1
	v_add_f32_e64 v8, 0x46000000, |v12|
	s_and_not1_b32 s15, s15, exec_lo
	s_mov_b32 s17, 0
	s_delay_alu instid0(VALU_DEP_1) | instskip(NEXT) | instid1(VALU_DEP_1)
	v_and_b32_e32 v13, 0xff, v8
	v_cmp_ne_u32_e32 vcc_lo, 0, v13
	s_and_b32 s18, vcc_lo, exec_lo
	s_delay_alu instid0(SALU_CYCLE_1)
	s_or_b32 s15, s15, s18
	s_or_b32 exec_lo, exec_lo, s16
	v_mov_b32_e32 v8, s17
	s_and_saveexec_b32 s16, s15
	s_cbranch_execnz .LBB82_117
	s_branch .LBB82_118
.LBB82_174:                             ;   in Loop: Header=BB82_57 Depth=1
	v_bfe_u32 v11, v12, 20, 1
	s_mov_b32 s15, exec_lo
	s_delay_alu instid0(VALU_DEP_1) | instskip(NEXT) | instid1(VALU_DEP_1)
	v_add3_u32 v11, v12, v11, 0x487ffff
	v_lshrrev_b32_e32 v13, 20, v11
	s_or_saveexec_b32 s16, s16
                                        ; implicit-def: $sgpr17
	s_delay_alu instid0(SALU_CYCLE_1)
	s_xor_b32 exec_lo, exec_lo, s16
	s_cbranch_execz .LBB82_122
.LBB82_175:                             ;   in Loop: Header=BB82_57 Depth=1
	v_add_f32_e64 v11, 0x46000000, |v12|
	s_and_not1_b32 s15, s15, exec_lo
	s_mov_b32 s17, 0
	s_delay_alu instid0(VALU_DEP_1) | instskip(NEXT) | instid1(VALU_DEP_1)
	v_and_b32_e32 v13, 0xff, v11
	v_cmp_ne_u32_e32 vcc_lo, 0, v13
	s_and_b32 s18, vcc_lo, exec_lo
	s_delay_alu instid0(SALU_CYCLE_1)
	s_or_b32 s15, s15, s18
	s_or_b32 exec_lo, exec_lo, s16
	v_mov_b32_e32 v11, s17
	s_and_saveexec_b32 s16, s15
	s_cbranch_execnz .LBB82_123
	s_branch .LBB82_124
.LBB82_176:                             ;   in Loop: Header=BB82_57 Depth=1
	v_bfe_u32 v5, v6, 20, 1
	s_mov_b32 s15, exec_lo
	s_delay_alu instid0(VALU_DEP_1) | instskip(NEXT) | instid1(VALU_DEP_1)
	v_add3_u32 v5, v6, v5, 0x487ffff
	v_lshrrev_b32_e32 v7, 20, v5
	s_or_saveexec_b32 s16, s16
                                        ; implicit-def: $sgpr17
	s_delay_alu instid0(SALU_CYCLE_1)
	s_xor_b32 exec_lo, exec_lo, s16
	s_cbranch_execz .LBB82_128
.LBB82_177:                             ;   in Loop: Header=BB82_57 Depth=1
	v_add_f32_e64 v5, 0x46000000, |v6|
	s_and_not1_b32 s15, s15, exec_lo
	s_mov_b32 s17, 0
	s_delay_alu instid0(VALU_DEP_1) | instskip(NEXT) | instid1(VALU_DEP_1)
	v_and_b32_e32 v7, 0xff, v5
	v_cmp_ne_u32_e32 vcc_lo, 0, v7
	s_and_b32 s18, vcc_lo, exec_lo
	s_delay_alu instid0(SALU_CYCLE_1)
	s_or_b32 s15, s15, s18
	s_or_b32 exec_lo, exec_lo, s16
	v_mov_b32_e32 v5, s17
	s_and_saveexec_b32 s16, s15
	s_cbranch_execnz .LBB82_129
	s_branch .LBB82_130
.LBB82_178:                             ;   in Loop: Header=BB82_57 Depth=1
	v_bfe_u32 v6, v11, 20, 1
	s_mov_b32 s16, exec_lo
	s_delay_alu instid0(VALU_DEP_1) | instskip(NEXT) | instid1(VALU_DEP_1)
	v_add3_u32 v6, v11, v6, 0x487ffff
	v_lshrrev_b32_e32 v12, 20, v6
	s_or_saveexec_b32 s17, s17
                                        ; implicit-def: $sgpr18
	s_delay_alu instid0(SALU_CYCLE_1)
	s_xor_b32 exec_lo, exec_lo, s17
	s_cbranch_execz .LBB82_135
.LBB82_179:                             ;   in Loop: Header=BB82_57 Depth=1
	v_add_f32_e64 v6, 0x46000000, |v11|
	s_and_not1_b32 s16, s16, exec_lo
	s_mov_b32 s18, 0
	s_delay_alu instid0(VALU_DEP_1) | instskip(NEXT) | instid1(VALU_DEP_1)
	v_and_b32_e32 v12, 0xff, v6
	v_cmp_ne_u32_e32 vcc_lo, 0, v12
	s_and_b32 s19, vcc_lo, exec_lo
	s_delay_alu instid0(SALU_CYCLE_1)
	s_or_b32 s16, s16, s19
	s_or_b32 exec_lo, exec_lo, s17
	v_mov_b32_e32 v6, s18
	s_and_saveexec_b32 s17, s16
	s_cbranch_execnz .LBB82_136
	s_branch .LBB82_137
.LBB82_180:                             ;   in Loop: Header=BB82_57 Depth=1
	v_bfe_u32 v7, v10, 20, 1
	s_mov_b32 s16, exec_lo
	s_delay_alu instid0(VALU_DEP_1) | instskip(NEXT) | instid1(VALU_DEP_1)
	v_add3_u32 v7, v10, v7, 0x487ffff
	v_lshrrev_b32_e32 v11, 20, v7
	s_or_saveexec_b32 s17, s17
                                        ; implicit-def: $sgpr18
	s_delay_alu instid0(SALU_CYCLE_1)
	s_xor_b32 exec_lo, exec_lo, s17
	s_cbranch_execz .LBB82_141
.LBB82_181:                             ;   in Loop: Header=BB82_57 Depth=1
	v_add_f32_e64 v7, 0x46000000, |v10|
	s_and_not1_b32 s16, s16, exec_lo
	s_mov_b32 s18, 0
	s_delay_alu instid0(VALU_DEP_1) | instskip(NEXT) | instid1(VALU_DEP_1)
	v_and_b32_e32 v11, 0xff, v7
	v_cmp_ne_u32_e32 vcc_lo, 0, v11
	s_and_b32 s19, vcc_lo, exec_lo
	s_delay_alu instid0(SALU_CYCLE_1)
	s_or_b32 s16, s16, s19
	s_or_b32 exec_lo, exec_lo, s17
	v_mov_b32_e32 v7, s18
	s_and_saveexec_b32 s17, s16
	s_cbranch_execnz .LBB82_142
	s_branch .LBB82_143
.LBB82_182:                             ;   in Loop: Header=BB82_57 Depth=1
	v_bfe_u32 v9, v10, 20, 1
	s_mov_b32 s16, exec_lo
	s_delay_alu instid0(VALU_DEP_1) | instskip(NEXT) | instid1(VALU_DEP_1)
	v_add3_u32 v9, v10, v9, 0x487ffff
	v_lshrrev_b32_e32 v11, 20, v9
	s_or_saveexec_b32 s17, s17
                                        ; implicit-def: $sgpr18
	s_delay_alu instid0(SALU_CYCLE_1)
	s_xor_b32 exec_lo, exec_lo, s17
	s_cbranch_execz .LBB82_147
.LBB82_183:                             ;   in Loop: Header=BB82_57 Depth=1
	v_add_f32_e64 v9, 0x46000000, |v10|
	s_and_not1_b32 s16, s16, exec_lo
	s_mov_b32 s18, 0
	s_delay_alu instid0(VALU_DEP_1) | instskip(NEXT) | instid1(VALU_DEP_1)
	v_and_b32_e32 v11, 0xff, v9
	v_cmp_ne_u32_e32 vcc_lo, 0, v11
	s_and_b32 s19, vcc_lo, exec_lo
	s_delay_alu instid0(SALU_CYCLE_1)
	s_or_b32 s16, s16, s19
	s_or_b32 exec_lo, exec_lo, s17
	v_mov_b32_e32 v9, s18
	s_and_saveexec_b32 s17, s16
	s_cbranch_execnz .LBB82_148
	s_branch .LBB82_149
.LBB82_184:                             ;   in Loop: Header=BB82_57 Depth=1
	v_bfe_u32 v3, v4, 20, 1
	s_mov_b32 s16, exec_lo
	s_delay_alu instid0(VALU_DEP_1) | instskip(NEXT) | instid1(VALU_DEP_1)
	v_add3_u32 v3, v4, v3, 0x487ffff
	v_lshrrev_b32_e32 v5, 20, v3
	s_or_saveexec_b32 s17, s17
                                        ; implicit-def: $sgpr18
	s_delay_alu instid0(SALU_CYCLE_1)
	s_xor_b32 exec_lo, exec_lo, s17
	s_cbranch_execz .LBB82_153
.LBB82_185:                             ;   in Loop: Header=BB82_57 Depth=1
	v_add_f32_e64 v3, 0x46000000, |v4|
	s_and_not1_b32 s16, s16, exec_lo
	s_mov_b32 s18, 0
	s_delay_alu instid0(VALU_DEP_1) | instskip(NEXT) | instid1(VALU_DEP_1)
	v_and_b32_e32 v5, 0xff, v3
	v_cmp_ne_u32_e32 vcc_lo, 0, v5
	s_and_b32 s19, vcc_lo, exec_lo
	s_delay_alu instid0(SALU_CYCLE_1)
	s_or_b32 s16, s16, s19
	s_or_b32 exec_lo, exec_lo, s17
	v_mov_b32_e32 v3, s18
	s_and_saveexec_b32 s17, s16
	s_cbranch_execz .LBB82_52
.LBB82_186:                             ;   in Loop: Header=BB82_57 Depth=1
	v_lshrrev_b32_e32 v3, 24, v4
	s_delay_alu instid0(VALU_DEP_1)
	v_and_or_b32 v3, 0x80, v3, v5
	s_branch .LBB82_52
.LBB82_187:
	s_nop 0
	s_sendmsg sendmsg(MSG_DEALLOC_VGPRS)
	s_endpgm
	.section	.rodata,"a",@progbits
	.p2align	6, 0x0
	.amdhsa_kernel _ZN4vllm31rms_norm_per_block_quant_kernelIN3c108BFloat16ENS1_15Float8_e4m3fnuzELb1ELb0ELi64EEEvPT0_PfPKT_S9_PKffiiPS7_l
		.amdhsa_group_segment_fixed_size 4228
		.amdhsa_private_segment_fixed_size 0
		.amdhsa_kernarg_size 328
		.amdhsa_user_sgpr_count 15
		.amdhsa_user_sgpr_dispatch_ptr 0
		.amdhsa_user_sgpr_queue_ptr 0
		.amdhsa_user_sgpr_kernarg_segment_ptr 1
		.amdhsa_user_sgpr_dispatch_id 0
		.amdhsa_user_sgpr_private_segment_size 0
		.amdhsa_wavefront_size32 1
		.amdhsa_uses_dynamic_stack 0
		.amdhsa_enable_private_segment 0
		.amdhsa_system_sgpr_workgroup_id_x 1
		.amdhsa_system_sgpr_workgroup_id_y 0
		.amdhsa_system_sgpr_workgroup_id_z 0
		.amdhsa_system_sgpr_workgroup_info 0
		.amdhsa_system_vgpr_workitem_id 0
		.amdhsa_next_free_vgpr 54
		.amdhsa_next_free_sgpr 41
		.amdhsa_reserve_vcc 1
		.amdhsa_float_round_mode_32 0
		.amdhsa_float_round_mode_16_64 0
		.amdhsa_float_denorm_mode_32 3
		.amdhsa_float_denorm_mode_16_64 3
		.amdhsa_dx10_clamp 1
		.amdhsa_ieee_mode 1
		.amdhsa_fp16_overflow 0
		.amdhsa_workgroup_processor_mode 1
		.amdhsa_memory_ordered 1
		.amdhsa_forward_progress 0
		.amdhsa_shared_vgpr_count 0
		.amdhsa_exception_fp_ieee_invalid_op 0
		.amdhsa_exception_fp_denorm_src 0
		.amdhsa_exception_fp_ieee_div_zero 0
		.amdhsa_exception_fp_ieee_overflow 0
		.amdhsa_exception_fp_ieee_underflow 0
		.amdhsa_exception_fp_ieee_inexact 0
		.amdhsa_exception_int_div_zero 0
	.end_amdhsa_kernel
	.section	.text._ZN4vllm31rms_norm_per_block_quant_kernelIN3c108BFloat16ENS1_15Float8_e4m3fnuzELb1ELb0ELi64EEEvPT0_PfPKT_S9_PKffiiPS7_l,"axG",@progbits,_ZN4vllm31rms_norm_per_block_quant_kernelIN3c108BFloat16ENS1_15Float8_e4m3fnuzELb1ELb0ELi64EEEvPT0_PfPKT_S9_PKffiiPS7_l,comdat
.Lfunc_end82:
	.size	_ZN4vllm31rms_norm_per_block_quant_kernelIN3c108BFloat16ENS1_15Float8_e4m3fnuzELb1ELb0ELi64EEEvPT0_PfPKT_S9_PKffiiPS7_l, .Lfunc_end82-_ZN4vllm31rms_norm_per_block_quant_kernelIN3c108BFloat16ENS1_15Float8_e4m3fnuzELb1ELb0ELi64EEEvPT0_PfPKT_S9_PKffiiPS7_l
                                        ; -- End function
	.section	.AMDGPU.csdata,"",@progbits
; Kernel info:
; codeLenInByte = 16412
; NumSgprs: 43
; NumVgprs: 54
; ScratchSize: 0
; MemoryBound: 0
; FloatMode: 240
; IeeeMode: 1
; LDSByteSize: 4228 bytes/workgroup (compile time only)
; SGPRBlocks: 5
; VGPRBlocks: 6
; NumSGPRsForWavesPerEU: 43
; NumVGPRsForWavesPerEU: 54
; Occupancy: 16
; WaveLimiterHint : 0
; COMPUTE_PGM_RSRC2:SCRATCH_EN: 0
; COMPUTE_PGM_RSRC2:USER_SGPR: 15
; COMPUTE_PGM_RSRC2:TRAP_HANDLER: 0
; COMPUTE_PGM_RSRC2:TGID_X_EN: 1
; COMPUTE_PGM_RSRC2:TGID_Y_EN: 0
; COMPUTE_PGM_RSRC2:TGID_Z_EN: 0
; COMPUTE_PGM_RSRC2:TIDIG_COMP_CNT: 0
	.section	.text._ZN4vllm31rms_norm_per_block_quant_kernelIN3c108BFloat16EaLb1ELb0ELi64EEEvPT0_PfPKT_S8_PKffiiPS6_l,"axG",@progbits,_ZN4vllm31rms_norm_per_block_quant_kernelIN3c108BFloat16EaLb1ELb0ELi64EEEvPT0_PfPKT_S8_PKffiiPS6_l,comdat
	.protected	_ZN4vllm31rms_norm_per_block_quant_kernelIN3c108BFloat16EaLb1ELb0ELi64EEEvPT0_PfPKT_S8_PKffiiPS6_l ; -- Begin function _ZN4vllm31rms_norm_per_block_quant_kernelIN3c108BFloat16EaLb1ELb0ELi64EEEvPT0_PfPKT_S8_PKffiiPS6_l
	.globl	_ZN4vllm31rms_norm_per_block_quant_kernelIN3c108BFloat16EaLb1ELb0ELi64EEEvPT0_PfPKT_S8_PKffiiPS6_l
	.p2align	8
	.type	_ZN4vllm31rms_norm_per_block_quant_kernelIN3c108BFloat16EaLb1ELb0ELi64EEEvPT0_PfPKT_S8_PKffiiPS6_l,@function
_ZN4vllm31rms_norm_per_block_quant_kernelIN3c108BFloat16EaLb1ELb0ELi64EEEvPT0_PfPKT_S8_PKffiiPS6_l: ; @_ZN4vllm31rms_norm_per_block_quant_kernelIN3c108BFloat16EaLb1ELb0ELi64EEEvPT0_PfPKT_S8_PKffiiPS6_l
; %bb.0:
	s_clause 0x2
	s_load_b128 s[16:19], s[0:1], 0x28
	s_load_b256 s[4:11], s[0:1], 0x0
	s_load_b64 s[26:27], s[0:1], 0x38
	v_mov_b32_e32 v6, 0
	s_waitcnt lgkmcnt(0)
	s_ashr_i32 s3, s18, 31
	s_mul_hi_u32 s12, s18, s15
	s_mul_i32 s3, s3, s15
	s_ashr_i32 s21, s17, 31
	s_mul_i32 s2, s18, s15
	s_add_i32 s3, s12, s3
	s_mul_hi_u32 s13, s17, s15
	s_mul_i32 s12, s21, s15
	s_lshl_b64 s[24:25], s[2:3], 1
	s_mul_i32 s18, s17, s15
	s_add_i32 s19, s13, s12
	s_add_u32 s14, s8, s24
	s_addc_u32 s30, s9, s25
	s_lshl_b64 s[28:29], s[18:19], 1
	s_mov_b32 s3, 0
	s_add_u32 s31, s26, s28
	s_addc_u32 s33, s27, s29
	s_ashr_i32 s12, s17, 2
	s_add_u32 s22, s0, 0x48
	v_cmp_gt_u32_e64 s2, s12, v0
	s_mov_b32 s20, s17
	s_addc_u32 s23, s1, 0
	s_delay_alu instid0(VALU_DEP_1)
	s_and_saveexec_b32 s13, s2
	s_cbranch_execz .LBB83_10
; %bb.1:
	s_load_b32 s17, s[22:23], 0x0
	v_dual_mov_b32 v2, 0 :: v_dual_mov_b32 v1, v0
	s_waitcnt lgkmcnt(0)
	s_cmp_lt_u32 s15, s17
	s_cselect_b32 s17, 12, 18
	s_delay_alu instid0(SALU_CYCLE_1)
	s_add_u32 s34, s22, s17
	s_addc_u32 s35, s23, 0
                                        ; implicit-def: $sgpr17
	global_load_u16 v7, v2, s[34:35]
	s_waitcnt vmcnt(0)
	v_lshlrev_b32_e32 v9, 1, v7
	v_mul_lo_u32 v8, v7, 3
	v_add_nc_u32_e32 v10, v7, v7
	v_mov_b32_e32 v6, v2
	s_branch .LBB83_5
.LBB83_2:                               ;   in Loop: Header=BB83_5 Depth=1
	s_or_b32 exec_lo, exec_lo, s36
	s_delay_alu instid0(SALU_CYCLE_1)
	s_or_not1_b32 s36, s37, exec_lo
.LBB83_3:                               ;   in Loop: Header=BB83_5 Depth=1
	s_or_b32 exec_lo, exec_lo, s35
	s_delay_alu instid0(SALU_CYCLE_1) | instskip(SKIP_1) | instid1(SALU_CYCLE_1)
	s_and_not1_b32 s17, s17, exec_lo
	s_and_b32 s35, s36, exec_lo
	s_or_b32 s17, s17, s35
.LBB83_4:                               ;   in Loop: Header=BB83_5 Depth=1
	s_or_b32 exec_lo, exec_lo, s34
	s_delay_alu instid0(SALU_CYCLE_1) | instskip(NEXT) | instid1(SALU_CYCLE_1)
	s_and_b32 s34, exec_lo, s17
	s_or_b32 s3, s34, s3
	s_delay_alu instid0(SALU_CYCLE_1)
	s_and_not1_b32 exec_lo, exec_lo, s3
	s_cbranch_execz .LBB83_9
.LBB83_5:                               ; =>This Inner Loop Header: Depth=1
	v_lshlrev_b64 v[3:4], 3, v[1:2]
	s_or_b32 s17, s17, exec_lo
	s_mov_b32 s34, exec_lo
	s_delay_alu instid0(VALU_DEP_1) | instskip(NEXT) | instid1(VALU_DEP_2)
	v_add_co_u32 v11, vcc_lo, s14, v3
	v_add_co_ci_u32_e32 v12, vcc_lo, s30, v4, vcc_lo
	v_add_co_u32 v3, vcc_lo, s31, v3
	v_add_co_ci_u32_e32 v4, vcc_lo, s33, v4, vcc_lo
	global_load_b64 v[11:12], v[11:12], off
	global_load_b64 v[3:4], v[3:4], off
	s_waitcnt vmcnt(1)
	v_lshlrev_b32_e32 v5, 16, v11
	s_waitcnt vmcnt(0)
	v_lshlrev_b32_e32 v13, 16, v3
	v_and_b32_e32 v14, 0xffff0000, v11
	v_alignbit_b32 v11, v12, v11, 16
	s_delay_alu instid0(VALU_DEP_3) | instskip(NEXT) | instid1(VALU_DEP_1)
	v_add_f32_e32 v5, v5, v13
	v_dual_fmac_f32 v6, v5, v5 :: v_dual_and_b32 v5, 0xffff0000, v12
	v_and_b32_e32 v15, 0xffff0000, v3
	v_alignbit_b32 v3, v4, v3, 16
	s_delay_alu instid0(VALU_DEP_1) | instskip(SKIP_1) | instid1(VALU_DEP_1)
	v_and_b32_e32 v3, 0xffff0000, v3
	v_and_b32_e32 v4, 0xffff0000, v4
	v_dual_add_f32 v4, v5, v4 :: v_dual_and_b32 v11, 0xffff0000, v11
	v_add_f32_e32 v13, v14, v15
	s_delay_alu instid0(VALU_DEP_1) | instskip(NEXT) | instid1(VALU_DEP_1)
	v_dual_add_f32 v3, v11, v3 :: v_dual_fmac_f32 v6, v13, v13
	v_fmac_f32_e32 v6, v3, v3
	s_delay_alu instid0(VALU_DEP_1) | instskip(NEXT) | instid1(VALU_DEP_1)
	v_dual_fmac_f32 v6, v4, v4 :: v_dual_add_nc_u32 v3, v1, v7
	v_cmpx_gt_u32_e64 s12, v3
	s_cbranch_execz .LBB83_4
; %bb.6:                                ;   in Loop: Header=BB83_5 Depth=1
	v_mov_b32_e32 v4, v2
	s_mov_b32 s36, -1
	s_mov_b32 s35, exec_lo
	s_delay_alu instid0(VALU_DEP_1) | instskip(NEXT) | instid1(VALU_DEP_1)
	v_lshlrev_b64 v[4:5], 3, v[3:4]
	v_add_co_u32 v11, vcc_lo, s14, v4
	s_delay_alu instid0(VALU_DEP_2)
	v_add_co_ci_u32_e32 v12, vcc_lo, s30, v5, vcc_lo
	v_add_co_u32 v4, vcc_lo, s31, v4
	v_add_co_ci_u32_e32 v5, vcc_lo, s33, v5, vcc_lo
	global_load_b64 v[11:12], v[11:12], off
	global_load_b64 v[4:5], v[4:5], off
	s_waitcnt vmcnt(1)
	v_lshlrev_b32_e32 v13, 16, v11
	v_and_b32_e32 v15, 0xffff0000, v11
	v_alignbit_b32 v11, v12, v11, 16
	v_and_b32_e32 v12, 0xffff0000, v12
	s_waitcnt vmcnt(0)
	v_lshlrev_b32_e32 v14, 16, v4
	v_and_b32_e32 v16, 0xffff0000, v4
	v_alignbit_b32 v4, v5, v4, 16
	s_delay_alu instid0(VALU_DEP_1) | instskip(SKIP_1) | instid1(VALU_DEP_1)
	v_and_b32_e32 v4, 0xffff0000, v4
	v_and_b32_e32 v5, 0xffff0000, v5
	v_add_f32_e32 v5, v12, v5
	v_add_f32_e32 v13, v13, v14
	s_delay_alu instid0(VALU_DEP_1) | instskip(SKIP_1) | instid1(VALU_DEP_2)
	v_dual_fmac_f32 v6, v13, v13 :: v_dual_and_b32 v11, 0xffff0000, v11
	v_add_f32_e32 v14, v15, v16
	v_add_f32_e32 v4, v11, v4
	s_delay_alu instid0(VALU_DEP_2) | instskip(NEXT) | instid1(VALU_DEP_1)
	v_fmac_f32_e32 v6, v14, v14
	v_fmac_f32_e32 v6, v4, v4
	v_add_nc_u32_e32 v4, v9, v1
	s_delay_alu instid0(VALU_DEP_2) | instskip(NEXT) | instid1(VALU_DEP_2)
	v_fmac_f32_e32 v6, v5, v5
	v_cmpx_gt_u32_e64 s12, v4
	s_cbranch_execz .LBB83_3
; %bb.7:                                ;   in Loop: Header=BB83_5 Depth=1
	v_mov_b32_e32 v5, v2
	v_add_nc_u32_e32 v1, v8, v1
	s_mov_b32 s37, -1
	s_mov_b32 s36, exec_lo
	s_delay_alu instid0(VALU_DEP_2) | instskip(NEXT) | instid1(VALU_DEP_1)
	v_lshlrev_b64 v[4:5], 3, v[4:5]
	v_add_co_u32 v11, vcc_lo, s14, v4
	s_delay_alu instid0(VALU_DEP_2)
	v_add_co_ci_u32_e32 v12, vcc_lo, s30, v5, vcc_lo
	v_add_co_u32 v4, vcc_lo, s31, v4
	v_add_co_ci_u32_e32 v5, vcc_lo, s33, v5, vcc_lo
	global_load_b64 v[11:12], v[11:12], off
	global_load_b64 v[4:5], v[4:5], off
	s_waitcnt vmcnt(1)
	v_and_b32_e32 v15, 0xffff0000, v11
	s_waitcnt vmcnt(0)
	v_lshlrev_b32_e32 v14, 16, v4
	v_and_b32_e32 v16, 0xffff0000, v4
	v_lshlrev_b32_e32 v13, 16, v11
	v_alignbit_b32 v11, v12, v11, 16
	v_alignbit_b32 v4, v5, v4, 16
	s_delay_alu instid0(VALU_DEP_3) | instskip(NEXT) | instid1(VALU_DEP_1)
	v_dual_add_f32 v13, v13, v14 :: v_dual_and_b32 v12, 0xffff0000, v12
	v_fmac_f32_e32 v6, v13, v13
	s_delay_alu instid0(VALU_DEP_4) | instskip(NEXT) | instid1(VALU_DEP_1)
	v_dual_add_f32 v14, v15, v16 :: v_dual_and_b32 v11, 0xffff0000, v11
	v_dual_fmac_f32 v6, v14, v14 :: v_dual_and_b32 v5, 0xffff0000, v5
	s_delay_alu instid0(VALU_DEP_1) | instskip(NEXT) | instid1(VALU_DEP_1)
	v_dual_add_f32 v5, v12, v5 :: v_dual_and_b32 v4, 0xffff0000, v4
	v_add_f32_e32 v4, v11, v4
	s_delay_alu instid0(VALU_DEP_1) | instskip(NEXT) | instid1(VALU_DEP_1)
	v_fmac_f32_e32 v6, v4, v4
	v_fmac_f32_e32 v6, v5, v5
	v_cmpx_gt_u32_e64 s12, v1
	s_xor_b32 s36, exec_lo, s36
	s_cbranch_execz .LBB83_2
; %bb.8:                                ;   in Loop: Header=BB83_5 Depth=1
	v_lshlrev_b64 v[4:5], 3, v[1:2]
	s_delay_alu instid0(VALU_DEP_1) | instskip(NEXT) | instid1(VALU_DEP_2)
	v_add_co_u32 v11, vcc_lo, s14, v4
	v_add_co_ci_u32_e32 v12, vcc_lo, s30, v5, vcc_lo
	v_add_co_u32 v4, vcc_lo, s31, v4
	v_add_co_ci_u32_e32 v5, vcc_lo, s33, v5, vcc_lo
	global_load_b64 v[11:12], v[11:12], off
	global_load_b64 v[4:5], v[4:5], off
	s_waitcnt vmcnt(0)
	v_lshlrev_b32_e32 v13, 16, v4
	v_and_b32_e32 v14, 0xffff0000, v11
	v_alignbit_b32 v15, v5, v4, 16
	v_and_b32_e32 v4, 0xffff0000, v4
	v_lshlrev_b32_e32 v1, 16, v11
	v_alignbit_b32 v11, v12, v11, 16
	v_and_b32_e32 v12, 0xffff0000, v12
	s_delay_alu instid0(VALU_DEP_3) | instskip(NEXT) | instid1(VALU_DEP_1)
	v_dual_add_f32 v4, v14, v4 :: v_dual_add_f32 v1, v1, v13
	v_dual_fmac_f32 v6, v1, v1 :: v_dual_and_b32 v13, 0xffff0000, v15
	s_delay_alu instid0(VALU_DEP_4) | instskip(SKIP_1) | instid1(VALU_DEP_2)
	v_and_b32_e32 v11, 0xffff0000, v11
	v_add3_u32 v1, v10, v7, v3
	v_dual_fmac_f32 v6, v4, v4 :: v_dual_add_f32 v11, v11, v13
	v_and_b32_e32 v5, 0xffff0000, v5
	s_delay_alu instid0(VALU_DEP_3) | instskip(NEXT) | instid1(VALU_DEP_2)
	v_cmp_le_u32_e32 vcc_lo, s12, v1
	v_dual_fmac_f32 v6, v11, v11 :: v_dual_add_f32 v3, v12, v5
	s_or_not1_b32 s37, vcc_lo, exec_lo
	s_delay_alu instid0(VALU_DEP_1)
	v_fmac_f32_e32 v6, v3, v3
	s_branch .LBB83_2
.LBB83_9:
	s_or_b32 exec_lo, exec_lo, s3
.LBB83_10:
	s_delay_alu instid0(SALU_CYCLE_1) | instskip(SKIP_3) | instid1(VALU_DEP_2)
	s_or_b32 exec_lo, exec_lo, s13
	v_mbcnt_lo_u32_b32 v1, -1, 0
	s_load_b32 s3, s[22:23], 0xc
	v_and_b32_e32 v7, 0x3e0, v0
	v_cmp_ne_u32_e32 vcc_lo, 31, v1
	v_add_nc_u32_e32 v3, 1, v1
	v_add_co_ci_u32_e32 v2, vcc_lo, 0, v1, vcc_lo
	v_cmp_gt_u32_e32 vcc_lo, 30, v1
	s_delay_alu instid0(VALU_DEP_2)
	v_lshlrev_b32_e32 v2, 2, v2
	v_cndmask_b32_e64 v5, 0, 1, vcc_lo
	ds_bpermute_b32 v4, v2, v6
	s_waitcnt lgkmcnt(0)
	s_and_b32 s34, s3, 0xffff
	v_lshlrev_b32_e32 v5, 1, v5
	v_sub_nc_u32_e64 v12, s34, v7 clamp
	s_mov_b32 s3, exec_lo
	s_delay_alu instid0(VALU_DEP_1) | instskip(SKIP_2) | instid1(VALU_DEP_2)
	v_cmp_lt_u32_e32 vcc_lo, v3, v12
	v_add_f32_e32 v7, v6, v4
	v_add_lshl_u32 v4, v5, v1, 2
	v_cndmask_b32_e32 v7, v6, v7, vcc_lo
	v_cmp_gt_u32_e32 vcc_lo, 28, v1
	v_cndmask_b32_e64 v5, 0, 1, vcc_lo
	s_delay_alu instid0(VALU_DEP_1) | instskip(SKIP_2) | instid1(VALU_DEP_1)
	v_lshlrev_b32_e32 v8, 2, v5
	ds_bpermute_b32 v6, v4, v7
	v_add_nc_u32_e32 v5, 2, v1
	v_cmp_lt_u32_e32 vcc_lo, v5, v12
	s_waitcnt lgkmcnt(0)
	v_add_f32_e32 v9, v7, v6
	v_add_lshl_u32 v6, v8, v1, 2
	s_delay_alu instid0(VALU_DEP_2) | instskip(SKIP_3) | instid1(VALU_DEP_1)
	v_cndmask_b32_e32 v9, v7, v9, vcc_lo
	v_cmp_gt_u32_e32 vcc_lo, 24, v1
	ds_bpermute_b32 v8, v6, v9
	v_cndmask_b32_e64 v7, 0, 1, vcc_lo
	v_lshlrev_b32_e32 v10, 3, v7
	v_add_nc_u32_e32 v7, 4, v1
	s_delay_alu instid0(VALU_DEP_1) | instskip(SKIP_3) | instid1(VALU_DEP_2)
	v_cmp_lt_u32_e32 vcc_lo, v7, v12
	s_waitcnt lgkmcnt(0)
	v_add_f32_e32 v11, v9, v8
	v_add_lshl_u32 v8, v10, v1, 2
	v_cndmask_b32_e32 v11, v9, v11, vcc_lo
	v_cmp_gt_u32_e32 vcc_lo, 16, v1
	ds_bpermute_b32 v10, v8, v11
	v_cndmask_b32_e64 v9, 0, 1, vcc_lo
	s_delay_alu instid0(VALU_DEP_1) | instskip(SKIP_1) | instid1(VALU_DEP_1)
	v_lshlrev_b32_e32 v13, 4, v9
	v_add_nc_u32_e32 v9, 8, v1
	v_cmp_lt_u32_e32 vcc_lo, v9, v12
	s_waitcnt lgkmcnt(0)
	v_add_f32_e32 v14, v11, v10
	v_add_lshl_u32 v10, v13, v1, 2
	s_delay_alu instid0(VALU_DEP_2)
	v_cndmask_b32_e32 v13, v11, v14, vcc_lo
	v_add_nc_u32_e32 v11, 16, v1
	ds_bpermute_b32 v14, v10, v13
	v_cmp_lt_u32_e32 vcc_lo, v11, v12
	s_waitcnt lgkmcnt(0)
	v_add_f32_e32 v14, v13, v14
	s_delay_alu instid0(VALU_DEP_1)
	v_cndmask_b32_e32 v12, v13, v14, vcc_lo
	v_cmpx_eq_u32_e32 0, v1
	s_cbranch_execz .LBB83_12
; %bb.11:
	v_lshrrev_b32_e32 v13, 3, v0
	s_delay_alu instid0(VALU_DEP_1)
	v_and_b32_e32 v13, 0x7c, v13
	ds_store_b32 v13, v12 offset:4096
.LBB83_12:
	s_or_b32 exec_lo, exec_lo, s3
	s_delay_alu instid0(SALU_CYCLE_1)
	s_mov_b32 s3, exec_lo
	s_waitcnt lgkmcnt(0)
	s_barrier
	buffer_gl0_inv
	v_cmpx_gt_u32_e32 32, v0
	s_cbranch_execz .LBB83_14
; %bb.13:
	v_lshlrev_b32_e32 v1, 2, v1
	s_add_i32 s13, s34, 31
	s_delay_alu instid0(SALU_CYCLE_1) | instskip(NEXT) | instid1(SALU_CYCLE_1)
	s_lshr_b32 s13, s13, 5
	v_cmp_gt_u32_e32 vcc_lo, s13, v3
	ds_load_b32 v1, v1 offset:4096
	s_waitcnt lgkmcnt(0)
	ds_bpermute_b32 v2, v2, v1
	s_waitcnt lgkmcnt(0)
	v_add_f32_e32 v2, v1, v2
	s_delay_alu instid0(VALU_DEP_1) | instskip(SKIP_4) | instid1(VALU_DEP_1)
	v_cndmask_b32_e32 v1, v1, v2, vcc_lo
	v_cmp_gt_u32_e32 vcc_lo, s13, v5
	ds_bpermute_b32 v2, v4, v1
	s_waitcnt lgkmcnt(0)
	v_add_f32_e32 v2, v1, v2
	v_cndmask_b32_e32 v1, v1, v2, vcc_lo
	v_cmp_gt_u32_e32 vcc_lo, s13, v7
	ds_bpermute_b32 v2, v6, v1
	s_waitcnt lgkmcnt(0)
	v_add_f32_e32 v2, v1, v2
	s_delay_alu instid0(VALU_DEP_1) | instskip(SKIP_4) | instid1(VALU_DEP_1)
	v_cndmask_b32_e32 v1, v1, v2, vcc_lo
	v_cmp_gt_u32_e32 vcc_lo, s13, v9
	ds_bpermute_b32 v2, v8, v1
	s_waitcnt lgkmcnt(0)
	v_add_f32_e32 v2, v1, v2
	v_cndmask_b32_e32 v1, v1, v2, vcc_lo
	v_cmp_gt_u32_e32 vcc_lo, s13, v11
	ds_bpermute_b32 v2, v10, v1
	s_waitcnt lgkmcnt(0)
	v_add_f32_e32 v2, v1, v2
	s_delay_alu instid0(VALU_DEP_1)
	v_cndmask_b32_e32 v12, v1, v2, vcc_lo
.LBB83_14:
	s_or_b32 exec_lo, exec_lo, s3
	s_delay_alu instid0(SALU_CYCLE_1)
	s_mov_b32 s3, exec_lo
	v_cmpx_eq_u32_e32 0, v0
	s_cbranch_execz .LBB83_16
; %bb.15:
	v_cvt_f32_i32_e32 v1, s20
	s_delay_alu instid0(VALU_DEP_1) | instskip(SKIP_1) | instid1(VALU_DEP_2)
	v_div_scale_f32 v2, null, v1, v1, v12
	v_div_scale_f32 v5, vcc_lo, v12, v1, v12
	v_rcp_f32_e32 v3, v2
	s_waitcnt_depctr 0xfff
	v_fma_f32 v4, -v2, v3, 1.0
	s_delay_alu instid0(VALU_DEP_1) | instskip(NEXT) | instid1(VALU_DEP_1)
	v_fmac_f32_e32 v3, v4, v3
	v_mul_f32_e32 v4, v5, v3
	s_delay_alu instid0(VALU_DEP_1) | instskip(NEXT) | instid1(VALU_DEP_1)
	v_fma_f32 v6, -v2, v4, v5
	v_fmac_f32_e32 v4, v6, v3
	s_delay_alu instid0(VALU_DEP_1) | instskip(NEXT) | instid1(VALU_DEP_1)
	v_fma_f32 v2, -v2, v4, v5
	v_div_fmas_f32 v2, v2, v3, v4
	s_delay_alu instid0(VALU_DEP_1) | instskip(NEXT) | instid1(VALU_DEP_1)
	v_div_fixup_f32 v1, v2, v1, v12
	v_add_f32_e32 v1, s16, v1
	s_delay_alu instid0(VALU_DEP_1) | instskip(SKIP_1) | instid1(VALU_DEP_2)
	v_mul_f32_e32 v2, 0x4b800000, v1
	v_cmp_gt_f32_e32 vcc_lo, 0x800000, v1
	v_cndmask_b32_e32 v1, v1, v2, vcc_lo
	s_delay_alu instid0(VALU_DEP_1) | instskip(SKIP_2) | instid1(VALU_DEP_1)
	v_rsq_f32_e32 v1, v1
	s_waitcnt_depctr 0xfff
	v_mul_f32_e32 v2, 0x45800000, v1
	v_dual_cndmask_b32 v1, v1, v2 :: v_dual_mov_b32 v2, 0
	ds_store_b32 v2, v1 offset:4224
.LBB83_16:
	s_or_b32 exec_lo, exec_lo, s3
	s_ashr_i32 s3, s20, 31
	s_waitcnt lgkmcnt(0)
	s_lshr_b32 s3, s3, 26
	s_barrier
	s_add_i32 s3, s20, s3
	buffer_gl0_inv
	s_ashr_i32 s16, s3, 6
	s_ashr_i32 s3, s3, 31
	s_abs_i32 s13, s16
	s_delay_alu instid0(SALU_CYCLE_1) | instskip(SKIP_1) | instid1(VALU_DEP_1)
	v_cvt_f32_u32_e32 v1, s13
	s_sub_i32 s22, 0, s13
	v_rcp_iflag_f32_e32 v1, v1
	s_waitcnt_depctr 0xfff
	v_mul_f32_e32 v1, 0x4f7ffffe, v1
	s_delay_alu instid0(VALU_DEP_1) | instskip(NEXT) | instid1(VALU_DEP_1)
	v_cvt_u32_f32_e32 v1, v1
	v_readfirstlane_b32 s17, v1
	s_delay_alu instid0(VALU_DEP_1) | instskip(NEXT) | instid1(SALU_CYCLE_1)
	s_mul_i32 s22, s22, s17
	s_mul_hi_u32 s22, s17, s22
	s_delay_alu instid0(SALU_CYCLE_1) | instskip(NEXT) | instid1(SALU_CYCLE_1)
	s_add_i32 s17, s17, s22
	s_mul_hi_u32 s17, s34, s17
	s_delay_alu instid0(SALU_CYCLE_1) | instskip(SKIP_2) | instid1(SALU_CYCLE_1)
	s_mul_i32 s22, s17, s13
	s_add_i32 s23, s17, 1
	s_sub_i32 s22, s34, s22
	s_sub_i32 s35, s22, s13
	s_cmp_ge_u32 s22, s13
	s_cselect_b32 s17, s23, s17
	s_cselect_b32 s22, s35, s22
	s_add_i32 s23, s17, 1
	s_cmp_ge_u32 s22, s13
	s_cselect_b32 s13, s23, s17
	s_delay_alu instid0(SALU_CYCLE_1) | instskip(NEXT) | instid1(SALU_CYCLE_1)
	s_xor_b32 s13, s13, s3
	s_sub_i32 s22, s13, s3
	s_delay_alu instid0(SALU_CYCLE_1) | instskip(SKIP_3) | instid1(VALU_DEP_1)
	s_abs_i32 s3, s22
	s_ashr_i32 s23, s22, 31
	v_cvt_f32_u32_e32 v1, s3
	s_sub_i32 s13, 0, s3
	v_rcp_iflag_f32_e32 v1, v1
	s_waitcnt_depctr 0xfff
	v_mul_f32_e32 v1, 0x4f7ffffe, v1
	s_delay_alu instid0(VALU_DEP_1) | instskip(NEXT) | instid1(VALU_DEP_1)
	v_cvt_u32_f32_e32 v1, v1
	v_mul_lo_u32 v2, s13, v1
	s_ashr_i32 s13, s12, 31
	s_delay_alu instid0(VALU_DEP_1) | instskip(NEXT) | instid1(VALU_DEP_1)
	v_mul_hi_u32 v2, v1, v2
	v_add_nc_u32_e32 v1, v1, v2
	s_delay_alu instid0(VALU_DEP_1) | instskip(NEXT) | instid1(VALU_DEP_1)
	v_mul_hi_u32 v1, v0, v1
	v_mul_lo_u32 v2, v1, s3
	v_add_nc_u32_e32 v3, 1, v1
	s_delay_alu instid0(VALU_DEP_2) | instskip(NEXT) | instid1(VALU_DEP_1)
	v_sub_nc_u32_e32 v2, v0, v2
	v_subrev_nc_u32_e32 v4, s3, v2
	v_cmp_le_u32_e32 vcc_lo, s3, v2
	s_delay_alu instid0(VALU_DEP_2) | instskip(NEXT) | instid1(VALU_DEP_1)
	v_dual_cndmask_b32 v1, v1, v3 :: v_dual_cndmask_b32 v2, v2, v4
	v_dual_mov_b32 v4, 0 :: v_dual_add_nc_u32 v3, 1, v1
	s_delay_alu instid0(VALU_DEP_2) | instskip(SKIP_2) | instid1(VALU_DEP_1)
	v_cmp_le_u32_e32 vcc_lo, s3, v2
	ds_load_b32 v28, v4 offset:4224
	v_cndmask_b32_e32 v1, v1, v3, vcc_lo
	v_xor_b32_e32 v1, s23, v1
	s_delay_alu instid0(VALU_DEP_1) | instskip(NEXT) | instid1(VALU_DEP_1)
	v_subrev_nc_u32_e32 v1, s23, v1
	v_ashrrev_i32_e32 v2, 31, v1
	v_mul_lo_u32 v3, v1, s22
	s_delay_alu instid0(VALU_DEP_2) | instskip(NEXT) | instid1(VALU_DEP_2)
	v_lshlrev_b64 v[7:8], 4, v[1:2]
	v_sub_nc_u32_e32 v3, v0, v3
	s_delay_alu instid0(VALU_DEP_2) | instskip(NEXT) | instid1(VALU_DEP_3)
	v_add_co_u32 v5, vcc_lo, v7, 16
	v_add_co_ci_u32_e32 v6, vcc_lo, 0, v8, vcc_lo
	s_delay_alu instid0(VALU_DEP_1) | instskip(SKIP_4) | instid1(VALU_DEP_3)
	v_cmp_gt_i64_e32 vcc_lo, s[12:13], v[5:6]
	v_cndmask_b32_e32 v6, s13, v6, vcc_lo
	v_cndmask_b32_e32 v5, s12, v5, vcc_lo
	v_add_co_u32 v7, vcc_lo, v7, v3
	v_add_co_ci_u32_e32 v8, vcc_lo, 0, v8, vcc_lo
	v_ashrrev_i32_e32 v10, 31, v5
	v_mov_b32_e32 v9, v5
	s_mov_b32 s13, exec_lo
	s_delay_alu instid0(VALU_DEP_1)
	v_cmpx_lt_i64_e64 v[7:8], v[9:10]
	s_cbranch_execz .LBB83_26
; %bb.17:
	v_lshlrev_b64 v[13:14], 7, v[1:2]
	v_lshlrev_b64 v[11:12], 3, v[3:4]
	s_mul_i32 s3, s22, 24
	s_mul_hi_i32 s17, s22, 24
	s_add_u32 s35, s8, s3
	s_delay_alu instid0(VALU_DEP_2) | instskip(SKIP_2) | instid1(VALU_DEP_2)
	v_add_co_u32 v4, vcc_lo, s24, v13
	v_add_co_ci_u32_e32 v15, vcc_lo, s25, v14, vcc_lo
	s_addc_u32 s24, s9, s17
	v_add_co_u32 v17, vcc_lo, s35, v4
	s_lshl_b64 s[36:37], s[22:23], 4
	s_delay_alu instid0(VALU_DEP_2)
	v_add_co_ci_u32_e32 v18, vcc_lo, s24, v15, vcc_lo
	s_lshl_b64 s[24:25], s[22:23], 5
	s_add_u32 s35, s8, s36
	s_addc_u32 s40, s9, s37
	s_lshl_b64 s[38:39], s[22:23], 3
	v_add_co_u32 v19, vcc_lo, s35, v4
	s_add_u32 s35, s8, s38
	v_add_co_ci_u32_e32 v20, vcc_lo, s40, v15, vcc_lo
	s_addc_u32 s40, s9, s39
	v_add_co_u32 v21, vcc_lo, s35, v4
	v_add_co_ci_u32_e32 v22, vcc_lo, s40, v15, vcc_lo
	v_add_co_u32 v23, vcc_lo, s8, v4
	s_add_u32 s8, s10, s3
	v_add_co_ci_u32_e32 v24, vcc_lo, s9, v15, vcc_lo
	s_addc_u32 s9, s11, s17
	v_add_co_u32 v25, vcc_lo, s8, v13
	s_add_u32 s8, s10, s36
	v_add_co_ci_u32_e32 v26, vcc_lo, s9, v14, vcc_lo
	s_addc_u32 s9, s11, s37
	;; [unrolled: 4-line block ×3, first 2 shown]
	v_add_co_u32 v30, vcc_lo, s8, v13
	v_add_co_ci_u32_e32 v31, vcc_lo, s9, v14, vcc_lo
	v_add_co_u32 v32, vcc_lo, s10, v13
	v_add_co_ci_u32_e32 v33, vcc_lo, s11, v14, vcc_lo
	;; [unrolled: 2-line block ×3, first 2 shown]
	s_add_u32 s3, s26, s3
	s_addc_u32 s8, s27, s17
	s_delay_alu instid0(VALU_DEP_2)
	v_add_co_u32 v34, vcc_lo, s3, v4
	s_add_u32 s3, s26, s36
	v_add_co_ci_u32_e32 v35, vcc_lo, s8, v13, vcc_lo
	s_addc_u32 s8, s27, s37
	v_add_co_u32 v36, vcc_lo, s3, v4
	s_add_u32 s3, s26, s38
	v_add_co_ci_u32_e32 v37, vcc_lo, s8, v13, vcc_lo
	s_addc_u32 s8, s27, s39
	v_add_co_u32 v38, vcc_lo, s3, v4
	v_add_co_ci_u32_e32 v39, vcc_lo, s8, v13, vcc_lo
	v_add_co_u32 v40, vcc_lo, s26, v4
	v_add_co_ci_u32_e32 v41, vcc_lo, s27, v13, vcc_lo
	v_mov_b32_e32 v14, v8
	v_dual_mov_b32 v4, 0 :: v_dual_mov_b32 v13, v7
	s_mul_hi_i32 s17, s22, 3
	s_mul_i32 s26, s22, 3
	s_lshl_b64 s[8:9], s[22:23], 1
	s_mov_b32 s27, 0
                                        ; implicit-def: $sgpr28
	s_branch .LBB83_21
.LBB83_18:                              ;   in Loop: Header=BB83_21 Depth=1
	s_or_b32 exec_lo, exec_lo, s36
	s_delay_alu instid0(SALU_CYCLE_1)
	s_or_not1_b32 s3, s3, exec_lo
.LBB83_19:                              ;   in Loop: Header=BB83_21 Depth=1
	s_or_b32 exec_lo, exec_lo, s35
	s_delay_alu instid0(SALU_CYCLE_1) | instskip(SKIP_1) | instid1(SALU_CYCLE_1)
	s_and_not1_b32 s28, s28, exec_lo
	s_and_b32 s3, s3, exec_lo
	s_or_b32 s28, s28, s3
.LBB83_20:                              ;   in Loop: Header=BB83_21 Depth=1
	s_or_b32 exec_lo, exec_lo, s29
	s_delay_alu instid0(SALU_CYCLE_1) | instskip(NEXT) | instid1(SALU_CYCLE_1)
	s_and_b32 s3, exec_lo, s28
	s_or_b32 s27, s3, s27
	s_delay_alu instid0(SALU_CYCLE_1)
	s_and_not1_b32 exec_lo, exec_lo, s27
	s_cbranch_execz .LBB83_25
.LBB83_21:                              ; =>This Inner Loop Header: Depth=1
	v_add_co_u32 v15, vcc_lo, v23, v11
	v_add_co_ci_u32_e32 v16, vcc_lo, v24, v12, vcc_lo
	v_add_co_u32 v42, vcc_lo, v32, v11
	v_add_co_ci_u32_e32 v43, vcc_lo, v33, v12, vcc_lo
	;; [unrolled: 2-line block ×3, first 2 shown]
	global_load_b64 v[15:16], v[15:16], off
	global_load_b64 v[42:43], v[42:43], off
	;; [unrolled: 1-line block ×3, first 2 shown]
	s_or_b32 s28, s28, exec_lo
	s_mov_b32 s29, exec_lo
	s_waitcnt vmcnt(2)
	v_lshlrev_b32_e32 v48, 16, v15
	s_waitcnt vmcnt(0)
	v_and_b32_e32 v50, 0xffff0000, v44
	v_lshlrev_b32_e32 v49, 16, v44
	v_alignbit_b32 v44, v45, v44, 16
	s_delay_alu instid0(VALU_DEP_1) | instskip(SKIP_2) | instid1(VALU_DEP_1)
	v_and_b32_e32 v44, 0xffff0000, v44
	v_and_b32_e32 v46, 0xffff0000, v15
	v_alignbit_b32 v15, v16, v15, 16
	v_and_b32_e32 v15, 0xffff0000, v15
	s_delay_alu instid0(VALU_DEP_1) | instskip(SKIP_2) | instid1(VALU_DEP_2)
	v_dual_add_f32 v15, v15, v44 :: v_dual_add_f32 v46, v46, v50
	v_dual_add_f32 v48, v48, v49 :: v_dual_and_b32 v47, 0xffff0000, v42
	s_waitcnt lgkmcnt(0)
	v_dual_mul_f32 v15, v28, v15 :: v_dual_and_b32 v16, 0xffff0000, v16
	s_delay_alu instid0(VALU_DEP_3) | instskip(NEXT) | instid1(VALU_DEP_3)
	v_dual_mul_f32 v46, v28, v46 :: v_dual_and_b32 v45, 0xffff0000, v45
	v_mul_f32_e32 v48, v28, v48
	s_delay_alu instid0(VALU_DEP_3) | instskip(NEXT) | instid1(VALU_DEP_3)
	v_bfe_u32 v51, v15, 16, 1
	v_dual_add_f32 v16, v16, v45 :: v_dual_lshlrev_b32 v45, 16, v42
	s_delay_alu instid0(VALU_DEP_3) | instskip(SKIP_1) | instid1(VALU_DEP_3)
	v_bfe_u32 v44, v48, 16, 1
	v_alignbit_b32 v42, v43, v42, 16
	v_dual_mul_f32 v16, v28, v16 :: v_dual_and_b32 v43, 0xffff0000, v43
	v_bfe_u32 v49, v46, 16, 1
	s_delay_alu instid0(VALU_DEP_4)
	v_add3_u32 v44, v48, v44, 0x7fff
	v_cmp_o_f32_e32 vcc_lo, v48, v48
	v_and_b32_e32 v42, 0xffff0000, v42
	v_bfe_u32 v50, v16, 16, 1
	v_add3_u32 v49, v46, v49, 0x7fff
	v_and_b32_e32 v44, 0xffff0000, v44
	v_add3_u32 v51, v15, v51, 0x7fff
	s_delay_alu instid0(VALU_DEP_4) | instskip(NEXT) | instid1(VALU_DEP_4)
	v_add3_u32 v50, v16, v50, 0x7fff
	v_and_b32_e32 v49, 0xffff0000, v49
	s_delay_alu instid0(VALU_DEP_4)
	v_cndmask_b32_e32 v44, 0x7fc00000, v44, vcc_lo
	v_cmp_o_f32_e32 vcc_lo, v46, v46
	v_and_b32_e32 v48, 0xffff0000, v51
	v_and_b32_e32 v50, 0xffff0000, v50
	v_cndmask_b32_e32 v46, 0x7fc00000, v49, vcc_lo
	v_cmp_o_f32_e32 vcc_lo, v16, v16
	s_delay_alu instid0(VALU_DEP_3) | instskip(SKIP_1) | instid1(VALU_DEP_4)
	v_cndmask_b32_e32 v16, 0x7fc00000, v50, vcc_lo
	v_cmp_o_f32_e32 vcc_lo, v15, v15
	v_dual_mul_f32 v44, v44, v45 :: v_dual_mul_f32 v45, v46, v47
	s_delay_alu instid0(VALU_DEP_3) | instskip(SKIP_1) | instid1(VALU_DEP_3)
	v_mul_f32_e32 v43, v16, v43
	v_cndmask_b32_e32 v15, 0x7fc00000, v48, vcc_lo
	v_bfe_u32 v46, v44, 16, 1
	s_delay_alu instid0(VALU_DEP_4) | instskip(SKIP_1) | instid1(VALU_DEP_4)
	v_bfe_u32 v16, v45, 16, 1
	v_cmp_o_f32_e32 vcc_lo, v44, v44
	v_mul_f32_e32 v42, v15, v42
	s_delay_alu instid0(VALU_DEP_4) | instskip(NEXT) | instid1(VALU_DEP_4)
	v_add3_u32 v15, v44, v46, 0x7fff
	v_add3_u32 v16, v45, v16, 0x7fff
	v_bfe_u32 v46, v43, 16, 1
	s_delay_alu instid0(VALU_DEP_4) | instskip(NEXT) | instid1(VALU_DEP_4)
	v_bfe_u32 v47, v42, 16, 1
	v_and_b32_e32 v15, 0xffff0000, v15
	s_delay_alu instid0(VALU_DEP_4) | instskip(NEXT) | instid1(VALU_DEP_4)
	v_and_b32_e32 v16, 0xffff0000, v16
	v_add3_u32 v46, v43, v46, 0x7fff
	s_delay_alu instid0(VALU_DEP_4) | instskip(NEXT) | instid1(VALU_DEP_4)
	v_add3_u32 v47, v42, v47, 0x7fff
	v_cndmask_b32_e64 v44, 0x7fc00000, |v15|, vcc_lo
	v_cmp_o_f32_e32 vcc_lo, v45, v45
	s_delay_alu instid0(VALU_DEP_4) | instskip(NEXT) | instid1(VALU_DEP_4)
	v_and_b32_e32 v46, 0xffff0000, v46
	v_and_b32_e32 v47, 0xffff0000, v47
	v_cndmask_b32_e64 v45, 0x7fc00000, |v16|, vcc_lo
	v_add_co_u32 v15, vcc_lo, v13, s22
	v_add_co_ci_u32_e32 v16, vcc_lo, s23, v14, vcc_lo
	v_cmp_o_f32_e32 vcc_lo, v42, v42
	s_delay_alu instid0(VALU_DEP_4) | instskip(SKIP_3) | instid1(VALU_DEP_1)
	v_max3_f32 v4, v4, v44, v45
	v_cndmask_b32_e64 v42, 0x7fc00000, |v47|, vcc_lo
	v_cmp_o_f32_e32 vcc_lo, v43, v43
	v_cndmask_b32_e64 v43, 0x7fc00000, |v46|, vcc_lo
	v_max3_f32 v4, v4, v42, v43
	v_cmpx_lt_i64_e64 v[15:16], v[9:10]
	s_cbranch_execz .LBB83_20
; %bb.22:                               ;   in Loop: Header=BB83_21 Depth=1
	v_add_co_u32 v42, vcc_lo, v21, v11
	v_add_co_ci_u32_e32 v43, vcc_lo, v22, v12, vcc_lo
	v_add_co_u32 v44, vcc_lo, v30, v11
	v_add_co_ci_u32_e32 v45, vcc_lo, v31, v12, vcc_lo
	;; [unrolled: 2-line block ×3, first 2 shown]
	global_load_b64 v[42:43], v[42:43], off
	global_load_b64 v[44:45], v[44:45], off
	;; [unrolled: 1-line block ×3, first 2 shown]
	s_mov_b32 s3, -1
	s_mov_b32 s35, exec_lo
	s_waitcnt vmcnt(2)
	v_lshlrev_b32_e32 v50, 16, v42
	s_waitcnt vmcnt(0)
	v_lshlrev_b32_e32 v51, 16, v46
	v_and_b32_e32 v52, 0xffff0000, v46
	v_alignbit_b32 v46, v47, v46, 16
	v_and_b32_e32 v47, 0xffff0000, v47
	v_and_b32_e32 v48, 0xffff0000, v42
	v_alignbit_b32 v42, v43, v42, 16
	v_and_b32_e32 v43, 0xffff0000, v43
	s_delay_alu instid0(VALU_DEP_1) | instskip(NEXT) | instid1(VALU_DEP_4)
	v_dual_add_f32 v43, v43, v47 :: v_dual_and_b32 v46, 0xffff0000, v46
	v_add_f32_e32 v48, v48, v52
	v_lshlrev_b32_e32 v47, 16, v44
	s_delay_alu instid0(VALU_DEP_3) | instskip(NEXT) | instid1(VALU_DEP_3)
	v_mul_f32_e32 v43, v28, v43
	v_mul_f32_e32 v48, v28, v48
	v_dual_add_f32 v50, v50, v51 :: v_dual_and_b32 v49, 0xffff0000, v44
	v_alignbit_b32 v44, v45, v44, 16
	v_and_b32_e32 v45, 0xffff0000, v45
	v_and_b32_e32 v42, 0xffff0000, v42
	v_bfe_u32 v51, v48, 16, 1
	v_mul_f32_e32 v50, v28, v50
	v_bfe_u32 v52, v43, 16, 1
	v_and_b32_e32 v44, 0xffff0000, v44
	v_add_f32_e32 v42, v42, v46
	v_add3_u32 v51, v48, v51, 0x7fff
	v_bfe_u32 v46, v50, 16, 1
	v_cmp_o_f32_e32 vcc_lo, v50, v50
	v_add3_u32 v52, v43, v52, 0x7fff
	s_delay_alu instid0(VALU_DEP_4) | instskip(NEXT) | instid1(VALU_DEP_4)
	v_dual_mul_f32 v42, v28, v42 :: v_dual_and_b32 v51, 0xffff0000, v51
	v_add3_u32 v46, v50, v46, 0x7fff
	s_delay_alu instid0(VALU_DEP_3) | instskip(NEXT) | instid1(VALU_DEP_3)
	v_and_b32_e32 v52, 0xffff0000, v52
	v_bfe_u32 v53, v42, 16, 1
	s_delay_alu instid0(VALU_DEP_3) | instskip(NEXT) | instid1(VALU_DEP_2)
	v_and_b32_e32 v46, 0xffff0000, v46
	v_add3_u32 v53, v42, v53, 0x7fff
	s_delay_alu instid0(VALU_DEP_2) | instskip(SKIP_1) | instid1(VALU_DEP_3)
	v_cndmask_b32_e32 v46, 0x7fc00000, v46, vcc_lo
	v_cmp_o_f32_e32 vcc_lo, v48, v48
	v_and_b32_e32 v50, 0xffff0000, v53
	s_delay_alu instid0(VALU_DEP_3) | instskip(SKIP_2) | instid1(VALU_DEP_2)
	v_mul_f32_e32 v46, v46, v47
	v_cndmask_b32_e32 v48, 0x7fc00000, v51, vcc_lo
	v_cmp_o_f32_e32 vcc_lo, v43, v43
	v_mul_f32_e32 v47, v48, v49
	v_cndmask_b32_e32 v43, 0x7fc00000, v52, vcc_lo
	v_cmp_o_f32_e32 vcc_lo, v42, v42
	v_bfe_u32 v48, v46, 16, 1
	s_delay_alu instid0(VALU_DEP_3) | instskip(SKIP_2) | instid1(VALU_DEP_2)
	v_dual_mul_f32 v45, v43, v45 :: v_dual_cndmask_b32 v42, 0x7fc00000, v50
	v_bfe_u32 v43, v47, 16, 1
	v_cmp_o_f32_e32 vcc_lo, v46, v46
	v_add3_u32 v43, v47, v43, 0x7fff
	s_delay_alu instid0(VALU_DEP_4) | instskip(SKIP_2) | instid1(VALU_DEP_4)
	v_mul_f32_e32 v44, v42, v44
	v_add3_u32 v42, v46, v48, 0x7fff
	v_bfe_u32 v48, v45, 16, 1
	v_and_b32_e32 v43, 0xffff0000, v43
	s_delay_alu instid0(VALU_DEP_4) | instskip(NEXT) | instid1(VALU_DEP_4)
	v_bfe_u32 v49, v44, 16, 1
	v_and_b32_e32 v42, 0xffff0000, v42
	s_delay_alu instid0(VALU_DEP_4) | instskip(NEXT) | instid1(VALU_DEP_3)
	v_add3_u32 v48, v45, v48, 0x7fff
	v_add3_u32 v49, v44, v49, 0x7fff
	s_delay_alu instid0(VALU_DEP_3) | instskip(SKIP_1) | instid1(VALU_DEP_4)
	v_cndmask_b32_e64 v46, 0x7fc00000, |v42|, vcc_lo
	v_cmp_o_f32_e32 vcc_lo, v47, v47
	v_and_b32_e32 v48, 0xffff0000, v48
	s_delay_alu instid0(VALU_DEP_4) | instskip(SKIP_4) | instid1(VALU_DEP_4)
	v_and_b32_e32 v49, 0xffff0000, v49
	v_cndmask_b32_e64 v47, 0x7fc00000, |v43|, vcc_lo
	v_add_co_u32 v42, vcc_lo, s8, v13
	v_add_co_ci_u32_e32 v43, vcc_lo, s9, v14, vcc_lo
	v_cmp_o_f32_e32 vcc_lo, v44, v44
	v_max3_f32 v4, v4, v46, v47
	v_cndmask_b32_e64 v44, 0x7fc00000, |v49|, vcc_lo
	v_cmp_o_f32_e32 vcc_lo, v45, v45
	v_cndmask_b32_e64 v45, 0x7fc00000, |v48|, vcc_lo
	s_delay_alu instid0(VALU_DEP_1)
	v_max3_f32 v4, v4, v44, v45
	v_cmpx_lt_i64_e64 v[42:43], v[9:10]
	s_cbranch_execz .LBB83_19
; %bb.23:                               ;   in Loop: Header=BB83_21 Depth=1
	v_add_co_u32 v42, vcc_lo, v19, v11
	v_add_co_ci_u32_e32 v43, vcc_lo, v20, v12, vcc_lo
	v_add_co_u32 v44, vcc_lo, v27, v11
	v_add_co_ci_u32_e32 v45, vcc_lo, v29, v12, vcc_lo
	;; [unrolled: 2-line block ×3, first 2 shown]
	global_load_b64 v[42:43], v[42:43], off
	global_load_b64 v[44:45], v[44:45], off
	;; [unrolled: 1-line block ×3, first 2 shown]
	s_waitcnt vmcnt(2)
	v_lshlrev_b32_e32 v50, 16, v42
	s_waitcnt vmcnt(0)
	v_lshlrev_b32_e32 v51, 16, v46
	v_and_b32_e32 v52, 0xffff0000, v46
	v_alignbit_b32 v46, v47, v46, 16
	v_and_b32_e32 v47, 0xffff0000, v47
	v_and_b32_e32 v48, 0xffff0000, v42
	v_alignbit_b32 v42, v43, v42, 16
	v_and_b32_e32 v43, 0xffff0000, v43
	s_delay_alu instid0(VALU_DEP_1) | instskip(NEXT) | instid1(VALU_DEP_4)
	v_dual_add_f32 v43, v43, v47 :: v_dual_and_b32 v46, 0xffff0000, v46
	v_add_f32_e32 v48, v48, v52
	v_lshlrev_b32_e32 v47, 16, v44
	s_delay_alu instid0(VALU_DEP_3) | instskip(NEXT) | instid1(VALU_DEP_3)
	v_mul_f32_e32 v43, v28, v43
	v_mul_f32_e32 v48, v28, v48
	v_dual_add_f32 v50, v50, v51 :: v_dual_and_b32 v49, 0xffff0000, v44
	v_alignbit_b32 v44, v45, v44, 16
	v_and_b32_e32 v45, 0xffff0000, v45
	v_and_b32_e32 v42, 0xffff0000, v42
	v_bfe_u32 v51, v48, 16, 1
	v_mul_f32_e32 v50, v28, v50
	v_bfe_u32 v52, v43, 16, 1
	v_and_b32_e32 v44, 0xffff0000, v44
	v_add_f32_e32 v42, v42, v46
	v_add3_u32 v51, v48, v51, 0x7fff
	v_bfe_u32 v46, v50, 16, 1
	v_cmp_o_f32_e32 vcc_lo, v50, v50
	v_add3_u32 v52, v43, v52, 0x7fff
	s_delay_alu instid0(VALU_DEP_4) | instskip(NEXT) | instid1(VALU_DEP_4)
	v_dual_mul_f32 v42, v28, v42 :: v_dual_and_b32 v51, 0xffff0000, v51
	v_add3_u32 v46, v50, v46, 0x7fff
	s_delay_alu instid0(VALU_DEP_3) | instskip(NEXT) | instid1(VALU_DEP_3)
	v_and_b32_e32 v52, 0xffff0000, v52
	v_bfe_u32 v53, v42, 16, 1
	s_delay_alu instid0(VALU_DEP_3) | instskip(NEXT) | instid1(VALU_DEP_2)
	v_and_b32_e32 v46, 0xffff0000, v46
	v_add3_u32 v53, v42, v53, 0x7fff
	s_delay_alu instid0(VALU_DEP_2) | instskip(SKIP_1) | instid1(VALU_DEP_3)
	v_cndmask_b32_e32 v46, 0x7fc00000, v46, vcc_lo
	v_cmp_o_f32_e32 vcc_lo, v48, v48
	v_and_b32_e32 v50, 0xffff0000, v53
	s_delay_alu instid0(VALU_DEP_3) | instskip(SKIP_2) | instid1(VALU_DEP_2)
	v_mul_f32_e32 v46, v46, v47
	v_cndmask_b32_e32 v48, 0x7fc00000, v51, vcc_lo
	v_cmp_o_f32_e32 vcc_lo, v43, v43
	v_mul_f32_e32 v47, v48, v49
	v_cndmask_b32_e32 v43, 0x7fc00000, v52, vcc_lo
	v_cmp_o_f32_e32 vcc_lo, v42, v42
	v_bfe_u32 v48, v46, 16, 1
	s_delay_alu instid0(VALU_DEP_3) | instskip(SKIP_2) | instid1(VALU_DEP_2)
	v_dual_mul_f32 v43, v43, v45 :: v_dual_cndmask_b32 v42, 0x7fc00000, v50
	v_bfe_u32 v45, v47, 16, 1
	v_cmp_o_f32_e32 vcc_lo, v46, v46
	v_add3_u32 v45, v47, v45, 0x7fff
	s_delay_alu instid0(VALU_DEP_4) | instskip(SKIP_2) | instid1(VALU_DEP_4)
	v_mul_f32_e32 v42, v42, v44
	v_add3_u32 v44, v46, v48, 0x7fff
	v_bfe_u32 v48, v43, 16, 1
	v_and_b32_e32 v45, 0xffff0000, v45
	s_delay_alu instid0(VALU_DEP_4) | instskip(NEXT) | instid1(VALU_DEP_4)
	v_bfe_u32 v49, v42, 16, 1
	v_and_b32_e32 v44, 0xffff0000, v44
	s_delay_alu instid0(VALU_DEP_4) | instskip(NEXT) | instid1(VALU_DEP_3)
	v_add3_u32 v48, v43, v48, 0x7fff
	v_add3_u32 v49, v42, v49, 0x7fff
	s_delay_alu instid0(VALU_DEP_3) | instskip(SKIP_1) | instid1(VALU_DEP_4)
	v_cndmask_b32_e64 v44, 0x7fc00000, |v44|, vcc_lo
	v_cmp_o_f32_e32 vcc_lo, v47, v47
	v_and_b32_e32 v47, 0xffff0000, v48
	s_delay_alu instid0(VALU_DEP_4) | instskip(SKIP_4) | instid1(VALU_DEP_4)
	v_and_b32_e32 v46, 0xffff0000, v49
	v_cndmask_b32_e64 v45, 0x7fc00000, |v45|, vcc_lo
	v_add_co_u32 v13, vcc_lo, s26, v13
	v_add_co_ci_u32_e32 v14, vcc_lo, s17, v14, vcc_lo
	v_cmp_o_f32_e32 vcc_lo, v42, v42
	v_max3_f32 v4, v4, v44, v45
	v_cndmask_b32_e64 v42, 0x7fc00000, |v46|, vcc_lo
	v_cmp_o_f32_e32 vcc_lo, v43, v43
	v_cndmask_b32_e64 v43, 0x7fc00000, |v47|, vcc_lo
	v_cmp_lt_i64_e32 vcc_lo, v[13:14], v[9:10]
                                        ; implicit-def: $vgpr13_vgpr14
	s_delay_alu instid0(VALU_DEP_2) | instskip(SKIP_1) | instid1(SALU_CYCLE_1)
	v_max3_f32 v4, v4, v42, v43
	s_and_saveexec_b32 s36, vcc_lo
	s_xor_b32 s36, exec_lo, s36
	s_cbranch_execz .LBB83_18
; %bb.24:                               ;   in Loop: Header=BB83_21 Depth=1
	v_add_co_u32 v13, vcc_lo, v17, v11
	v_add_co_ci_u32_e32 v14, vcc_lo, v18, v12, vcc_lo
	v_add_co_u32 v42, vcc_lo, v25, v11
	v_add_co_ci_u32_e32 v43, vcc_lo, v26, v12, vcc_lo
	;; [unrolled: 2-line block ×3, first 2 shown]
	global_load_b64 v[13:14], v[13:14], off
	global_load_b64 v[42:43], v[42:43], off
	;; [unrolled: 1-line block ×3, first 2 shown]
	v_add_co_u32 v17, vcc_lo, v17, s24
	v_add_co_ci_u32_e32 v18, vcc_lo, s25, v18, vcc_lo
	v_add_co_u32 v19, vcc_lo, v19, s24
	v_add_co_ci_u32_e32 v20, vcc_lo, s25, v20, vcc_lo
	;; [unrolled: 2-line block ×10, first 2 shown]
	s_add_u32 s3, s22, s22
	s_addc_u32 s37, s23, s23
	s_add_u32 s3, s3, s22
	s_addc_u32 s37, s37, s23
	s_waitcnt vmcnt(2)
	v_lshlrev_b32_e32 v48, 16, v13
	s_waitcnt vmcnt(0)
	v_and_b32_e32 v50, 0xffff0000, v44
	v_lshlrev_b32_e32 v49, 16, v44
	v_alignbit_b32 v44, v45, v44, 16
	s_delay_alu instid0(VALU_DEP_1) | instskip(SKIP_2) | instid1(VALU_DEP_1)
	v_and_b32_e32 v44, 0xffff0000, v44
	v_and_b32_e32 v46, 0xffff0000, v13
	v_alignbit_b32 v13, v14, v13, 16
	v_and_b32_e32 v13, 0xffff0000, v13
	s_delay_alu instid0(VALU_DEP_1) | instskip(SKIP_1) | instid1(VALU_DEP_2)
	v_dual_add_f32 v13, v13, v44 :: v_dual_add_f32 v46, v46, v50
	v_dual_add_f32 v48, v48, v49 :: v_dual_and_b32 v47, 0xffff0000, v42
	v_dual_mul_f32 v13, v28, v13 :: v_dual_and_b32 v14, 0xffff0000, v14
	s_delay_alu instid0(VALU_DEP_3) | instskip(NEXT) | instid1(VALU_DEP_3)
	v_dual_mul_f32 v46, v28, v46 :: v_dual_and_b32 v45, 0xffff0000, v45
	v_mul_f32_e32 v48, v28, v48
	s_delay_alu instid0(VALU_DEP_3) | instskip(NEXT) | instid1(VALU_DEP_3)
	v_bfe_u32 v51, v13, 16, 1
	v_dual_add_f32 v14, v14, v45 :: v_dual_lshlrev_b32 v45, 16, v42
	s_delay_alu instid0(VALU_DEP_3) | instskip(SKIP_2) | instid1(VALU_DEP_4)
	v_bfe_u32 v44, v48, 16, 1
	v_bfe_u32 v49, v46, 16, 1
	v_alignbit_b32 v42, v43, v42, 16
	v_dual_mul_f32 v14, v28, v14 :: v_dual_and_b32 v43, 0xffff0000, v43
	s_delay_alu instid0(VALU_DEP_4) | instskip(NEXT) | instid1(VALU_DEP_4)
	v_add3_u32 v44, v48, v44, 0x7fff
	v_add3_u32 v49, v46, v49, 0x7fff
	v_cmp_o_f32_e32 vcc_lo, v48, v48
	s_delay_alu instid0(VALU_DEP_4)
	v_bfe_u32 v50, v14, 16, 1
	v_and_b32_e32 v42, 0xffff0000, v42
	v_and_b32_e32 v44, 0xffff0000, v44
	;; [unrolled: 1-line block ×3, first 2 shown]
	v_add3_u32 v51, v13, v51, 0x7fff
	v_add3_u32 v50, v14, v50, 0x7fff
	s_delay_alu instid0(VALU_DEP_4) | instskip(SKIP_1) | instid1(VALU_DEP_4)
	v_cndmask_b32_e32 v44, 0x7fc00000, v44, vcc_lo
	v_cmp_o_f32_e32 vcc_lo, v46, v46
	v_and_b32_e32 v48, 0xffff0000, v51
	s_delay_alu instid0(VALU_DEP_4) | instskip(SKIP_2) | instid1(VALU_DEP_3)
	v_and_b32_e32 v50, 0xffff0000, v50
	v_cndmask_b32_e32 v46, 0x7fc00000, v49, vcc_lo
	v_cmp_o_f32_e32 vcc_lo, v14, v14
	v_cndmask_b32_e32 v14, 0x7fc00000, v50, vcc_lo
	v_cmp_o_f32_e32 vcc_lo, v13, v13
	s_delay_alu instid0(VALU_DEP_4) | instskip(NEXT) | instid1(VALU_DEP_3)
	v_dual_mul_f32 v44, v44, v45 :: v_dual_mul_f32 v45, v46, v47
	v_mul_f32_e32 v43, v14, v43
	v_cndmask_b32_e32 v13, 0x7fc00000, v48, vcc_lo
	s_delay_alu instid0(VALU_DEP_3) | instskip(NEXT) | instid1(VALU_DEP_4)
	v_bfe_u32 v14, v44, 16, 1
	v_bfe_u32 v46, v45, 16, 1
	v_cmp_o_f32_e32 vcc_lo, v44, v44
	s_delay_alu instid0(VALU_DEP_4) | instskip(NEXT) | instid1(VALU_DEP_4)
	v_mul_f32_e32 v42, v13, v42
	v_add3_u32 v14, v44, v14, 0x7fff
	v_bfe_u32 v13, v43, 16, 1
	v_add3_u32 v46, v45, v46, 0x7fff
	s_delay_alu instid0(VALU_DEP_4) | instskip(NEXT) | instid1(VALU_DEP_4)
	v_bfe_u32 v47, v42, 16, 1
	v_and_b32_e32 v14, 0xffff0000, v14
	s_delay_alu instid0(VALU_DEP_4) | instskip(NEXT) | instid1(VALU_DEP_4)
	v_add3_u32 v13, v43, v13, 0x7fff
	v_and_b32_e32 v46, 0xffff0000, v46
	s_delay_alu instid0(VALU_DEP_4) | instskip(NEXT) | instid1(VALU_DEP_4)
	v_add3_u32 v47, v42, v47, 0x7fff
	v_cndmask_b32_e64 v44, 0x7fc00000, |v14|, vcc_lo
	v_cmp_o_f32_e32 vcc_lo, v45, v45
	v_and_b32_e32 v48, 0xffff0000, v13
	v_cndmask_b32_e64 v45, 0x7fc00000, |v46|, vcc_lo
	v_add_co_u32 v13, vcc_lo, s3, v15
	v_add_co_ci_u32_e32 v14, vcc_lo, s37, v16, vcc_lo
	v_cmp_o_f32_e32 vcc_lo, v43, v43
	v_and_b32_e32 v15, 0xffff0000, v47
	v_max3_f32 v4, v4, v44, v45
	v_add_co_u32 v40, s3, v40, s24
	v_cndmask_b32_e64 v16, 0x7fc00000, |v48|, vcc_lo
	v_cmp_o_f32_e32 vcc_lo, v42, v42
	v_add_co_ci_u32_e64 v41, s3, s25, v41, s3
	v_cndmask_b32_e64 v15, 0x7fc00000, |v15|, vcc_lo
	v_add_co_u32 v38, vcc_lo, v38, s24
	v_add_co_ci_u32_e32 v39, vcc_lo, s25, v39, vcc_lo
	v_cmp_ge_i64_e32 vcc_lo, v[13:14], v[9:10]
	s_delay_alu instid0(VALU_DEP_4)
	v_max3_f32 v4, v4, v15, v16
	s_or_not1_b32 s3, vcc_lo, exec_lo
	s_branch .LBB83_18
.LBB83_25:
	s_or_b32 exec_lo, exec_lo, s27
.LBB83_26:
	s_delay_alu instid0(SALU_CYCLE_1)
	s_or_b32 exec_lo, exec_lo, s13
	s_lshr_b32 s13, s34, 5
	s_ashr_i32 s17, s16, 31
	v_cvt_f32_u32_e32 v9, s13
	s_sub_i32 s8, 0, s13
	s_add_i32 s9, s16, s13
	v_lshlrev_b32_e32 v29, 2, v0
	s_add_i32 s9, s9, -1
	v_rcp_iflag_f32_e32 v9, v9
	s_abs_i32 s24, s9
	s_ashr_i32 s9, s9, 31
	ds_store_b32 v29, v4
	s_waitcnt lgkmcnt(0)
	s_barrier
	buffer_gl0_inv
	v_mul_f32_e32 v9, 0x4f7ffffe, v9
	s_delay_alu instid0(VALU_DEP_1) | instskip(NEXT) | instid1(VALU_DEP_1)
	v_cvt_u32_f32_e32 v9, v9
	v_readfirstlane_b32 s3, v9
	s_delay_alu instid0(VALU_DEP_1) | instskip(NEXT) | instid1(SALU_CYCLE_1)
	s_mul_i32 s8, s8, s3
	s_mul_hi_u32 s8, s3, s8
	s_delay_alu instid0(SALU_CYCLE_1) | instskip(NEXT) | instid1(SALU_CYCLE_1)
	s_add_i32 s3, s3, s8
	s_mul_hi_u32 s3, s24, s3
	s_delay_alu instid0(SALU_CYCLE_1) | instskip(NEXT) | instid1(SALU_CYCLE_1)
	s_mul_i32 s8, s3, s13
	s_sub_i32 s8, s24, s8
	s_add_i32 s24, s3, 1
	s_sub_i32 s25, s8, s13
	s_cmp_ge_u32 s8, s13
	s_cselect_b32 s3, s24, s3
	s_cselect_b32 s8, s25, s8
	s_add_i32 s24, s3, 1
	s_cmp_ge_u32 s8, s13
	s_cselect_b32 s3, s24, s3
	s_delay_alu instid0(SALU_CYCLE_1) | instskip(NEXT) | instid1(SALU_CYCLE_1)
	s_xor_b32 s3, s3, s9
	s_sub_i32 s8, s3, s9
	s_delay_alu instid0(SALU_CYCLE_1) | instskip(NEXT) | instid1(SALU_CYCLE_1)
	s_ashr_i32 s9, s8, 31
	v_cmp_lt_i64_e64 s3, s[8:9], 1
	s_delay_alu instid0(VALU_DEP_1)
	s_and_b32 vcc_lo, exec_lo, s3
	s_cbranch_vccnz .LBB83_46
; %bb.27:
	v_lshrrev_b32_e32 v9, 5, v0
	v_and_b32_e32 v4, 31, v0
	s_mov_b64 s[24:25], 0
	s_mov_b64 s[26:27], src_shared_base
	s_delay_alu instid0(VALU_DEP_2) | instskip(NEXT) | instid1(VALU_DEP_2)
	v_mul_lo_u32 v19, s22, v9
	v_add_co_u32 v11, s3, v4, 16
	s_delay_alu instid0(VALU_DEP_1) | instskip(SKIP_1) | instid1(VALU_DEP_1)
	v_add_co_ci_u32_e64 v12, null, 0, 0, s3
	v_add_co_u32 v13, s3, v4, 8
	v_add_co_ci_u32_e64 v14, null, 0, 0, s3
	v_add_co_u32 v15, s3, v4, 4
	v_dual_mov_b32 v10, 0 :: v_dual_lshlrev_b32 v21, 2, v19
	v_lshlrev_b32_e32 v22, 2, v4
	v_add_co_ci_u32_e64 v16, null, 0, 0, s3
	v_add_co_u32 v17, s3, v4, 2
	s_delay_alu instid0(VALU_DEP_1) | instskip(SKIP_1) | instid1(VALU_DEP_1)
	v_add_co_ci_u32_e64 v18, null, 0, 0, s3
	v_add_co_u32 v19, s3, v4, 1
	v_add_co_ci_u32_e64 v20, null, 0, 0, s3
	v_add3_u32 v30, v21, v22, 0x80
	s_mul_i32 s3, s22, s13
	s_delay_alu instid0(SALU_CYCLE_1)
	s_lshl_b32 s28, s3, 2
	s_branch .LBB83_30
.LBB83_28:                              ;   in Loop: Header=BB83_30 Depth=1
	s_or_b32 exec_lo, exec_lo, s3
	v_mov_b32_e32 v22, s27
	flat_load_b32 v21, v[21:22] glc dlc
	s_waitcnt vmcnt(0)
.LBB83_29:                              ;   in Loop: Header=BB83_30 Depth=1
	s_or_b32 exec_lo, exec_lo, s26
	s_add_u32 s24, s24, 1
	v_add_nc_u32_e32 v30, s28, v30
	s_addc_u32 s25, s25, 0
	s_delay_alu instid0(SALU_CYCLE_1)
	s_cmp_eq_u64 s[24:25], s[8:9]
	s_cbranch_scc1 .LBB83_46
.LBB83_30:                              ; =>This Loop Header: Depth=1
                                        ;     Child Loop BB83_33 Depth 2
	s_waitcnt lgkmcnt(0)
	v_mad_u64_u32 v[21:22], null, s24, s13, v[9:10]
	s_mov_b32 s26, exec_lo
	s_delay_alu instid0(VALU_DEP_1) | instskip(NEXT) | instid1(VALU_DEP_1)
	v_mad_u64_u32 v[23:24], null, s25, s13, v[22:23]
	v_mov_b32_e32 v22, v23
	s_delay_alu instid0(VALU_DEP_1)
	v_cmpx_gt_i64_e64 s[16:17], v[21:22]
	s_cbranch_execz .LBB83_29
; %bb.31:                               ;   in Loop: Header=BB83_30 Depth=1
	v_mul_lo_u32 v24, v22, s22
	v_mul_lo_u32 v25, v21, s23
	v_mad_u64_u32 v[22:23], null, v21, s22, 0
	s_delay_alu instid0(VALU_DEP_1) | instskip(NEXT) | instid1(VALU_DEP_2)
	v_add3_u32 v23, v23, v25, v24
	v_add_co_u32 v24, vcc_lo, v22, s22
	v_add_co_u32 v31, s3, v22, v4
	s_delay_alu instid0(VALU_DEP_3) | instskip(SKIP_2) | instid1(VALU_DEP_2)
	v_add_co_ci_u32_e32 v25, vcc_lo, s23, v23, vcc_lo
	v_add_co_ci_u32_e64 v21, s3, 0, v23, s3
	s_mov_b32 s3, exec_lo
	v_cmp_gt_i64_e32 vcc_lo, s[20:21], v[24:25]
	v_cndmask_b32_e32 v25, s21, v25, vcc_lo
	v_cndmask_b32_e32 v24, s20, v24, vcc_lo
	v_add_co_u32 v26, vcc_lo, v31, 32
	v_add_co_ci_u32_e32 v27, vcc_lo, 0, v21, vcc_lo
	v_lshlrev_b32_e32 v21, 2, v31
	s_delay_alu instid0(VALU_DEP_2)
	v_cmpx_lt_i64_e64 v[26:27], v[24:25]
	s_cbranch_execz .LBB83_34
; %bb.32:                               ;   in Loop: Header=BB83_30 Depth=1
	ds_load_b32 v33, v21
	v_mov_b32_e32 v32, v30
	s_mov_b32 s29, 0
.LBB83_33:                              ;   Parent Loop BB83_30 Depth=1
                                        ; =>  This Inner Loop Header: Depth=2
	ds_load_b32 v34, v32
	v_add_co_u32 v26, vcc_lo, v26, 32
	v_add_co_ci_u32_e32 v27, vcc_lo, 0, v27, vcc_lo
	s_waitcnt lgkmcnt(1)
	v_dual_max_f32 v33, v33, v33 :: v_dual_add_nc_u32 v32, 0x80, v32
	s_delay_alu instid0(VALU_DEP_2) | instskip(SKIP_3) | instid1(VALU_DEP_1)
	v_cmp_ge_i64_e32 vcc_lo, v[26:27], v[24:25]
	s_or_b32 s29, vcc_lo, s29
	s_waitcnt lgkmcnt(0)
	v_max_f32_e32 v34, v34, v34
	v_max_f32_e32 v33, v33, v34
	ds_store_b32 v21, v33
	s_and_not1_b32 exec_lo, exec_lo, s29
	s_cbranch_execnz .LBB83_33
.LBB83_34:                              ;   in Loop: Header=BB83_30 Depth=1
	s_or_b32 exec_lo, exec_lo, s3
	v_sub_co_u32 v22, vcc_lo, v24, v22
	v_sub_co_ci_u32_e32 v23, vcc_lo, v25, v23, vcc_lo
	s_mov_b32 s3, exec_lo
	s_delay_alu instid0(VALU_DEP_1) | instskip(SKIP_1) | instid1(VALU_DEP_1)
	v_cmp_gt_i64_e32 vcc_lo, 32, v[22:23]
	v_dual_cndmask_b32 v24, 0, v23 :: v_dual_cndmask_b32 v23, 32, v22
	v_cmpx_lt_i64_e64 v[11:12], v[23:24]
	s_cbranch_execz .LBB83_36
; %bb.35:                               ;   in Loop: Header=BB83_30 Depth=1
	v_dual_mov_b32 v22, s27 :: v_dual_add_nc_u32 v25, 64, v21
	v_mov_b32_e32 v26, s27
	flat_load_b32 v27, v[21:22] glc dlc
	s_waitcnt vmcnt(0)
	flat_load_b32 v25, v[25:26] glc dlc
	s_waitcnt vmcnt(0) lgkmcnt(0)
	v_dual_max_f32 v26, v27, v27 :: v_dual_max_f32 v25, v25, v25
	s_delay_alu instid0(VALU_DEP_1)
	v_max_f32_e32 v25, v26, v25
	flat_store_b32 v[21:22], v25 dlc
	s_waitcnt_vscnt null, 0x0
.LBB83_36:                              ;   in Loop: Header=BB83_30 Depth=1
	s_or_b32 exec_lo, exec_lo, s3
	s_delay_alu instid0(SALU_CYCLE_1)
	s_mov_b32 s3, exec_lo
	v_cmpx_lt_i64_e64 v[13:14], v[23:24]
	s_cbranch_execz .LBB83_38
; %bb.37:                               ;   in Loop: Header=BB83_30 Depth=1
	v_dual_mov_b32 v22, s27 :: v_dual_add_nc_u32 v25, 32, v21
	v_mov_b32_e32 v26, s27
	flat_load_b32 v27, v[21:22] glc dlc
	s_waitcnt vmcnt(0)
	flat_load_b32 v25, v[25:26] glc dlc
	s_waitcnt vmcnt(0) lgkmcnt(0)
	v_dual_max_f32 v26, v27, v27 :: v_dual_max_f32 v25, v25, v25
	s_delay_alu instid0(VALU_DEP_1)
	v_max_f32_e32 v25, v26, v25
	flat_store_b32 v[21:22], v25 dlc
	s_waitcnt_vscnt null, 0x0
.LBB83_38:                              ;   in Loop: Header=BB83_30 Depth=1
	s_or_b32 exec_lo, exec_lo, s3
	s_delay_alu instid0(SALU_CYCLE_1)
	s_mov_b32 s3, exec_lo
	v_cmpx_ge_i64_e64 v[15:16], v[23:24]
	s_xor_b32 s3, exec_lo, s3
; %bb.39:                               ;   in Loop: Header=BB83_30 Depth=1
                                        ; implicit-def: $vgpr21
; %bb.40:                               ;   in Loop: Header=BB83_30 Depth=1
	s_delay_alu instid0(SALU_CYCLE_1)
	s_and_not1_saveexec_b32 s3, s3
	s_cbranch_execz .LBB83_42
; %bb.41:                               ;   in Loop: Header=BB83_30 Depth=1
	v_dual_mov_b32 v22, s27 :: v_dual_add_nc_u32 v25, 16, v21
	v_mov_b32_e32 v26, s27
	flat_load_b32 v27, v[21:22] glc dlc
	s_waitcnt vmcnt(0)
	flat_load_b32 v25, v[25:26] glc dlc
	s_waitcnt vmcnt(0) lgkmcnt(0)
	v_dual_max_f32 v26, v27, v27 :: v_dual_max_f32 v25, v25, v25
	s_delay_alu instid0(VALU_DEP_1)
	v_max_f32_e32 v25, v26, v25
	flat_store_b32 v[21:22], v25 dlc
	s_waitcnt_vscnt null, 0x0
.LBB83_42:                              ;   in Loop: Header=BB83_30 Depth=1
	s_or_b32 exec_lo, exec_lo, s3
	v_lshlrev_b32_e32 v21, 2, v31
	s_mov_b32 s3, exec_lo
	v_cmpx_lt_i64_e64 v[17:18], v[23:24]
	s_cbranch_execz .LBB83_44
; %bb.43:                               ;   in Loop: Header=BB83_30 Depth=1
	s_delay_alu instid0(VALU_DEP_2)
	v_dual_mov_b32 v22, s27 :: v_dual_add_nc_u32 v25, 8, v21
	v_mov_b32_e32 v26, s27
	flat_load_b32 v27, v[21:22] glc dlc
	s_waitcnt vmcnt(0)
	flat_load_b32 v25, v[25:26] glc dlc
	s_waitcnt vmcnt(0) lgkmcnt(0)
	v_dual_max_f32 v26, v27, v27 :: v_dual_max_f32 v25, v25, v25
	s_delay_alu instid0(VALU_DEP_1)
	v_max_f32_e32 v25, v26, v25
	flat_store_b32 v[21:22], v25 dlc
	s_waitcnt_vscnt null, 0x0
.LBB83_44:                              ;   in Loop: Header=BB83_30 Depth=1
	s_or_b32 exec_lo, exec_lo, s3
	s_delay_alu instid0(SALU_CYCLE_1)
	s_mov_b32 s3, exec_lo
	v_cmpx_lt_i64_e64 v[19:20], v[23:24]
	s_cbranch_execz .LBB83_28
; %bb.45:                               ;   in Loop: Header=BB83_30 Depth=1
	v_dual_mov_b32 v22, s27 :: v_dual_add_nc_u32 v23, 4, v21
	v_mov_b32_e32 v24, s27
	flat_load_b32 v25, v[21:22] glc dlc
	s_waitcnt vmcnt(0)
	flat_load_b32 v23, v[23:24] glc dlc
	s_waitcnt vmcnt(0) lgkmcnt(0)
	v_dual_max_f32 v24, v25, v25 :: v_dual_max_f32 v23, v23, v23
	s_delay_alu instid0(VALU_DEP_1)
	v_max_f32_e32 v23, v24, v23
	flat_store_b32 v[21:22], v23 dlc
	s_waitcnt_vscnt null, 0x0
	s_branch .LBB83_28
.LBB83_46:
	v_cmp_lt_i64_e32 vcc_lo, v[7:8], v[5:6]
	v_cmp_eq_u32_e64 s3, 0, v3
	s_mul_i32 s13, s17, s15
	s_mul_hi_u32 s17, s16, s15
	s_mul_i32 s8, s16, s15
	s_waitcnt lgkmcnt(0)
	s_and_b32 s9, s3, vcc_lo
	s_barrier
	buffer_gl0_inv
	s_and_saveexec_b32 s3, s9
	s_cbranch_execz .LBB83_50
; %bb.47:
	s_load_b64 s[0:1], s[0:1], 0x20
	ds_load_b32 v3, v29
	s_waitcnt lgkmcnt(0)
	s_cmp_eq_u64 s[0:1], 0
	s_cbranch_scc1 .LBB83_49
; %bb.48:
	s_load_b32 s0, s[0:1], 0x0
	v_max_f32_e32 v3, v3, v3
	s_waitcnt lgkmcnt(0)
	v_max_f32_e64 v4, s0, s0
	s_delay_alu instid0(VALU_DEP_1)
	v_min_f32_e32 v3, v3, v4
.LBB83_49:
	s_delay_alu instid0(VALU_DEP_1) | instskip(SKIP_2) | instid1(VALU_DEP_2)
	v_div_scale_f32 v4, null, 0x42fe0000, 0x42fe0000, v3
	v_div_scale_f32 v7, vcc_lo, v3, 0x42fe0000, v3
	s_add_i32 s9, s17, s13
	v_rcp_f32_e32 v5, v4
	v_lshlrev_b64 v[1:2], 2, v[1:2]
	s_lshl_b64 s[0:1], s[8:9], 2
	s_delay_alu instid0(SALU_CYCLE_1) | instskip(SKIP_3) | instid1(VALU_DEP_1)
	s_add_u32 s0, s6, s0
	s_addc_u32 s1, s7, s1
	s_waitcnt_depctr 0xfff
	v_fma_f32 v6, -v4, v5, 1.0
	v_fmac_f32_e32 v5, v6, v5
	s_delay_alu instid0(VALU_DEP_1) | instskip(NEXT) | instid1(VALU_DEP_1)
	v_mul_f32_e32 v6, v7, v5
	v_fma_f32 v8, -v4, v6, v7
	s_delay_alu instid0(VALU_DEP_1) | instskip(NEXT) | instid1(VALU_DEP_1)
	v_fmac_f32_e32 v6, v8, v5
	v_fma_f32 v4, -v4, v6, v7
	s_delay_alu instid0(VALU_DEP_1) | instskip(SKIP_2) | instid1(VALU_DEP_3)
	v_div_fmas_f32 v4, v4, v5, v6
	v_add_co_u32 v1, vcc_lo, s0, v1
	v_add_co_ci_u32_e32 v2, vcc_lo, s1, v2, vcc_lo
	v_div_fixup_f32 v3, v4, 0x42fe0000, v3
	s_delay_alu instid0(VALU_DEP_1)
	v_max_f32_e32 v3, 0x34000000, v3
	global_store_b32 v[1:2], v3, off
.LBB83_50:
	s_or_b32 exec_lo, exec_lo, s3
	s_waitcnt_vscnt null, 0x0
	s_barrier
	buffer_gl0_inv
	s_and_saveexec_b32 s0, s2
	s_cbranch_execz .LBB83_59
; %bb.51:
	s_add_u32 s1, s4, s18
	s_addc_u32 s4, s5, s19
	s_add_i32 s9, s17, s13
	v_mov_b32_e32 v1, 0
	s_lshl_b64 s[2:3], s[8:9], 2
	s_mul_i32 s5, s34, 3
	s_add_u32 s2, s6, s2
	s_addc_u32 s3, s7, s3
	s_lshl_b32 s6, s34, 1
	s_mov_b32 s7, 0
	s_add_i32 s8, s34, s34
                                        ; implicit-def: $sgpr9
	s_branch .LBB83_55
.LBB83_52:                              ;   in Loop: Header=BB83_55 Depth=1
	s_or_b32 exec_lo, exec_lo, s16
	s_delay_alu instid0(SALU_CYCLE_1)
	s_or_not1_b32 s0, s0, exec_lo
.LBB83_53:                              ;   in Loop: Header=BB83_55 Depth=1
	s_or_b32 exec_lo, exec_lo, s15
	s_delay_alu instid0(SALU_CYCLE_1) | instskip(SKIP_1) | instid1(SALU_CYCLE_1)
	s_and_not1_b32 s9, s9, exec_lo
	s_and_b32 s0, s0, exec_lo
	s_or_b32 s9, s9, s0
.LBB83_54:                              ;   in Loop: Header=BB83_55 Depth=1
	s_or_b32 exec_lo, exec_lo, s13
	s_delay_alu instid0(SALU_CYCLE_1) | instskip(NEXT) | instid1(SALU_CYCLE_1)
	s_and_b32 s0, exec_lo, s9
	s_or_b32 s7, s0, s7
	s_delay_alu instid0(SALU_CYCLE_1)
	s_and_not1_b32 exec_lo, exec_lo, s7
	s_cbranch_execz .LBB83_59
.LBB83_55:                              ; =>This Inner Loop Header: Depth=1
	v_lshlrev_b64 v[2:3], 3, v[0:1]
	v_lshrrev_b32_e32 v4, 2, v0
	v_lshlrev_b64 v[10:11], 2, v[0:1]
	s_or_b32 s9, s9, exec_lo
	s_mov_b32 s13, exec_lo
	s_delay_alu instid0(VALU_DEP_2)
	v_and_b32_e32 v8, 0xffffffc, v4
	v_add_co_u32 v4, vcc_lo, s14, v2
	v_add_co_ci_u32_e32 v5, vcc_lo, s30, v3, vcc_lo
	v_add_co_u32 v6, vcc_lo, s10, v2
	v_add_co_ci_u32_e32 v7, vcc_lo, s11, v3, vcc_lo
	global_load_b64 v[4:5], v[4:5], off
	global_load_b32 v12, v8, s[2:3]
	v_add_co_u32 v8, vcc_lo, s31, v2
	v_add_co_ci_u32_e32 v9, vcc_lo, s33, v3, vcc_lo
	global_load_b64 v[2:3], v[6:7], off
	global_load_b64 v[6:7], v[8:9], off
	s_waitcnt vmcnt(3)
	v_lshlrev_b32_e32 v17, 16, v4
	s_waitcnt vmcnt(2)
	v_div_scale_f32 v13, null, v12, v12, 1.0
	v_div_scale_f32 v14, vcc_lo, 1.0, v12, 1.0
	s_delay_alu instid0(VALU_DEP_2)
	v_rcp_f32_e32 v21, v13
	s_waitcnt vmcnt(0)
	v_and_b32_e32 v18, 0xffff0000, v6
	v_lshlrev_b32_e32 v19, 16, v6
	v_alignbit_b32 v6, v7, v6, 16
	v_and_b32_e32 v7, 0xffff0000, v7
	s_delay_alu instid0(VALU_DEP_2)
	v_and_b32_e32 v6, 0xffff0000, v6
	v_and_b32_e32 v15, 0xffff0000, v4
	v_alignbit_b32 v4, v5, v4, 16
	v_and_b32_e32 v5, 0xffff0000, v5
	v_and_b32_e32 v16, 0xffff0000, v2
	v_fma_f32 v24, -v13, v21, 1.0
	s_delay_alu instid0(VALU_DEP_3) | instskip(SKIP_2) | instid1(VALU_DEP_4)
	v_dual_add_f32 v5, v5, v7 :: v_dual_and_b32 v4, 0xffff0000, v4
	v_lshlrev_b32_e32 v20, 16, v2
	v_alignbit_b32 v2, v3, v2, 16
	v_fmac_f32_e32 v21, v24, v21
	s_delay_alu instid0(VALU_DEP_4)
	v_add_f32_e32 v4, v4, v6
	v_mul_f32_e32 v23, v28, v5
	v_add_f32_e32 v15, v15, v18
	v_bfe_u32 v18, v5, 16, 1
	v_and_b32_e32 v2, 0xffff0000, v2
	v_bfe_u32 v25, v4, 16, 1
	v_mul_f32_e32 v29, v28, v4
	v_mul_f32_e32 v22, v28, v15
	v_add_f32_e32 v17, v17, v19
	v_add3_u32 v18, v5, v18, 0x7fff
	v_bfe_u32 v7, v15, 16, 1
	v_add3_u32 v24, v4, v25, 0x7fff
	v_bfe_u32 v27, v22, 16, 1
	s_delay_alu instid0(VALU_DEP_4) | instskip(SKIP_3) | instid1(VALU_DEP_4)
	v_dual_mul_f32 v19, v28, v17 :: v_dual_and_b32 v18, 0xffff0000, v18
	v_mul_f32_e32 v31, v14, v21
	v_cmp_o_f32_e64 s0, v5, v5
	v_add3_u32 v7, v15, v7, 0x7fff
	v_bfe_u32 v26, v19, 16, 1
	v_bfe_u32 v30, v23, 16, 1
	;; [unrolled: 1-line block ×3, first 2 shown]
	v_cndmask_b32_e64 v5, 0x7fc00000, v18, s0
	v_cmp_o_f32_e64 s0, v15, v15
	v_add3_u32 v25, v19, v26, 0x7fff
	v_add3_u32 v26, v22, v27, 0x7fff
	v_bfe_u32 v27, v29, 16, 1
	v_add3_u32 v30, v23, v30, 0x7fff
	v_add3_u32 v6, v17, v6, 0x7fff
	v_and_b32_e32 v15, 0xffff0000, v25
	v_lshrrev_b32_e32 v24, 16, v24
	v_add3_u32 v25, v29, v27, 0x7fff
	v_fma_f32 v27, -v13, v31, v14
	v_and_b32_e32 v18, 0xffff0000, v26
	v_lshrrev_b32_e32 v6, 16, v6
	s_delay_alu instid0(VALU_DEP_3) | instskip(NEXT) | instid1(VALU_DEP_1)
	v_fmac_f32_e32 v31, v27, v21
	v_fma_f32 v13, -v13, v31, v14
	s_delay_alu instid0(VALU_DEP_1) | instskip(NEXT) | instid1(VALU_DEP_1)
	v_div_fmas_f32 v13, v13, v21, v31
	v_div_fixup_f32 v12, v13, v12, 1.0
	v_and_b32_e32 v7, 0xffff0000, v7
	s_delay_alu instid0(VALU_DEP_1) | instskip(SKIP_2) | instid1(VALU_DEP_2)
	v_cndmask_b32_e64 v7, 0x7fc00000, v7, s0
	v_cmp_o_f32_e64 s0, v19, v19
	v_and_b32_e32 v19, 0xffff0000, v25
	v_cndmask_b32_e64 v15, 0x7fc00000, v15, s0
	v_cmp_o_f32_e64 s0, v22, v22
	s_delay_alu instid0(VALU_DEP_2) | instskip(NEXT) | instid1(VALU_DEP_2)
	v_dual_mul_f32 v15, v15, v20 :: v_dual_and_b32 v26, 0xffff0000, v30
	v_cndmask_b32_e64 v18, 0x7fc00000, v18, s0
	v_cmp_o_f32_e64 s0, v23, v23
	s_delay_alu instid0(VALU_DEP_3) | instskip(NEXT) | instid1(VALU_DEP_3)
	v_bfe_u32 v14, v15, 16, 1
	v_mul_f32_e32 v16, v18, v16
	s_delay_alu instid0(VALU_DEP_3) | instskip(SKIP_4) | instid1(VALU_DEP_4)
	v_cndmask_b32_e64 v22, 0x7fc00000, v26, s0
	v_cmp_o_f32_e64 s0, v29, v29
	v_cmp_o_f32_e32 vcc_lo, v15, v15
	v_add3_u32 v14, v15, v14, 0x7fff
	v_bfe_u32 v18, v16, 16, 1
	v_cndmask_b32_e64 v19, 0x7fc00000, v19, s0
	s_delay_alu instid0(VALU_DEP_3) | instskip(NEXT) | instid1(VALU_DEP_3)
	v_and_b32_e32 v13, 0xffff0000, v14
	v_add3_u32 v18, v16, v18, 0x7fff
	s_delay_alu instid0(VALU_DEP_2) | instskip(NEXT) | instid1(VALU_DEP_2)
	v_dual_mul_f32 v2, v19, v2 :: v_dual_cndmask_b32 v13, 0x7fc00000, v13
	v_and_b32_e32 v14, 0xffff0000, v18
	s_delay_alu instid0(VALU_DEP_2) | instskip(SKIP_1) | instid1(VALU_DEP_4)
	v_bfe_u32 v20, v2, 16, 1
	v_cmp_o_f32_e32 vcc_lo, v2, v2
	v_mul_f32_e32 v13, v12, v13
	s_delay_alu instid0(VALU_DEP_3) | instskip(NEXT) | instid1(VALU_DEP_1)
	v_add3_u32 v20, v2, v20, 0x7fff
	v_and_b32_e32 v18, 0xffff0000, v20
	s_delay_alu instid0(VALU_DEP_1) | instskip(SKIP_2) | instid1(VALU_DEP_2)
	v_cndmask_b32_e32 v2, 0x7fc00000, v18, vcc_lo
	v_and_b32_e32 v3, 0xffff0000, v3
	v_cmp_o_f32_e32 vcc_lo, v16, v16
	v_dual_mul_f32 v2, v12, v2 :: v_dual_mul_f32 v3, v22, v3
	v_cndmask_b32_e32 v14, 0x7fc00000, v14, vcc_lo
	s_delay_alu instid0(VALU_DEP_2) | instskip(NEXT) | instid1(VALU_DEP_3)
	v_rndne_f32_e32 v2, v2
	v_bfe_u32 v19, v3, 16, 1
	v_cmp_o_f32_e32 vcc_lo, v3, v3
	s_delay_alu instid0(VALU_DEP_4) | instskip(NEXT) | instid1(VALU_DEP_3)
	v_mul_f32_e32 v14, v12, v14
	v_add3_u32 v19, v3, v19, 0x7fff
	s_delay_alu instid0(VALU_DEP_1) | instskip(NEXT) | instid1(VALU_DEP_1)
	v_and_b32_e32 v19, 0xffff0000, v19
	v_cndmask_b32_e32 v3, 0x7fc00000, v19, vcc_lo
	v_cmp_o_f32_e32 vcc_lo, v17, v17
	s_delay_alu instid0(VALU_DEP_2) | instskip(SKIP_3) | instid1(VALU_DEP_4)
	v_dual_mul_f32 v3, v12, v3 :: v_dual_cndmask_b32 v6, 0x7fc0, v6
	v_cmp_o_f32_e32 vcc_lo, v4, v4
	v_rndne_f32_e32 v12, v13
	v_rndne_f32_e32 v13, v14
	;; [unrolled: 1-line block ×3, first 2 shown]
	v_or_b32_e32 v6, v6, v7
	v_cndmask_b32_e32 v4, 0x7fc0, v24, vcc_lo
	v_cmp_nlt_f32_e32 vcc_lo, 0x42fe0000, v2
	s_delay_alu instid0(VALU_DEP_2)
	v_or3_b32 v4, 0, v4, v5
	v_cndmask_b32_e32 v14, 0x42fe0000, v2, vcc_lo
	v_cmp_nlt_f32_e32 vcc_lo, 0x42fe0000, v12
	v_cndmask_b32_e32 v15, 0x42fe0000, v12, vcc_lo
	v_cmp_nlt_f32_e32 vcc_lo, 0x42fe0000, v13
	v_cndmask_b32_e32 v16, 0x42fe0000, v13, vcc_lo
	v_cmp_ngt_f32_e32 vcc_lo, 0xc3000000, v2
	v_cndmask_b32_e32 v2, 0xc3000000, v14, vcc_lo
	v_cmp_nlt_f32_e32 vcc_lo, 0x42fe0000, v3
	s_delay_alu instid0(VALU_DEP_2) | instskip(SKIP_2) | instid1(VALU_DEP_3)
	v_cvt_i32_f32_e32 v2, v2
	v_cndmask_b32_e32 v14, 0x42fe0000, v3, vcc_lo
	v_cmp_ngt_f32_e32 vcc_lo, 0xc3000000, v13
	v_and_b32_e32 v2, 0xff, v2
	v_cndmask_b32_e32 v13, 0xc3000000, v16, vcc_lo
	v_cmp_ngt_f32_e32 vcc_lo, 0xc3000000, v12
	s_delay_alu instid0(VALU_DEP_3) | instskip(NEXT) | instid1(VALU_DEP_3)
	v_lshlrev_b32_e32 v2, 16, v2
	v_cvt_i32_f32_e32 v13, v13
	v_cndmask_b32_e32 v12, 0xc3000000, v15, vcc_lo
	v_cmp_ngt_f32_e32 vcc_lo, 0xc3000000, v3
	s_delay_alu instid0(VALU_DEP_3) | instskip(NEXT) | instid1(VALU_DEP_3)
	v_and_b32_e32 v13, 0xff, v13
	v_cvt_i32_f32_e32 v7, v12
	v_cndmask_b32_e32 v3, 0xc3000000, v14, vcc_lo
	v_add_co_u32 v5, vcc_lo, s1, v10
	s_delay_alu instid0(VALU_DEP_4) | instskip(NEXT) | instid1(VALU_DEP_4)
	v_lshlrev_b32_e32 v13, 8, v13
	v_and_b32_e32 v7, 0xff, v7
	s_delay_alu instid0(VALU_DEP_4) | instskip(SKIP_2) | instid1(VALU_DEP_3)
	v_cvt_i32_f32_e32 v12, v3
	v_or3_b32 v3, v6, 0, 0
	v_add_co_ci_u32_e32 v6, vcc_lo, s4, v11, vcc_lo
	v_lshl_or_b32 v12, v12, 24, v2
	v_add_nc_u32_e32 v2, s34, v0
	global_store_b64 v[8:9], v[3:4], off
	v_or3_b32 v7, v12, v13, v7
	global_store_b32 v[5:6], v7, off
	v_cmpx_gt_u32_e64 s12, v2
	s_cbranch_execz .LBB83_54
; %bb.56:                               ;   in Loop: Header=BB83_55 Depth=1
	v_lshrrev_b32_e32 v4, 2, v2
	v_mov_b32_e32 v3, v1
	s_mov_b32 s15, exec_lo
	s_delay_alu instid0(VALU_DEP_2) | instskip(NEXT) | instid1(VALU_DEP_2)
	v_and_b32_e32 v6, 0xffffffc, v4
	v_lshlrev_b64 v[4:5], 3, v[2:3]
	v_lshlrev_b64 v[12:13], 2, v[2:3]
	global_load_b32 v14, v6, s[2:3]
	v_add_co_u32 v6, vcc_lo, s14, v4
	v_add_co_ci_u32_e32 v7, vcc_lo, s30, v5, vcc_lo
	v_add_co_u32 v8, vcc_lo, s10, v4
	v_add_co_ci_u32_e32 v9, vcc_lo, s11, v5, vcc_lo
	;; [unrolled: 2-line block ×3, first 2 shown]
	global_load_b64 v[6:7], v[6:7], off
	global_load_b64 v[8:9], v[8:9], off
	;; [unrolled: 1-line block ×3, first 2 shown]
	s_waitcnt vmcnt(3)
	v_div_scale_f32 v15, null, v14, v14, 1.0
	v_div_scale_f32 v3, vcc_lo, 1.0, v14, 1.0
	s_delay_alu instid0(VALU_DEP_2)
	v_rcp_f32_e32 v16, v15
	s_waitcnt vmcnt(2)
	v_and_b32_e32 v17, 0xffff0000, v6
	v_lshlrev_b32_e32 v19, 16, v6
	v_alignbit_b32 v6, v7, v6, 16
	s_waitcnt vmcnt(0)
	v_and_b32_e32 v20, 0xffff0000, v10
	v_lshlrev_b32_e32 v21, 16, v10
	v_alignbit_b32 v10, v11, v10, 16
	v_and_b32_e32 v11, 0xffff0000, v11
	v_and_b32_e32 v6, 0xffff0000, v6
	s_delay_alu instid0(VALU_DEP_3) | instskip(NEXT) | instid1(VALU_DEP_1)
	v_and_b32_e32 v10, 0xffff0000, v10
	v_dual_add_f32 v6, v6, v10 :: v_dual_and_b32 v7, 0xffff0000, v7
	s_delay_alu instid0(VALU_DEP_1) | instskip(SKIP_1) | instid1(VALU_DEP_3)
	v_add_f32_e32 v7, v7, v11
	v_fma_f32 v11, -v15, v16, 1.0
	v_mul_f32_e32 v29, v28, v6
	s_delay_alu instid0(VALU_DEP_3) | instskip(NEXT) | instid1(VALU_DEP_3)
	v_cmp_o_f32_e64 s0, v7, v7
	v_fmac_f32_e32 v16, v11, v16
	v_add_f32_e32 v17, v17, v20
	v_mul_f32_e32 v25, v28, v7
	v_bfe_u32 v32, v29, 16, 1
	s_delay_alu instid0(VALU_DEP_3) | instskip(SKIP_3) | instid1(VALU_DEP_4)
	v_mul_f32_e32 v24, v28, v17
	v_dual_add_f32 v19, v19, v21 :: v_dual_and_b32 v18, 0xffff0000, v8
	v_lshlrev_b32_e32 v22, 16, v8
	v_bfe_u32 v21, v7, 16, 1
	v_bfe_u32 v27, v24, 16, 1
	;; [unrolled: 1-line block ×3, first 2 shown]
	v_mul_f32_e32 v23, v28, v19
	v_alignbit_b32 v8, v9, v8, 16
	v_add3_u32 v21, v7, v21, 0x7fff
	v_add3_u32 v27, v24, v27, 0x7fff
	v_mul_f32_e32 v31, v3, v16
	v_bfe_u32 v26, v23, 16, 1
	v_add3_u32 v11, v17, v20, 0x7fff
	v_and_b32_e32 v21, 0xffff0000, v21
	v_and_b32_e32 v8, 0xffff0000, v8
	v_bfe_u32 v30, v25, 16, 1
	v_add3_u32 v26, v23, v26, 0x7fff
	v_bfe_u32 v10, v19, 16, 1
	v_cndmask_b32_e64 v7, 0x7fc00000, v21, s0
	v_cmp_o_f32_e64 s0, v17, v17
	v_add3_u32 v30, v25, v30, 0x7fff
	v_and_b32_e32 v17, 0xffff0000, v26
	v_and_b32_e32 v26, 0xffff0000, v27
	v_fma_f32 v33, -v15, v31, v3
	v_add3_u32 v21, v29, v32, 0x7fff
	v_and_b32_e32 v27, 0xffff0000, v30
	v_add3_u32 v10, v19, v10, 0x7fff
	v_bfe_u32 v20, v6, 16, 1
	v_fmac_f32_e32 v31, v33, v16
	v_and_b32_e32 v21, 0xffff0000, v21
	s_delay_alu instid0(VALU_DEP_4) | instskip(NEXT) | instid1(VALU_DEP_4)
	v_lshrrev_b32_e32 v10, 16, v10
	v_add3_u32 v20, v6, v20, 0x7fff
	s_delay_alu instid0(VALU_DEP_4) | instskip(NEXT) | instid1(VALU_DEP_2)
	v_fma_f32 v3, -v15, v31, v3
	v_lshrrev_b32_e32 v20, 16, v20
	s_delay_alu instid0(VALU_DEP_2) | instskip(NEXT) | instid1(VALU_DEP_1)
	v_div_fmas_f32 v3, v3, v16, v31
	v_div_fixup_f32 v3, v3, v14, 1.0
	v_and_b32_e32 v11, 0xffff0000, v11
	s_delay_alu instid0(VALU_DEP_1) | instskip(SKIP_1) | instid1(VALU_DEP_1)
	v_cndmask_b32_e64 v11, 0x7fc00000, v11, s0
	v_cmp_o_f32_e64 s0, v23, v23
	v_cndmask_b32_e64 v17, 0x7fc00000, v17, s0
	v_cmp_o_f32_e64 s0, v24, v24
	s_delay_alu instid0(VALU_DEP_1) | instskip(SKIP_1) | instid1(VALU_DEP_2)
	v_cndmask_b32_e64 v23, 0x7fc00000, v26, s0
	v_cmp_o_f32_e64 s0, v25, v25
	v_mul_f32_e32 v18, v23, v18
	s_delay_alu instid0(VALU_DEP_2) | instskip(SKIP_1) | instid1(VALU_DEP_1)
	v_cndmask_b32_e64 v24, 0x7fc00000, v27, s0
	v_cmp_o_f32_e64 s0, v29, v29
	v_cndmask_b32_e64 v21, 0x7fc00000, v21, s0
	v_and_b32_e32 v9, 0xffff0000, v9
	s_mov_b32 s0, -1
	s_delay_alu instid0(VALU_DEP_2) | instskip(SKIP_1) | instid1(VALU_DEP_2)
	v_mul_f32_e32 v8, v21, v8
	v_bfe_u32 v21, v18, 16, 1
	v_bfe_u32 v23, v8, 16, 1
	s_delay_alu instid0(VALU_DEP_2) | instskip(NEXT) | instid1(VALU_DEP_2)
	v_add3_u32 v16, v18, v21, 0x7fff
	v_add3_u32 v21, v8, v23, 0x7fff
	v_mul_f32_e32 v17, v17, v22
	s_delay_alu instid0(VALU_DEP_1) | instskip(NEXT) | instid1(VALU_DEP_1)
	v_bfe_u32 v15, v17, 16, 1
	v_add3_u32 v15, v17, v15, 0x7fff
	s_delay_alu instid0(VALU_DEP_1) | instskip(SKIP_3) | instid1(VALU_DEP_4)
	v_and_b32_e32 v14, 0xffff0000, v15
	v_and_b32_e32 v15, 0xffff0000, v16
	;; [unrolled: 1-line block ×3, first 2 shown]
	v_cmp_o_f32_e32 vcc_lo, v17, v17
	v_dual_mul_f32 v9, v24, v9 :: v_dual_cndmask_b32 v14, 0x7fc00000, v14
	s_delay_alu instid0(VALU_DEP_1) | instskip(SKIP_1) | instid1(VALU_DEP_3)
	v_bfe_u32 v22, v9, 16, 1
	v_cmp_o_f32_e32 vcc_lo, v8, v8
	v_mul_f32_e32 v14, v3, v14
	s_delay_alu instid0(VALU_DEP_3) | instskip(SKIP_2) | instid1(VALU_DEP_2)
	v_add3_u32 v22, v9, v22, 0x7fff
	v_cndmask_b32_e32 v8, 0x7fc00000, v16, vcc_lo
	v_cmp_o_f32_e32 vcc_lo, v18, v18
	v_dual_mul_f32 v8, v3, v8 :: v_dual_and_b32 v21, 0xffff0000, v22
	v_cndmask_b32_e32 v15, 0x7fc00000, v15, vcc_lo
	v_cmp_o_f32_e32 vcc_lo, v9, v9
	s_delay_alu instid0(VALU_DEP_3) | instskip(NEXT) | instid1(VALU_DEP_3)
	v_rndne_f32_e32 v8, v8
	v_mul_f32_e32 v15, v3, v15
	v_cndmask_b32_e32 v9, 0x7fc00000, v21, vcc_lo
	v_cmp_o_f32_e32 vcc_lo, v19, v19
	v_cndmask_b32_e32 v10, 0x7fc0, v10, vcc_lo
	v_cmp_o_f32_e32 vcc_lo, v6, v6
	s_delay_alu instid0(VALU_DEP_4)
	v_mul_f32_e32 v3, v3, v9
	v_rndne_f32_e32 v9, v14
	v_rndne_f32_e32 v14, v15
	v_or_b32_e32 v10, v10, v11
	v_cndmask_b32_e32 v6, 0x7fc0, v20, vcc_lo
	v_cmp_nlt_f32_e32 vcc_lo, 0x42fe0000, v8
	v_rndne_f32_e32 v3, v3
	s_delay_alu instid0(VALU_DEP_3)
	v_or3_b32 v7, 0, v6, v7
	v_cndmask_b32_e32 v15, 0x42fe0000, v8, vcc_lo
	v_cmp_nlt_f32_e32 vcc_lo, 0x42fe0000, v9
	v_or3_b32 v6, v10, 0, 0
	v_cndmask_b32_e32 v16, 0x42fe0000, v9, vcc_lo
	v_cmp_nlt_f32_e32 vcc_lo, 0x42fe0000, v14
	global_store_b64 v[4:5], v[6:7], off
	v_cndmask_b32_e32 v17, 0x42fe0000, v14, vcc_lo
	v_cmp_ngt_f32_e32 vcc_lo, 0xc3000000, v8
	v_cndmask_b32_e32 v8, 0xc3000000, v15, vcc_lo
	v_cmp_nlt_f32_e32 vcc_lo, 0x42fe0000, v3
	s_delay_alu instid0(VALU_DEP_2) | instskip(SKIP_2) | instid1(VALU_DEP_3)
	v_cvt_i32_f32_e32 v8, v8
	v_cndmask_b32_e32 v15, 0x42fe0000, v3, vcc_lo
	v_cmp_ngt_f32_e32 vcc_lo, 0xc3000000, v14
	v_and_b32_e32 v8, 0xff, v8
	v_cndmask_b32_e32 v14, 0xc3000000, v17, vcc_lo
	v_cmp_ngt_f32_e32 vcc_lo, 0xc3000000, v9
	s_delay_alu instid0(VALU_DEP_3) | instskip(NEXT) | instid1(VALU_DEP_3)
	v_lshlrev_b32_e32 v8, 16, v8
	v_cvt_i32_f32_e32 v14, v14
	s_delay_alu instid0(VALU_DEP_1) | instskip(NEXT) | instid1(VALU_DEP_1)
	v_and_b32_e32 v11, 0xff, v14
	v_lshlrev_b32_e32 v11, 8, v11
	v_cndmask_b32_e32 v9, 0xc3000000, v16, vcc_lo
	v_cmp_ngt_f32_e32 vcc_lo, 0xc3000000, v3
	s_delay_alu instid0(VALU_DEP_2) | instskip(SKIP_1) | instid1(VALU_DEP_2)
	v_cvt_i32_f32_e32 v9, v9
	v_cndmask_b32_e32 v3, 0xc3000000, v15, vcc_lo
	v_and_b32_e32 v10, 0xff, v9
	s_delay_alu instid0(VALU_DEP_2) | instskip(NEXT) | instid1(VALU_DEP_1)
	v_cvt_i32_f32_e32 v3, v3
	v_lshl_or_b32 v14, v3, 24, v8
	v_add_co_u32 v8, vcc_lo, s1, v12
	v_add_nc_u32_e32 v3, s6, v0
	v_add_co_ci_u32_e32 v9, vcc_lo, s4, v13, vcc_lo
	s_delay_alu instid0(VALU_DEP_4)
	v_or3_b32 v10, v14, v11, v10
	global_store_b32 v[8:9], v10, off
	v_cmpx_gt_u32_e64 s12, v3
	s_cbranch_execz .LBB83_53
; %bb.57:                               ;   in Loop: Header=BB83_55 Depth=1
	v_lshrrev_b32_e32 v5, 2, v3
	v_mov_b32_e32 v4, v1
	v_add_nc_u32_e32 v0, s5, v0
	s_mov_b32 s16, exec_lo
	s_delay_alu instid0(VALU_DEP_3) | instskip(NEXT) | instid1(VALU_DEP_3)
	v_and_b32_e32 v7, 0xffffffc, v5
	v_lshlrev_b64 v[5:6], 3, v[3:4]
	v_lshlrev_b64 v[3:4], 2, v[3:4]
	global_load_b32 v13, v7, s[2:3]
	v_add_co_u32 v7, vcc_lo, s14, v5
	v_add_co_ci_u32_e32 v8, vcc_lo, s30, v6, vcc_lo
	v_add_co_u32 v9, vcc_lo, s10, v5
	v_add_co_ci_u32_e32 v10, vcc_lo, s11, v6, vcc_lo
	;; [unrolled: 2-line block ×3, first 2 shown]
	global_load_b64 v[7:8], v[7:8], off
	global_load_b64 v[9:10], v[9:10], off
	;; [unrolled: 1-line block ×3, first 2 shown]
	s_waitcnt vmcnt(3)
	v_div_scale_f32 v14, null, v13, v13, 1.0
	v_div_scale_f32 v15, vcc_lo, 1.0, v13, 1.0
	s_delay_alu instid0(VALU_DEP_2)
	v_rcp_f32_e32 v16, v14
	s_waitcnt vmcnt(2)
	v_lshlrev_b32_e32 v19, 16, v7
	s_waitcnt vmcnt(0)
	v_and_b32_e32 v20, 0xffff0000, v11
	v_lshlrev_b32_e32 v21, 16, v11
	v_alignbit_b32 v11, v12, v11, 16
	s_delay_alu instid0(VALU_DEP_1) | instskip(SKIP_4) | instid1(VALU_DEP_2)
	v_and_b32_e32 v11, 0xffff0000, v11
	v_and_b32_e32 v12, 0xffff0000, v12
	;; [unrolled: 1-line block ×3, first 2 shown]
	v_alignbit_b32 v7, v8, v7, 16
	v_and_b32_e32 v8, 0xffff0000, v8
	v_and_b32_e32 v7, 0xffff0000, v7
	s_delay_alu instid0(VALU_DEP_1) | instskip(SKIP_1) | instid1(VALU_DEP_2)
	v_dual_add_f32 v7, v7, v11 :: v_dual_add_f32 v8, v8, v12
	v_fma_f32 v12, -v14, v16, 1.0
	v_mul_f32_e32 v29, v28, v7
	s_delay_alu instid0(VALU_DEP_3) | instskip(SKIP_1) | instid1(VALU_DEP_4)
	v_dual_mul_f32 v25, v28, v8 :: v_dual_and_b32 v18, 0xffff0000, v9
	v_add_f32_e32 v17, v17, v20
	v_fmac_f32_e32 v16, v12, v16
	v_cmp_o_f32_e64 s0, v8, v8
	s_delay_alu instid0(VALU_DEP_4)
	v_bfe_u32 v30, v25, 16, 1
	v_bfe_u32 v32, v29, 16, 1
	v_mul_f32_e32 v24, v28, v17
	v_add_f32_e32 v19, v19, v21
	v_bfe_u32 v21, v8, 16, 1
	v_lshlrev_b32_e32 v22, 16, v9
	v_bfe_u32 v20, v17, 16, 1
	v_bfe_u32 v27, v24, 16, 1
	v_mul_f32_e32 v23, v28, v19
	v_add3_u32 v21, v8, v21, 0x7fff
	v_alignbit_b32 v9, v10, v9, 16
	v_add3_u32 v12, v17, v20, 0x7fff
	v_add3_u32 v27, v24, v27, 0x7fff
	v_bfe_u32 v26, v23, 16, 1
	v_and_b32_e32 v21, 0xffff0000, v21
	v_mul_f32_e32 v31, v15, v16
	v_and_b32_e32 v12, 0xffff0000, v12
	v_and_b32_e32 v10, 0xffff0000, v10
	v_add3_u32 v26, v23, v26, 0x7fff
	v_cndmask_b32_e64 v8, 0x7fc00000, v21, s0
	v_cmp_o_f32_e64 s0, v17, v17
	v_add3_u32 v30, v25, v30, 0x7fff
	v_add3_u32 v21, v29, v32, 0x7fff
	v_and_b32_e32 v17, 0xffff0000, v26
	v_and_b32_e32 v26, 0xffff0000, v27
	v_cndmask_b32_e64 v12, 0x7fc00000, v12, s0
	v_cmp_o_f32_e64 s0, v23, v23
	v_fma_f32 v33, -v14, v31, v15
	v_and_b32_e32 v27, 0xffff0000, v30
	v_and_b32_e32 v21, 0xffff0000, v21
	v_bfe_u32 v11, v19, 16, 1
	v_cndmask_b32_e64 v17, 0x7fc00000, v17, s0
	v_fmac_f32_e32 v31, v33, v16
	v_cmp_o_f32_e64 s0, v24, v24
	v_bfe_u32 v20, v7, 16, 1
	v_add3_u32 v11, v19, v11, 0x7fff
	v_mul_f32_e32 v17, v17, v22
	v_fma_f32 v14, -v14, v31, v15
	v_cndmask_b32_e64 v23, 0x7fc00000, v26, s0
	v_cmp_o_f32_e64 s0, v25, v25
	v_lshrrev_b32_e32 v11, 16, v11
	v_bfe_u32 v15, v17, 16, 1
	v_div_fmas_f32 v14, v14, v16, v31
	v_cmp_o_f32_e32 vcc_lo, v17, v17
	v_cndmask_b32_e64 v24, 0x7fc00000, v27, s0
	v_cmp_o_f32_e64 s0, v29, v29
	v_add3_u32 v15, v17, v15, 0x7fff
	v_div_fixup_f32 v13, v14, v13, 1.0
	v_mul_f32_e32 v18, v23, v18
	v_mul_f32_e32 v10, v24, v10
	v_cndmask_b32_e64 v21, 0x7fc00000, v21, s0
	v_and_b32_e32 v14, 0xffff0000, v15
	v_add3_u32 v20, v7, v20, 0x7fff
	s_mov_b32 s0, -1
	v_bfe_u32 v22, v10, 16, 1
	s_delay_alu instid0(VALU_DEP_3) | instskip(SKIP_2) | instid1(VALU_DEP_4)
	v_cndmask_b32_e32 v14, 0x7fc00000, v14, vcc_lo
	v_and_b32_e32 v9, 0xffff0000, v9
	v_lshrrev_b32_e32 v20, 16, v20
	v_add3_u32 v22, v10, v22, 0x7fff
	s_delay_alu instid0(VALU_DEP_4) | instskip(NEXT) | instid1(VALU_DEP_4)
	v_mul_f32_e32 v14, v13, v14
	v_mul_f32_e32 v9, v21, v9
	v_bfe_u32 v21, v18, 16, 1
	s_delay_alu instid0(VALU_DEP_2) | instskip(NEXT) | instid1(VALU_DEP_2)
	v_bfe_u32 v23, v9, 16, 1
	v_add3_u32 v16, v18, v21, 0x7fff
	v_cmp_o_f32_e32 vcc_lo, v9, v9
	s_delay_alu instid0(VALU_DEP_3) | instskip(NEXT) | instid1(VALU_DEP_3)
	v_add3_u32 v21, v9, v23, 0x7fff
	v_and_b32_e32 v15, 0xffff0000, v16
	s_delay_alu instid0(VALU_DEP_2) | instskip(SKIP_1) | instid1(VALU_DEP_2)
	v_and_b32_e32 v16, 0xffff0000, v21
	v_and_b32_e32 v21, 0xffff0000, v22
	v_cndmask_b32_e32 v9, 0x7fc00000, v16, vcc_lo
	v_cmp_o_f32_e32 vcc_lo, v18, v18
	s_delay_alu instid0(VALU_DEP_2) | instskip(SKIP_2) | instid1(VALU_DEP_3)
	v_mul_f32_e32 v9, v13, v9
	v_cndmask_b32_e32 v15, 0x7fc00000, v15, vcc_lo
	v_cmp_o_f32_e32 vcc_lo, v10, v10
	v_rndne_f32_e32 v9, v9
	s_delay_alu instid0(VALU_DEP_3) | instskip(SKIP_1) | instid1(VALU_DEP_2)
	v_dual_mul_f32 v15, v13, v15 :: v_dual_cndmask_b32 v10, 0x7fc00000, v21
	v_cmp_o_f32_e32 vcc_lo, v19, v19
	v_dual_mul_f32 v10, v13, v10 :: v_dual_cndmask_b32 v11, 0x7fc0, v11
	v_cmp_o_f32_e32 vcc_lo, v7, v7
	v_rndne_f32_e32 v13, v14
	v_rndne_f32_e32 v14, v15
	s_delay_alu instid0(VALU_DEP_4) | instskip(SKIP_3) | instid1(VALU_DEP_2)
	v_rndne_f32_e32 v10, v10
	v_or_b32_e32 v11, v11, v12
	v_cndmask_b32_e32 v7, 0x7fc0, v20, vcc_lo
	v_cmp_nlt_f32_e32 vcc_lo, 0x42fe0000, v9
	v_or3_b32 v8, 0, v7, v8
	v_cndmask_b32_e32 v15, 0x42fe0000, v9, vcc_lo
	v_cmp_nlt_f32_e32 vcc_lo, 0x42fe0000, v13
	v_or3_b32 v7, v11, 0, 0
	v_cndmask_b32_e32 v16, 0x42fe0000, v13, vcc_lo
	v_cmp_nlt_f32_e32 vcc_lo, 0x42fe0000, v14
	global_store_b64 v[5:6], v[7:8], off
	v_cndmask_b32_e32 v17, 0x42fe0000, v14, vcc_lo
	v_cmp_ngt_f32_e32 vcc_lo, 0xc3000000, v9
	v_cndmask_b32_e32 v9, 0xc3000000, v15, vcc_lo
	v_cmp_nlt_f32_e32 vcc_lo, 0x42fe0000, v10
	s_delay_alu instid0(VALU_DEP_2) | instskip(SKIP_2) | instid1(VALU_DEP_3)
	v_cvt_i32_f32_e32 v9, v9
	v_cndmask_b32_e32 v15, 0x42fe0000, v10, vcc_lo
	v_cmp_ngt_f32_e32 vcc_lo, 0xc3000000, v14
	v_and_b32_e32 v9, 0xff, v9
	v_cndmask_b32_e32 v14, 0xc3000000, v17, vcc_lo
	v_cmp_ngt_f32_e32 vcc_lo, 0xc3000000, v13
	s_delay_alu instid0(VALU_DEP_3) | instskip(NEXT) | instid1(VALU_DEP_3)
	v_lshlrev_b32_e32 v9, 16, v9
	v_cvt_i32_f32_e32 v14, v14
	v_cndmask_b32_e32 v13, 0xc3000000, v16, vcc_lo
	v_cmp_ngt_f32_e32 vcc_lo, 0xc3000000, v10
	s_delay_alu instid0(VALU_DEP_2) | instskip(SKIP_3) | instid1(VALU_DEP_4)
	v_cvt_i32_f32_e32 v12, v13
	v_cndmask_b32_e32 v10, 0xc3000000, v15, vcc_lo
	v_and_b32_e32 v13, 0xff, v14
	v_add_co_u32 v3, vcc_lo, s1, v3
	v_and_b32_e32 v11, 0xff, v12
	s_delay_alu instid0(VALU_DEP_4) | instskip(NEXT) | instid1(VALU_DEP_4)
	v_cvt_i32_f32_e32 v10, v10
	v_lshlrev_b32_e32 v12, 8, v13
	v_add_co_ci_u32_e32 v4, vcc_lo, s4, v4, vcc_lo
	s_delay_alu instid0(VALU_DEP_3) | instskip(NEXT) | instid1(VALU_DEP_1)
	v_lshl_or_b32 v9, v10, 24, v9
	v_or3_b32 v9, v9, v12, v11
	global_store_b32 v[3:4], v9, off
	v_cmpx_gt_u32_e64 s12, v0
	s_cbranch_execz .LBB83_52
; %bb.58:                               ;   in Loop: Header=BB83_55 Depth=1
	v_lshlrev_b64 v[3:4], 3, v[0:1]
	v_lshrrev_b32_e32 v5, 2, v0
	v_lshlrev_b64 v[11:12], 2, v[0:1]
	v_add3_u32 v0, s8, s34, v2
	s_delay_alu instid0(VALU_DEP_3)
	v_and_b32_e32 v9, 0xffffffc, v5
	v_add_co_u32 v5, vcc_lo, s14, v3
	v_add_co_ci_u32_e32 v6, vcc_lo, s30, v4, vcc_lo
	v_add_co_u32 v7, vcc_lo, s10, v3
	v_add_co_ci_u32_e32 v8, vcc_lo, s11, v4, vcc_lo
	;; [unrolled: 2-line block ×3, first 2 shown]
	global_load_b64 v[5:6], v[5:6], off
	global_load_b32 v13, v9, s[2:3]
	global_load_b64 v[7:8], v[7:8], off
	global_load_b64 v[9:10], v[3:4], off
	s_waitcnt vmcnt(2)
	v_div_scale_f32 v2, null, v13, v13, 1.0
	s_waitcnt vmcnt(0)
	v_and_b32_e32 v18, 0xffff0000, v9
	v_and_b32_e32 v16, 0xffff0000, v7
	;; [unrolled: 1-line block ×3, first 2 shown]
	v_lshlrev_b32_e32 v20, 16, v7
	v_alignbit_b32 v7, v8, v7, 16
	v_and_b32_e32 v8, 0xffff0000, v8
	v_lshlrev_b32_e32 v19, 16, v9
	v_alignbit_b32 v9, v10, v9, 16
	v_add_f32_e32 v15, v15, v18
	v_lshlrev_b32_e32 v17, 16, v5
	v_alignbit_b32 v5, v6, v5, 16
	v_rcp_f32_e32 v21, v2
	s_delay_alu instid0(VALU_DEP_3) | instskip(NEXT) | instid1(VALU_DEP_3)
	v_dual_mul_f32 v22, v28, v15 :: v_dual_and_b32 v9, 0xffff0000, v9
	v_dual_add_f32 v17, v17, v19 :: v_dual_and_b32 v6, 0xffff0000, v6
	s_delay_alu instid0(VALU_DEP_3) | instskip(SKIP_2) | instid1(VALU_DEP_4)
	v_and_b32_e32 v5, 0xffff0000, v5
	v_and_b32_e32 v10, 0xffff0000, v10
	v_div_scale_f32 v14, vcc_lo, 1.0, v13, 1.0
	v_mul_f32_e32 v19, v28, v17
	s_delay_alu instid0(VALU_DEP_3) | instskip(SKIP_1) | instid1(TRANS32_DEP_1)
	v_dual_add_f32 v5, v5, v9 :: v_dual_add_f32 v6, v6, v10
	v_bfe_u32 v10, v15, 16, 1
	v_fma_f32 v24, -v2, v21, 1.0
	s_delay_alu instid0(VALU_DEP_4) | instskip(NEXT) | instid1(VALU_DEP_4)
	v_bfe_u32 v26, v19, 16, 1
	v_bfe_u32 v25, v5, 16, 1
	;; [unrolled: 1-line block ×3, first 2 shown]
	v_add3_u32 v10, v15, v10, 0x7fff
	v_fmac_f32_e32 v21, v24, v21
	v_cmp_o_f32_e64 s0, v6, v6
	v_mul_f32_e32 v23, v28, v6
	v_add3_u32 v18, v6, v18, 0x7fff
	v_and_b32_e32 v10, 0xffff0000, v10
	v_bfe_u32 v27, v22, 16, 1
	v_mul_f32_e32 v29, v28, v5
	v_add3_u32 v24, v5, v25, 0x7fff
	v_dual_mul_f32 v31, v14, v21 :: v_dual_and_b32 v18, 0xffff0000, v18
	v_add3_u32 v25, v19, v26, 0x7fff
	v_bfe_u32 v30, v23, 16, 1
	v_add3_u32 v26, v22, v27, 0x7fff
	s_delay_alu instid0(VALU_DEP_4)
	v_cndmask_b32_e64 v6, 0x7fc00000, v18, s0
	v_cmp_o_f32_e64 s0, v15, v15
	v_bfe_u32 v27, v29, 16, 1
	v_and_b32_e32 v15, 0xffff0000, v25
	v_add3_u32 v30, v23, v30, 0x7fff
	v_and_b32_e32 v7, 0xffff0000, v7
	v_cndmask_b32_e64 v10, 0x7fc00000, v10, s0
	v_cmp_o_f32_e64 s0, v19, v19
	v_add3_u32 v25, v29, v27, 0x7fff
	v_fma_f32 v27, -v2, v31, v14
	v_and_b32_e32 v18, 0xffff0000, v26
	v_bfe_u32 v9, v17, 16, 1
	v_cndmask_b32_e64 v15, 0x7fc00000, v15, s0
	v_cmp_o_f32_e64 s0, v22, v22
	v_dual_fmac_f32 v31, v27, v21 :: v_dual_and_b32 v26, 0xffff0000, v30
	v_and_b32_e32 v19, 0xffff0000, v25
	s_delay_alu instid0(VALU_DEP_4) | instskip(NEXT) | instid1(VALU_DEP_4)
	v_mul_f32_e32 v15, v15, v20
	v_cndmask_b32_e64 v18, 0x7fc00000, v18, s0
	v_cmp_o_f32_e64 s0, v23, v23
	v_fma_f32 v2, -v2, v31, v14
	v_add3_u32 v9, v17, v9, 0x7fff
	v_bfe_u32 v14, v15, 16, 1
	v_mul_f32_e32 v16, v18, v16
	v_cndmask_b32_e64 v22, 0x7fc00000, v26, s0
	v_cmp_o_f32_e64 s0, v29, v29
	v_div_fmas_f32 v2, v2, v21, v31
	v_add3_u32 v14, v15, v14, 0x7fff
	v_bfe_u32 v18, v16, 16, 1
	v_mul_f32_e32 v8, v22, v8
	v_cndmask_b32_e64 v19, 0x7fc00000, v19, s0
	v_div_fixup_f32 v2, v2, v13, 1.0
	v_and_b32_e32 v13, 0xffff0000, v14
	v_add3_u32 v18, v16, v18, 0x7fff
	v_cmp_o_f32_e32 vcc_lo, v15, v15
	v_mul_f32_e32 v7, v19, v7
	v_bfe_u32 v19, v8, 16, 1
	v_lshrrev_b32_e32 v9, 16, v9
	v_and_b32_e32 v14, 0xffff0000, v18
	v_cndmask_b32_e32 v13, 0x7fc00000, v13, vcc_lo
	v_bfe_u32 v20, v7, 16, 1
	v_cmp_o_f32_e32 vcc_lo, v7, v7
	v_add3_u32 v19, v8, v19, 0x7fff
	v_lshrrev_b32_e32 v24, 16, v24
	v_mul_f32_e32 v13, v2, v13
	v_add3_u32 v20, v7, v20, 0x7fff
	s_delay_alu instid0(VALU_DEP_4) | instskip(NEXT) | instid1(VALU_DEP_2)
	v_and_b32_e32 v19, 0xffff0000, v19
	v_and_b32_e32 v18, 0xffff0000, v20
	s_delay_alu instid0(VALU_DEP_1) | instskip(SKIP_1) | instid1(VALU_DEP_2)
	v_cndmask_b32_e32 v7, 0x7fc00000, v18, vcc_lo
	v_cmp_o_f32_e32 vcc_lo, v16, v16
	v_dual_mul_f32 v7, v2, v7 :: v_dual_cndmask_b32 v14, 0x7fc00000, v14
	v_cmp_o_f32_e32 vcc_lo, v8, v8
	s_delay_alu instid0(VALU_DEP_2) | instskip(NEXT) | instid1(VALU_DEP_3)
	v_rndne_f32_e32 v7, v7
	v_mul_f32_e32 v14, v2, v14
	v_cndmask_b32_e32 v8, 0x7fc00000, v19, vcc_lo
	v_cmp_o_f32_e32 vcc_lo, v17, v17
	s_delay_alu instid0(VALU_DEP_2) | instskip(SKIP_3) | instid1(VALU_DEP_4)
	v_dual_mul_f32 v2, v2, v8 :: v_dual_cndmask_b32 v9, 0x7fc0, v9
	v_cmp_o_f32_e32 vcc_lo, v5, v5
	v_rndne_f32_e32 v8, v13
	v_rndne_f32_e32 v13, v14
	;; [unrolled: 1-line block ×3, first 2 shown]
	v_or_b32_e32 v9, v9, v10
	v_cndmask_b32_e32 v5, 0x7fc0, v24, vcc_lo
	v_cmp_nlt_f32_e32 vcc_lo, 0x42fe0000, v7
	s_delay_alu instid0(VALU_DEP_2)
	v_or3_b32 v6, 0, v5, v6
	v_cndmask_b32_e32 v14, 0x42fe0000, v7, vcc_lo
	v_cmp_nlt_f32_e32 vcc_lo, 0x42fe0000, v8
	v_or3_b32 v5, v9, 0, 0
	v_cndmask_b32_e32 v15, 0x42fe0000, v8, vcc_lo
	v_cmp_nlt_f32_e32 vcc_lo, 0x42fe0000, v13
	global_store_b64 v[3:4], v[5:6], off
	v_cndmask_b32_e32 v16, 0x42fe0000, v13, vcc_lo
	v_cmp_ngt_f32_e32 vcc_lo, 0xc3000000, v7
	v_cndmask_b32_e32 v7, 0xc3000000, v14, vcc_lo
	v_cmp_nlt_f32_e32 vcc_lo, 0x42fe0000, v2
	s_delay_alu instid0(VALU_DEP_2) | instskip(SKIP_2) | instid1(VALU_DEP_3)
	v_cvt_i32_f32_e32 v7, v7
	v_cndmask_b32_e32 v14, 0x42fe0000, v2, vcc_lo
	v_cmp_ngt_f32_e32 vcc_lo, 0xc3000000, v13
	v_and_b32_e32 v7, 0xff, v7
	s_delay_alu instid0(VALU_DEP_1) | instskip(SKIP_2) | instid1(VALU_DEP_2)
	v_lshlrev_b32_e32 v7, 16, v7
	v_cndmask_b32_e32 v13, 0xc3000000, v16, vcc_lo
	v_cmp_ngt_f32_e32 vcc_lo, 0xc3000000, v8
	v_cvt_i32_f32_e32 v13, v13
	v_cndmask_b32_e32 v8, 0xc3000000, v15, vcc_lo
	v_cmp_ngt_f32_e32 vcc_lo, 0xc3000000, v2
	s_delay_alu instid0(VALU_DEP_3) | instskip(NEXT) | instid1(VALU_DEP_3)
	v_and_b32_e32 v10, 0xff, v13
	v_cvt_i32_f32_e32 v8, v8
	v_cndmask_b32_e32 v2, 0xc3000000, v14, vcc_lo
	s_delay_alu instid0(VALU_DEP_3) | instskip(NEXT) | instid1(VALU_DEP_3)
	v_lshlrev_b32_e32 v10, 8, v10
	v_and_b32_e32 v9, 0xff, v8
	s_delay_alu instid0(VALU_DEP_3) | instskip(NEXT) | instid1(VALU_DEP_1)
	v_cvt_i32_f32_e32 v2, v2
	v_lshl_or_b32 v2, v2, 24, v7
	v_add_co_u32 v7, vcc_lo, s1, v11
	v_add_co_ci_u32_e32 v8, vcc_lo, s4, v12, vcc_lo
	v_cmp_le_u32_e32 vcc_lo, s12, v0
	s_delay_alu instid0(VALU_DEP_4)
	v_or3_b32 v2, v2, v10, v9
	s_or_not1_b32 s0, vcc_lo, exec_lo
	global_store_b32 v[7:8], v2, off
	s_branch .LBB83_52
.LBB83_59:
	s_nop 0
	s_sendmsg sendmsg(MSG_DEALLOC_VGPRS)
	s_endpgm
	.section	.rodata,"a",@progbits
	.p2align	6, 0x0
	.amdhsa_kernel _ZN4vllm31rms_norm_per_block_quant_kernelIN3c108BFloat16EaLb1ELb0ELi64EEEvPT0_PfPKT_S8_PKffiiPS6_l
		.amdhsa_group_segment_fixed_size 4228
		.amdhsa_private_segment_fixed_size 0
		.amdhsa_kernarg_size 328
		.amdhsa_user_sgpr_count 15
		.amdhsa_user_sgpr_dispatch_ptr 0
		.amdhsa_user_sgpr_queue_ptr 0
		.amdhsa_user_sgpr_kernarg_segment_ptr 1
		.amdhsa_user_sgpr_dispatch_id 0
		.amdhsa_user_sgpr_private_segment_size 0
		.amdhsa_wavefront_size32 1
		.amdhsa_uses_dynamic_stack 0
		.amdhsa_enable_private_segment 0
		.amdhsa_system_sgpr_workgroup_id_x 1
		.amdhsa_system_sgpr_workgroup_id_y 0
		.amdhsa_system_sgpr_workgroup_id_z 0
		.amdhsa_system_sgpr_workgroup_info 0
		.amdhsa_system_vgpr_workitem_id 0
		.amdhsa_next_free_vgpr 54
		.amdhsa_next_free_sgpr 41
		.amdhsa_reserve_vcc 1
		.amdhsa_float_round_mode_32 0
		.amdhsa_float_round_mode_16_64 0
		.amdhsa_float_denorm_mode_32 3
		.amdhsa_float_denorm_mode_16_64 3
		.amdhsa_dx10_clamp 1
		.amdhsa_ieee_mode 1
		.amdhsa_fp16_overflow 0
		.amdhsa_workgroup_processor_mode 1
		.amdhsa_memory_ordered 1
		.amdhsa_forward_progress 0
		.amdhsa_shared_vgpr_count 0
		.amdhsa_exception_fp_ieee_invalid_op 0
		.amdhsa_exception_fp_denorm_src 0
		.amdhsa_exception_fp_ieee_div_zero 0
		.amdhsa_exception_fp_ieee_overflow 0
		.amdhsa_exception_fp_ieee_underflow 0
		.amdhsa_exception_fp_ieee_inexact 0
		.amdhsa_exception_int_div_zero 0
	.end_amdhsa_kernel
	.section	.text._ZN4vllm31rms_norm_per_block_quant_kernelIN3c108BFloat16EaLb1ELb0ELi64EEEvPT0_PfPKT_S8_PKffiiPS6_l,"axG",@progbits,_ZN4vllm31rms_norm_per_block_quant_kernelIN3c108BFloat16EaLb1ELb0ELi64EEEvPT0_PfPKT_S8_PKffiiPS6_l,comdat
.Lfunc_end83:
	.size	_ZN4vllm31rms_norm_per_block_quant_kernelIN3c108BFloat16EaLb1ELb0ELi64EEEvPT0_PfPKT_S8_PKffiiPS6_l, .Lfunc_end83-_ZN4vllm31rms_norm_per_block_quant_kernelIN3c108BFloat16EaLb1ELb0ELi64EEEvPT0_PfPKT_S8_PKffiiPS6_l
                                        ; -- End function
	.section	.AMDGPU.csdata,"",@progbits
; Kernel info:
; codeLenInByte = 12040
; NumSgprs: 43
; NumVgprs: 54
; ScratchSize: 0
; MemoryBound: 0
; FloatMode: 240
; IeeeMode: 1
; LDSByteSize: 4228 bytes/workgroup (compile time only)
; SGPRBlocks: 5
; VGPRBlocks: 6
; NumSGPRsForWavesPerEU: 43
; NumVGPRsForWavesPerEU: 54
; Occupancy: 16
; WaveLimiterHint : 0
; COMPUTE_PGM_RSRC2:SCRATCH_EN: 0
; COMPUTE_PGM_RSRC2:USER_SGPR: 15
; COMPUTE_PGM_RSRC2:TRAP_HANDLER: 0
; COMPUTE_PGM_RSRC2:TGID_X_EN: 1
; COMPUTE_PGM_RSRC2:TGID_Y_EN: 0
; COMPUTE_PGM_RSRC2:TGID_Z_EN: 0
; COMPUTE_PGM_RSRC2:TIDIG_COMP_CNT: 0
	.section	.text._ZN4vllm31rms_norm_per_block_quant_kernelIN3c108BFloat16ENS1_13Float8_e4m3fnELb0ELb1ELi64EEEvPT0_PfPKT_S9_PKffiiPS7_l,"axG",@progbits,_ZN4vllm31rms_norm_per_block_quant_kernelIN3c108BFloat16ENS1_13Float8_e4m3fnELb0ELb1ELi64EEEvPT0_PfPKT_S9_PKffiiPS7_l,comdat
	.protected	_ZN4vllm31rms_norm_per_block_quant_kernelIN3c108BFloat16ENS1_13Float8_e4m3fnELb0ELb1ELi64EEEvPT0_PfPKT_S9_PKffiiPS7_l ; -- Begin function _ZN4vllm31rms_norm_per_block_quant_kernelIN3c108BFloat16ENS1_13Float8_e4m3fnELb0ELb1ELi64EEEvPT0_PfPKT_S9_PKffiiPS7_l
	.globl	_ZN4vllm31rms_norm_per_block_quant_kernelIN3c108BFloat16ENS1_13Float8_e4m3fnELb0ELb1ELi64EEEvPT0_PfPKT_S9_PKffiiPS7_l
	.p2align	8
	.type	_ZN4vllm31rms_norm_per_block_quant_kernelIN3c108BFloat16ENS1_13Float8_e4m3fnELb0ELb1ELi64EEEvPT0_PfPKT_S9_PKffiiPS7_l,@function
_ZN4vllm31rms_norm_per_block_quant_kernelIN3c108BFloat16ENS1_13Float8_e4m3fnELb0ELb1ELi64EEEvPT0_PfPKT_S9_PKffiiPS7_l: ; @_ZN4vllm31rms_norm_per_block_quant_kernelIN3c108BFloat16ENS1_13Float8_e4m3fnELb0ELb1ELi64EEEvPT0_PfPKT_S9_PKffiiPS7_l
; %bb.0:
	s_mov_b32 s16, s15
	s_clause 0x2
	s_load_b128 s[12:15], s[0:1], 0x28
	s_load_b256 s[4:11], s[0:1], 0x0
	s_load_b32 s29, s[0:1], 0x48
	v_mov_b32_e32 v6, 0
	s_mov_b32 s17, 0
	s_waitcnt lgkmcnt(0)
	s_ashr_i32 s2, s14, 31
	s_mul_hi_u32 s3, s14, s16
	s_mul_i32 s15, s2, s16
	s_mul_i32 s2, s14, s16
	s_add_i32 s3, s3, s15
	s_mov_b32 s18, s13
	s_lshl_b64 s[22:23], s[2:3], 1
	s_delay_alu instid0(SALU_CYCLE_1)
	s_add_u32 s26, s8, s22
	s_addc_u32 s27, s9, s23
	s_ashr_i32 s14, s13, 2
	s_add_u32 s20, s0, 0x48
	v_cmp_gt_u32_e64 s2, s14, v0
	s_addc_u32 s21, s1, 0
	s_delay_alu instid0(VALU_DEP_1)
	s_and_saveexec_b32 s3, s2
	s_cbranch_execz .LBB84_10
; %bb.1:
	s_cmp_lt_u32 s16, s29
	v_mov_b32_e32 v2, 0
	s_cselect_b32 s15, 12, 18
                                        ; implicit-def: $sgpr19
	v_mov_b32_e32 v1, v0
	s_add_u32 s24, s20, s15
	s_addc_u32 s25, s21, 0
	s_mov_b32 s15, s17
	global_load_u16 v7, v2, s[24:25]
	s_waitcnt vmcnt(0)
	v_lshlrev_b32_e32 v9, 1, v7
	v_mul_lo_u32 v8, v7, 3
	v_add_nc_u32_e32 v10, v7, v7
	v_mov_b32_e32 v6, v2
	s_branch .LBB84_5
.LBB84_2:                               ;   in Loop: Header=BB84_5 Depth=1
	s_or_b32 exec_lo, exec_lo, s28
	s_delay_alu instid0(SALU_CYCLE_1)
	s_or_not1_b32 s28, s30, exec_lo
.LBB84_3:                               ;   in Loop: Header=BB84_5 Depth=1
	s_or_b32 exec_lo, exec_lo, s25
	s_delay_alu instid0(SALU_CYCLE_1) | instskip(SKIP_1) | instid1(SALU_CYCLE_1)
	s_and_not1_b32 s19, s19, exec_lo
	s_and_b32 s25, s28, exec_lo
	s_or_b32 s19, s19, s25
.LBB84_4:                               ;   in Loop: Header=BB84_5 Depth=1
	s_or_b32 exec_lo, exec_lo, s24
	s_delay_alu instid0(SALU_CYCLE_1) | instskip(NEXT) | instid1(SALU_CYCLE_1)
	s_and_b32 s24, exec_lo, s19
	s_or_b32 s15, s24, s15
	s_delay_alu instid0(SALU_CYCLE_1)
	s_and_not1_b32 exec_lo, exec_lo, s15
	s_cbranch_execz .LBB84_9
.LBB84_5:                               ; =>This Inner Loop Header: Depth=1
	v_lshlrev_b64 v[3:4], 3, v[1:2]
	s_or_b32 s19, s19, exec_lo
	s_mov_b32 s24, exec_lo
	s_delay_alu instid0(VALU_DEP_1) | instskip(NEXT) | instid1(VALU_DEP_2)
	v_add_co_u32 v3, vcc_lo, s26, v3
	v_add_co_ci_u32_e32 v4, vcc_lo, s27, v4, vcc_lo
	global_load_b64 v[3:4], v[3:4], off
	s_waitcnt vmcnt(0)
	v_lshlrev_b32_e32 v5, 16, v3
	v_and_b32_e32 v11, 0xffff0000, v3
	v_alignbit_b32 v3, v4, v3, 16
	v_and_b32_e32 v4, 0xffff0000, v4
	s_delay_alu instid0(VALU_DEP_2) | instskip(NEXT) | instid1(VALU_DEP_1)
	v_dual_fmac_f32 v6, v5, v5 :: v_dual_and_b32 v3, 0xffff0000, v3
	v_fmac_f32_e32 v6, v11, v11
	s_delay_alu instid0(VALU_DEP_1) | instskip(NEXT) | instid1(VALU_DEP_1)
	v_fmac_f32_e32 v6, v3, v3
	v_dual_fmac_f32 v6, v4, v4 :: v_dual_add_nc_u32 v3, v1, v7
	s_delay_alu instid0(VALU_DEP_1)
	v_cmpx_gt_u32_e64 s14, v3
	s_cbranch_execz .LBB84_4
; %bb.6:                                ;   in Loop: Header=BB84_5 Depth=1
	v_mov_b32_e32 v4, v2
	s_mov_b32 s28, -1
	s_mov_b32 s25, exec_lo
	s_delay_alu instid0(VALU_DEP_1) | instskip(NEXT) | instid1(VALU_DEP_1)
	v_lshlrev_b64 v[4:5], 3, v[3:4]
	v_add_co_u32 v4, vcc_lo, s26, v4
	s_delay_alu instid0(VALU_DEP_2)
	v_add_co_ci_u32_e32 v5, vcc_lo, s27, v5, vcc_lo
	global_load_b64 v[4:5], v[4:5], off
	s_waitcnt vmcnt(0)
	v_lshlrev_b32_e32 v11, 16, v4
	v_and_b32_e32 v12, 0xffff0000, v4
	v_alignbit_b32 v4, v5, v4, 16
	s_delay_alu instid0(VALU_DEP_3) | instskip(NEXT) | instid1(VALU_DEP_2)
	v_dual_fmac_f32 v6, v11, v11 :: v_dual_and_b32 v5, 0xffff0000, v5
	v_and_b32_e32 v4, 0xffff0000, v4
	s_delay_alu instid0(VALU_DEP_2) | instskip(NEXT) | instid1(VALU_DEP_1)
	v_fmac_f32_e32 v6, v12, v12
	v_fmac_f32_e32 v6, v4, v4
	v_add_nc_u32_e32 v4, v9, v1
	s_delay_alu instid0(VALU_DEP_2) | instskip(NEXT) | instid1(VALU_DEP_2)
	v_fmac_f32_e32 v6, v5, v5
	v_cmpx_gt_u32_e64 s14, v4
	s_cbranch_execz .LBB84_3
; %bb.7:                                ;   in Loop: Header=BB84_5 Depth=1
	v_mov_b32_e32 v5, v2
	v_add_nc_u32_e32 v1, v8, v1
	s_mov_b32 s30, -1
	s_mov_b32 s28, exec_lo
	s_delay_alu instid0(VALU_DEP_2) | instskip(NEXT) | instid1(VALU_DEP_1)
	v_lshlrev_b64 v[4:5], 3, v[4:5]
	v_add_co_u32 v4, vcc_lo, s26, v4
	s_delay_alu instid0(VALU_DEP_2)
	v_add_co_ci_u32_e32 v5, vcc_lo, s27, v5, vcc_lo
	global_load_b64 v[4:5], v[4:5], off
	s_waitcnt vmcnt(0)
	v_and_b32_e32 v12, 0xffff0000, v4
	v_lshlrev_b32_e32 v11, 16, v4
	v_alignbit_b32 v4, v5, v4, 16
	s_delay_alu instid0(VALU_DEP_2) | instskip(NEXT) | instid1(VALU_DEP_2)
	v_dual_fmac_f32 v6, v11, v11 :: v_dual_and_b32 v5, 0xffff0000, v5
	v_and_b32_e32 v4, 0xffff0000, v4
	s_delay_alu instid0(VALU_DEP_2) | instskip(NEXT) | instid1(VALU_DEP_1)
	v_fmac_f32_e32 v6, v12, v12
	v_fmac_f32_e32 v6, v4, v4
	s_delay_alu instid0(VALU_DEP_1)
	v_fmac_f32_e32 v6, v5, v5
	v_cmpx_gt_u32_e64 s14, v1
	s_xor_b32 s28, exec_lo, s28
	s_cbranch_execz .LBB84_2
; %bb.8:                                ;   in Loop: Header=BB84_5 Depth=1
	v_lshlrev_b64 v[4:5], 3, v[1:2]
	s_delay_alu instid0(VALU_DEP_1) | instskip(NEXT) | instid1(VALU_DEP_2)
	v_add_co_u32 v4, vcc_lo, s26, v4
	v_add_co_ci_u32_e32 v5, vcc_lo, s27, v5, vcc_lo
	global_load_b64 v[4:5], v[4:5], off
	s_waitcnt vmcnt(0)
	v_and_b32_e32 v11, 0xffff0000, v4
	v_lshlrev_b32_e32 v1, 16, v4
	v_alignbit_b32 v4, v5, v4, 16
	s_delay_alu instid0(VALU_DEP_2) | instskip(NEXT) | instid1(VALU_DEP_2)
	v_fmac_f32_e32 v6, v1, v1
	v_and_b32_e32 v4, 0xffff0000, v4
	v_add3_u32 v1, v10, v7, v3
	s_delay_alu instid0(VALU_DEP_3) | instskip(NEXT) | instid1(VALU_DEP_2)
	v_dual_fmac_f32 v6, v11, v11 :: v_dual_and_b32 v3, 0xffff0000, v5
	v_cmp_le_u32_e32 vcc_lo, s14, v1
	s_delay_alu instid0(VALU_DEP_2) | instskip(SKIP_1) | instid1(VALU_DEP_1)
	v_fmac_f32_e32 v6, v4, v4
	s_or_not1_b32 s30, vcc_lo, exec_lo
	v_fmac_f32_e32 v6, v3, v3
	s_branch .LBB84_2
.LBB84_9:
	s_or_b32 exec_lo, exec_lo, s15
.LBB84_10:
	s_delay_alu instid0(SALU_CYCLE_1) | instskip(SKIP_4) | instid1(VALU_DEP_2)
	s_or_b32 exec_lo, exec_lo, s3
	v_mbcnt_lo_u32_b32 v1, -1, 0
	s_load_b32 s3, s[20:21], 0xc
	v_and_b32_e32 v7, 0x3e0, v0
	s_mov_b32 s15, exec_lo
	v_cmp_ne_u32_e32 vcc_lo, 31, v1
	v_add_nc_u32_e32 v3, 1, v1
	v_add_co_ci_u32_e32 v2, vcc_lo, 0, v1, vcc_lo
	v_cmp_gt_u32_e32 vcc_lo, 30, v1
	s_delay_alu instid0(VALU_DEP_2)
	v_lshlrev_b32_e32 v2, 2, v2
	v_cndmask_b32_e64 v5, 0, 1, vcc_lo
	ds_bpermute_b32 v4, v2, v6
	s_waitcnt lgkmcnt(0)
	s_and_b32 s3, s3, 0xffff
	v_lshlrev_b32_e32 v5, 1, v5
	v_sub_nc_u32_e64 v12, s3, v7 clamp
	s_delay_alu instid0(VALU_DEP_1) | instskip(SKIP_1) | instid1(VALU_DEP_4)
	v_cmp_lt_u32_e32 vcc_lo, v3, v12
	v_add_f32_e32 v7, v6, v4
	v_add_lshl_u32 v4, v5, v1, 2
	s_delay_alu instid0(VALU_DEP_2) | instskip(SKIP_2) | instid1(VALU_DEP_1)
	v_cndmask_b32_e32 v7, v6, v7, vcc_lo
	v_cmp_gt_u32_e32 vcc_lo, 28, v1
	v_cndmask_b32_e64 v5, 0, 1, vcc_lo
	v_lshlrev_b32_e32 v8, 2, v5
	ds_bpermute_b32 v6, v4, v7
	v_add_nc_u32_e32 v5, 2, v1
	s_delay_alu instid0(VALU_DEP_1) | instskip(SKIP_3) | instid1(VALU_DEP_2)
	v_cmp_lt_u32_e32 vcc_lo, v5, v12
	s_waitcnt lgkmcnt(0)
	v_add_f32_e32 v9, v7, v6
	v_add_lshl_u32 v6, v8, v1, 2
	v_cndmask_b32_e32 v9, v7, v9, vcc_lo
	v_cmp_gt_u32_e32 vcc_lo, 24, v1
	ds_bpermute_b32 v8, v6, v9
	v_cndmask_b32_e64 v7, 0, 1, vcc_lo
	s_delay_alu instid0(VALU_DEP_1) | instskip(SKIP_1) | instid1(VALU_DEP_1)
	v_lshlrev_b32_e32 v10, 3, v7
	v_add_nc_u32_e32 v7, 4, v1
	v_cmp_lt_u32_e32 vcc_lo, v7, v12
	s_waitcnt lgkmcnt(0)
	v_add_f32_e32 v11, v9, v8
	v_add_lshl_u32 v8, v10, v1, 2
	s_delay_alu instid0(VALU_DEP_2) | instskip(SKIP_3) | instid1(VALU_DEP_1)
	v_cndmask_b32_e32 v11, v9, v11, vcc_lo
	v_cmp_gt_u32_e32 vcc_lo, 16, v1
	ds_bpermute_b32 v10, v8, v11
	v_cndmask_b32_e64 v9, 0, 1, vcc_lo
	v_lshlrev_b32_e32 v13, 4, v9
	v_add_nc_u32_e32 v9, 8, v1
	s_delay_alu instid0(VALU_DEP_1) | instskip(SKIP_3) | instid1(VALU_DEP_2)
	v_cmp_lt_u32_e32 vcc_lo, v9, v12
	s_waitcnt lgkmcnt(0)
	v_add_f32_e32 v14, v11, v10
	v_add_lshl_u32 v10, v13, v1, 2
	v_cndmask_b32_e32 v13, v11, v14, vcc_lo
	v_add_nc_u32_e32 v11, 16, v1
	ds_bpermute_b32 v14, v10, v13
	v_cmp_lt_u32_e32 vcc_lo, v11, v12
	s_waitcnt lgkmcnt(0)
	v_add_f32_e32 v14, v13, v14
	s_delay_alu instid0(VALU_DEP_1)
	v_cndmask_b32_e32 v12, v13, v14, vcc_lo
	v_cmpx_eq_u32_e32 0, v1
	s_cbranch_execz .LBB84_12
; %bb.11:
	v_lshrrev_b32_e32 v13, 3, v0
	s_delay_alu instid0(VALU_DEP_1)
	v_and_b32_e32 v13, 0x7c, v13
	ds_store_b32 v13, v12 offset:4096
.LBB84_12:
	s_or_b32 exec_lo, exec_lo, s15
	s_delay_alu instid0(SALU_CYCLE_1)
	s_mov_b32 s15, exec_lo
	s_waitcnt lgkmcnt(0)
	s_barrier
	buffer_gl0_inv
	v_cmpx_gt_u32_e32 32, v0
	s_cbranch_execz .LBB84_14
; %bb.13:
	v_lshlrev_b32_e32 v1, 2, v1
	s_add_i32 s3, s3, 31
	s_delay_alu instid0(SALU_CYCLE_1) | instskip(NEXT) | instid1(SALU_CYCLE_1)
	s_lshr_b32 s3, s3, 5
	v_cmp_gt_u32_e32 vcc_lo, s3, v3
	ds_load_b32 v1, v1 offset:4096
	s_waitcnt lgkmcnt(0)
	ds_bpermute_b32 v2, v2, v1
	s_waitcnt lgkmcnt(0)
	v_add_f32_e32 v2, v1, v2
	s_delay_alu instid0(VALU_DEP_1) | instskip(SKIP_4) | instid1(VALU_DEP_1)
	v_cndmask_b32_e32 v1, v1, v2, vcc_lo
	v_cmp_gt_u32_e32 vcc_lo, s3, v5
	ds_bpermute_b32 v2, v4, v1
	s_waitcnt lgkmcnt(0)
	v_add_f32_e32 v2, v1, v2
	v_cndmask_b32_e32 v1, v1, v2, vcc_lo
	v_cmp_gt_u32_e32 vcc_lo, s3, v7
	ds_bpermute_b32 v2, v6, v1
	s_waitcnt lgkmcnt(0)
	v_add_f32_e32 v2, v1, v2
	s_delay_alu instid0(VALU_DEP_1) | instskip(SKIP_4) | instid1(VALU_DEP_1)
	v_cndmask_b32_e32 v1, v1, v2, vcc_lo
	v_cmp_gt_u32_e32 vcc_lo, s3, v9
	ds_bpermute_b32 v2, v8, v1
	s_waitcnt lgkmcnt(0)
	v_add_f32_e32 v2, v1, v2
	v_cndmask_b32_e32 v1, v1, v2, vcc_lo
	v_cmp_gt_u32_e32 vcc_lo, s3, v11
	ds_bpermute_b32 v2, v10, v1
	s_waitcnt lgkmcnt(0)
	v_add_f32_e32 v2, v1, v2
	s_delay_alu instid0(VALU_DEP_1)
	v_cndmask_b32_e32 v12, v1, v2, vcc_lo
.LBB84_14:
	s_or_b32 exec_lo, exec_lo, s15
	s_delay_alu instid0(SALU_CYCLE_1)
	s_mov_b32 s3, exec_lo
	v_cmpx_eq_u32_e32 0, v0
	s_cbranch_execz .LBB84_16
; %bb.15:
	v_cvt_f32_i32_e32 v1, s13
	s_delay_alu instid0(VALU_DEP_1) | instskip(SKIP_1) | instid1(VALU_DEP_2)
	v_div_scale_f32 v2, null, v1, v1, v12
	v_div_scale_f32 v5, vcc_lo, v12, v1, v12
	v_rcp_f32_e32 v3, v2
	s_waitcnt_depctr 0xfff
	v_fma_f32 v4, -v2, v3, 1.0
	s_delay_alu instid0(VALU_DEP_1) | instskip(NEXT) | instid1(VALU_DEP_1)
	v_fmac_f32_e32 v3, v4, v3
	v_mul_f32_e32 v4, v5, v3
	s_delay_alu instid0(VALU_DEP_1) | instskip(NEXT) | instid1(VALU_DEP_1)
	v_fma_f32 v6, -v2, v4, v5
	v_fmac_f32_e32 v4, v6, v3
	s_delay_alu instid0(VALU_DEP_1) | instskip(NEXT) | instid1(VALU_DEP_1)
	v_fma_f32 v2, -v2, v4, v5
	v_div_fmas_f32 v2, v2, v3, v4
	s_delay_alu instid0(VALU_DEP_1) | instskip(NEXT) | instid1(VALU_DEP_1)
	v_div_fixup_f32 v1, v2, v1, v12
	v_add_f32_e32 v1, s12, v1
	s_delay_alu instid0(VALU_DEP_1) | instskip(SKIP_1) | instid1(VALU_DEP_2)
	v_mul_f32_e32 v2, 0x4b800000, v1
	v_cmp_gt_f32_e32 vcc_lo, 0x800000, v1
	v_cndmask_b32_e32 v1, v1, v2, vcc_lo
	s_delay_alu instid0(VALU_DEP_1) | instskip(SKIP_2) | instid1(VALU_DEP_1)
	v_rsq_f32_e32 v1, v1
	s_waitcnt_depctr 0xfff
	v_mul_f32_e32 v2, 0x45800000, v1
	v_dual_cndmask_b32 v1, v1, v2 :: v_dual_mov_b32 v2, 0
	ds_store_b32 v2, v1 offset:4224
.LBB84_16:
	s_or_b32 exec_lo, exec_lo, s3
	s_ashr_i32 s19, s13, 31
	v_mov_b32_e32 v4, 0
	s_lshr_b32 s3, s19, 26
	s_waitcnt lgkmcnt(0)
	s_add_i32 s3, s13, s3
	s_barrier
	s_ashr_i32 s12, s3, 6
	s_cmp_lt_u32 s16, s29
	buffer_gl0_inv
	s_cselect_b32 s13, 12, 18
	ds_load_b32 v28, v4 offset:4224
	s_add_u32 s20, s20, s13
	s_addc_u32 s21, s21, 0
	s_abs_i32 s13, s12
	global_load_u16 v1, v4, s[20:21]
	v_cvt_f32_u32_e32 v2, s13
	s_sub_i32 s20, 0, s13
	s_ashr_i32 s3, s3, 31
	s_delay_alu instid0(VALU_DEP_1) | instskip(SKIP_2) | instid1(VALU_DEP_1)
	v_rcp_iflag_f32_e32 v2, v2
	s_waitcnt_depctr 0xfff
	v_mul_f32_e32 v2, 0x4f7ffffe, v2
	v_cvt_u32_f32_e32 v2, v2
	s_delay_alu instid0(VALU_DEP_1) | instskip(NEXT) | instid1(VALU_DEP_1)
	v_readfirstlane_b32 s15, v2
	s_mul_i32 s20, s20, s15
	s_delay_alu instid0(SALU_CYCLE_1) | instskip(NEXT) | instid1(SALU_CYCLE_1)
	s_mul_hi_u32 s20, s15, s20
	s_add_i32 s15, s15, s20
	s_waitcnt vmcnt(0)
	v_readfirstlane_b32 s28, v1
	s_delay_alu instid0(VALU_DEP_1) | instskip(NEXT) | instid1(SALU_CYCLE_1)
	s_mul_hi_u32 s15, s28, s15
	s_mul_i32 s20, s15, s13
	s_add_i32 s21, s15, 1
	s_sub_i32 s20, s28, s20
	s_delay_alu instid0(SALU_CYCLE_1)
	s_sub_i32 s24, s20, s13
	s_cmp_ge_u32 s20, s13
	s_cselect_b32 s15, s21, s15
	s_cselect_b32 s20, s24, s20
	s_add_i32 s21, s15, 1
	s_cmp_ge_u32 s20, s13
	s_cselect_b32 s13, s21, s15
	s_ashr_i32 s15, s14, 31
	s_xor_b32 s13, s13, s3
	s_delay_alu instid0(SALU_CYCLE_1) | instskip(NEXT) | instid1(SALU_CYCLE_1)
	s_sub_i32 s20, s13, s3
	s_abs_i32 s3, s20
	s_ashr_i32 s21, s20, 31
	v_cvt_f32_u32_e32 v1, s3
	s_sub_i32 s13, 0, s3
	s_delay_alu instid0(VALU_DEP_1) | instskip(SKIP_2) | instid1(VALU_DEP_1)
	v_rcp_iflag_f32_e32 v1, v1
	s_waitcnt_depctr 0xfff
	v_mul_f32_e32 v1, 0x4f7ffffe, v1
	v_cvt_u32_f32_e32 v1, v1
	s_delay_alu instid0(VALU_DEP_1) | instskip(SKIP_1) | instid1(VALU_DEP_1)
	v_mul_lo_u32 v2, s13, v1
	s_mov_b32 s13, exec_lo
	v_mul_hi_u32 v2, v1, v2
	s_delay_alu instid0(VALU_DEP_1) | instskip(NEXT) | instid1(VALU_DEP_1)
	v_add_nc_u32_e32 v1, v1, v2
	v_mul_hi_u32 v1, v0, v1
	s_delay_alu instid0(VALU_DEP_1) | instskip(SKIP_1) | instid1(VALU_DEP_2)
	v_mul_lo_u32 v2, v1, s3
	v_add_nc_u32_e32 v3, 1, v1
	v_sub_nc_u32_e32 v2, v0, v2
	s_delay_alu instid0(VALU_DEP_1) | instskip(SKIP_1) | instid1(VALU_DEP_2)
	v_subrev_nc_u32_e32 v5, s3, v2
	v_cmp_le_u32_e32 vcc_lo, s3, v2
	v_dual_cndmask_b32 v2, v2, v5 :: v_dual_cndmask_b32 v1, v1, v3
	s_delay_alu instid0(VALU_DEP_1) | instskip(NEXT) | instid1(VALU_DEP_2)
	v_cmp_le_u32_e32 vcc_lo, s3, v2
	v_add_nc_u32_e32 v3, 1, v1
	s_delay_alu instid0(VALU_DEP_1) | instskip(NEXT) | instid1(VALU_DEP_1)
	v_cndmask_b32_e32 v1, v1, v3, vcc_lo
	v_xor_b32_e32 v1, s21, v1
	s_delay_alu instid0(VALU_DEP_1) | instskip(NEXT) | instid1(VALU_DEP_1)
	v_subrev_nc_u32_e32 v1, s21, v1
	v_ashrrev_i32_e32 v2, 31, v1
	v_mul_lo_u32 v3, v1, s20
	s_delay_alu instid0(VALU_DEP_2) | instskip(NEXT) | instid1(VALU_DEP_2)
	v_lshlrev_b64 v[7:8], 4, v[1:2]
	v_sub_nc_u32_e32 v3, v0, v3
	s_delay_alu instid0(VALU_DEP_2) | instskip(NEXT) | instid1(VALU_DEP_3)
	v_add_co_u32 v5, vcc_lo, v7, 16
	v_add_co_ci_u32_e32 v6, vcc_lo, 0, v8, vcc_lo
	s_delay_alu instid0(VALU_DEP_1) | instskip(SKIP_4) | instid1(VALU_DEP_3)
	v_cmp_gt_i64_e32 vcc_lo, s[14:15], v[5:6]
	v_cndmask_b32_e32 v6, s15, v6, vcc_lo
	v_cndmask_b32_e32 v5, s14, v5, vcc_lo
	v_add_co_u32 v7, vcc_lo, v7, v3
	v_add_co_ci_u32_e32 v8, vcc_lo, 0, v8, vcc_lo
	v_ashrrev_i32_e32 v10, 31, v5
	v_mov_b32_e32 v9, v5
	s_delay_alu instid0(VALU_DEP_1)
	v_cmpx_lt_i64_e64 v[7:8], v[9:10]
	s_cbranch_execz .LBB84_26
; %bb.17:
	v_lshlrev_b64 v[13:14], 7, v[1:2]
	v_lshlrev_b64 v[11:12], 3, v[3:4]
	s_mul_i32 s3, s20, 24
	s_mul_hi_i32 s15, s20, 24
	s_add_u32 s24, s8, s3
	s_delay_alu instid0(VALU_DEP_2) | instskip(SKIP_2) | instid1(VALU_DEP_2)
	v_add_co_u32 v4, vcc_lo, s22, v13
	v_add_co_ci_u32_e32 v15, vcc_lo, s23, v14, vcc_lo
	s_addc_u32 s22, s9, s15
	v_add_co_u32 v17, vcc_lo, s24, v4
	s_lshl_b64 s[24:25], s[20:21], 4
	s_delay_alu instid0(VALU_DEP_2)
	v_add_co_ci_u32_e32 v18, vcc_lo, s22, v15, vcc_lo
	s_lshl_b64 s[22:23], s[20:21], 5
	s_add_u32 s33, s8, s24
	s_addc_u32 s34, s9, s25
	s_lshl_b64 s[30:31], s[20:21], 3
	v_add_co_u32 v19, vcc_lo, s33, v4
	s_add_u32 s33, s8, s30
	v_add_co_ci_u32_e32 v20, vcc_lo, s34, v15, vcc_lo
	s_addc_u32 s34, s9, s31
	v_add_co_u32 v21, vcc_lo, s33, v4
	v_add_co_ci_u32_e32 v22, vcc_lo, s34, v15, vcc_lo
	v_add_co_u32 v23, vcc_lo, s8, v4
	s_add_u32 s3, s10, s3
	v_add_co_ci_u32_e32 v24, vcc_lo, s9, v15, vcc_lo
	s_addc_u32 s8, s11, s15
	v_add_co_u32 v25, vcc_lo, s3, v13
	s_add_u32 s3, s10, s24
	v_add_co_ci_u32_e32 v26, vcc_lo, s8, v14, vcc_lo
	s_addc_u32 s8, s11, s25
	;; [unrolled: 4-line block ×3, first 2 shown]
	v_add_co_u32 v30, vcc_lo, s3, v13
	v_add_co_ci_u32_e32 v31, vcc_lo, s8, v14, vcc_lo
	v_add_co_u32 v32, vcc_lo, s10, v13
	v_add_co_ci_u32_e32 v33, vcc_lo, s11, v14, vcc_lo
	v_mov_b32_e32 v14, v8
	v_dual_mov_b32 v4, 0 :: v_dual_mov_b32 v13, v7
	s_mul_hi_i32 s15, s20, 3
	s_mul_i32 s24, s20, 3
	s_lshl_b64 s[8:9], s[20:21], 1
	s_mov_b32 s25, 0
                                        ; implicit-def: $sgpr30
	s_branch .LBB84_21
.LBB84_18:                              ;   in Loop: Header=BB84_21 Depth=1
	s_or_b32 exec_lo, exec_lo, s34
	s_delay_alu instid0(SALU_CYCLE_1)
	s_or_not1_b32 s3, s3, exec_lo
.LBB84_19:                              ;   in Loop: Header=BB84_21 Depth=1
	s_or_b32 exec_lo, exec_lo, s33
	s_delay_alu instid0(SALU_CYCLE_1) | instskip(SKIP_1) | instid1(SALU_CYCLE_1)
	s_and_not1_b32 s30, s30, exec_lo
	s_and_b32 s3, s3, exec_lo
	s_or_b32 s30, s30, s3
.LBB84_20:                              ;   in Loop: Header=BB84_21 Depth=1
	s_or_b32 exec_lo, exec_lo, s31
	s_delay_alu instid0(SALU_CYCLE_1) | instskip(NEXT) | instid1(SALU_CYCLE_1)
	s_and_b32 s3, exec_lo, s30
	s_or_b32 s25, s3, s25
	s_delay_alu instid0(SALU_CYCLE_1)
	s_and_not1_b32 exec_lo, exec_lo, s25
	s_cbranch_execz .LBB84_25
.LBB84_21:                              ; =>This Inner Loop Header: Depth=1
	v_add_co_u32 v15, vcc_lo, v23, v11
	v_add_co_ci_u32_e32 v16, vcc_lo, v24, v12, vcc_lo
	v_add_co_u32 v34, vcc_lo, v32, v11
	v_add_co_ci_u32_e32 v35, vcc_lo, v33, v12, vcc_lo
	s_or_b32 s30, s30, exec_lo
	global_load_b64 v[15:16], v[15:16], off
	global_load_b64 v[34:35], v[34:35], off
	s_mov_b32 s31, exec_lo
	s_waitcnt vmcnt(1)
	v_lshlrev_b32_e32 v37, 16, v15
	v_and_b32_e32 v36, 0xffff0000, v15
	v_alignbit_b32 v15, v16, v15, 16
	s_waitcnt vmcnt(0)
	v_lshlrev_b32_e32 v39, 16, v34
	s_waitcnt lgkmcnt(0)
	v_mul_f32_e32 v37, v28, v37
	v_mul_f32_e32 v36, v28, v36
	s_delay_alu instid0(VALU_DEP_2) | instskip(NEXT) | instid1(VALU_DEP_2)
	v_bfe_u32 v40, v37, 16, 1
	v_bfe_u32 v41, v36, 16, 1
	v_cmp_o_f32_e32 vcc_lo, v37, v37
	s_delay_alu instid0(VALU_DEP_3) | instskip(NEXT) | instid1(VALU_DEP_3)
	v_add3_u32 v40, v37, v40, 0x7fff
	v_add3_u32 v41, v36, v41, 0x7fff
	s_delay_alu instid0(VALU_DEP_2) | instskip(NEXT) | instid1(VALU_DEP_2)
	v_and_b32_e32 v40, 0xffff0000, v40
	v_and_b32_e32 v41, 0xffff0000, v41
	s_delay_alu instid0(VALU_DEP_2) | instskip(SKIP_2) | instid1(VALU_DEP_2)
	v_cndmask_b32_e32 v37, 0x7fc00000, v40, vcc_lo
	v_and_b32_e32 v16, 0xffff0000, v16
	v_cmp_o_f32_e32 vcc_lo, v36, v36
	v_dual_mul_f32 v37, v37, v39 :: v_dual_mul_f32 v16, v28, v16
	v_cndmask_b32_e32 v36, 0x7fc00000, v41, vcc_lo
	v_and_b32_e32 v15, 0xffff0000, v15
	v_and_b32_e32 v38, 0xffff0000, v34
	v_alignbit_b32 v34, v35, v34, 16
	v_bfe_u32 v42, v16, 16, 1
	v_cmp_o_f32_e32 vcc_lo, v16, v16
	v_mul_f32_e32 v15, v28, v15
	v_mul_f32_e32 v36, v36, v38
	v_bfe_u32 v38, v37, 16, 1
	v_add3_u32 v42, v16, v42, 0x7fff
	s_delay_alu instid0(VALU_DEP_4) | instskip(NEXT) | instid1(VALU_DEP_2)
	v_bfe_u32 v43, v15, 16, 1
	v_and_b32_e32 v42, 0xffff0000, v42
	s_delay_alu instid0(VALU_DEP_2) | instskip(NEXT) | instid1(VALU_DEP_2)
	v_add3_u32 v43, v15, v43, 0x7fff
	v_cndmask_b32_e32 v16, 0x7fc00000, v42, vcc_lo
	v_cmp_o_f32_e32 vcc_lo, v15, v15
	s_delay_alu instid0(VALU_DEP_3) | instskip(SKIP_1) | instid1(VALU_DEP_2)
	v_and_b32_e32 v40, 0xffff0000, v43
	v_and_b32_e32 v34, 0xffff0000, v34
	v_cndmask_b32_e32 v15, 0x7fc00000, v40, vcc_lo
	v_and_b32_e32 v35, 0xffff0000, v35
	v_cmp_o_f32_e32 vcc_lo, v37, v37
	s_delay_alu instid0(VALU_DEP_2) | instskip(SKIP_2) | instid1(VALU_DEP_3)
	v_dual_mul_f32 v34, v15, v34 :: v_dual_mul_f32 v35, v16, v35
	v_bfe_u32 v16, v36, 16, 1
	v_add3_u32 v15, v37, v38, 0x7fff
	v_bfe_u32 v39, v34, 16, 1
	s_delay_alu instid0(VALU_DEP_4) | instskip(NEXT) | instid1(VALU_DEP_4)
	v_bfe_u32 v38, v35, 16, 1
	v_add3_u32 v16, v36, v16, 0x7fff
	s_delay_alu instid0(VALU_DEP_4) | instskip(NEXT) | instid1(VALU_DEP_4)
	v_and_b32_e32 v15, 0xffff0000, v15
	v_add3_u32 v39, v34, v39, 0x7fff
	s_delay_alu instid0(VALU_DEP_4) | instskip(NEXT) | instid1(VALU_DEP_4)
	v_add3_u32 v38, v35, v38, 0x7fff
	v_and_b32_e32 v16, 0xffff0000, v16
	s_delay_alu instid0(VALU_DEP_4)
	v_cndmask_b32_e64 v37, 0x7fc00000, |v15|, vcc_lo
	v_cmp_o_f32_e32 vcc_lo, v36, v36
	v_and_b32_e32 v39, 0xffff0000, v39
	v_and_b32_e32 v38, 0xffff0000, v38
	v_cndmask_b32_e64 v36, 0x7fc00000, |v16|, vcc_lo
	v_add_co_u32 v15, vcc_lo, v13, s20
	v_add_co_ci_u32_e32 v16, vcc_lo, s21, v14, vcc_lo
	v_cmp_o_f32_e32 vcc_lo, v34, v34
	s_delay_alu instid0(VALU_DEP_4) | instskip(SKIP_3) | instid1(VALU_DEP_1)
	v_max3_f32 v4, v4, v37, v36
	v_cndmask_b32_e64 v34, 0x7fc00000, |v39|, vcc_lo
	v_cmp_o_f32_e32 vcc_lo, v35, v35
	v_cndmask_b32_e64 v35, 0x7fc00000, |v38|, vcc_lo
	v_max3_f32 v4, v4, v34, v35
	v_cmpx_lt_i64_e64 v[15:16], v[9:10]
	s_cbranch_execz .LBB84_20
; %bb.22:                               ;   in Loop: Header=BB84_21 Depth=1
	v_add_co_u32 v34, vcc_lo, v21, v11
	v_add_co_ci_u32_e32 v35, vcc_lo, v22, v12, vcc_lo
	v_add_co_u32 v36, vcc_lo, v30, v11
	v_add_co_ci_u32_e32 v37, vcc_lo, v31, v12, vcc_lo
	s_mov_b32 s3, -1
	global_load_b64 v[34:35], v[34:35], off
	global_load_b64 v[36:37], v[36:37], off
	s_mov_b32 s33, exec_lo
	s_waitcnt vmcnt(1)
	v_lshlrev_b32_e32 v39, 16, v34
	v_and_b32_e32 v38, 0xffff0000, v34
	v_alignbit_b32 v34, v35, v34, 16
	s_delay_alu instid0(VALU_DEP_3) | instskip(NEXT) | instid1(VALU_DEP_3)
	v_mul_f32_e32 v39, v28, v39
	v_dual_mul_f32 v38, v28, v38 :: v_dual_and_b32 v35, 0xffff0000, v35
	s_waitcnt vmcnt(0)
	v_and_b32_e32 v40, 0xffff0000, v36
	s_delay_alu instid0(VALU_DEP_3) | instskip(NEXT) | instid1(VALU_DEP_3)
	v_bfe_u32 v42, v39, 16, 1
	v_mul_f32_e32 v35, v28, v35
	v_cmp_o_f32_e32 vcc_lo, v39, v39
	v_bfe_u32 v43, v38, 16, 1
	s_delay_alu instid0(VALU_DEP_4) | instskip(NEXT) | instid1(VALU_DEP_4)
	v_add3_u32 v42, v39, v42, 0x7fff
	v_bfe_u32 v44, v35, 16, 1
	s_delay_alu instid0(VALU_DEP_3) | instskip(NEXT) | instid1(VALU_DEP_3)
	v_add3_u32 v43, v38, v43, 0x7fff
	v_and_b32_e32 v42, 0xffff0000, v42
	s_delay_alu instid0(VALU_DEP_3) | instskip(NEXT) | instid1(VALU_DEP_3)
	v_add3_u32 v44, v35, v44, 0x7fff
	v_and_b32_e32 v43, 0xffff0000, v43
	s_delay_alu instid0(VALU_DEP_3)
	v_cndmask_b32_e32 v39, 0x7fc00000, v42, vcc_lo
	v_and_b32_e32 v34, 0xffff0000, v34
	v_lshlrev_b32_e32 v41, 16, v36
	v_cmp_o_f32_e32 vcc_lo, v38, v38
	v_and_b32_e32 v44, 0xffff0000, v44
	v_alignbit_b32 v36, v37, v36, 16
	s_delay_alu instid0(VALU_DEP_4) | instskip(SKIP_3) | instid1(VALU_DEP_4)
	v_dual_mul_f32 v34, v28, v34 :: v_dual_mul_f32 v39, v39, v41
	v_cndmask_b32_e32 v38, 0x7fc00000, v43, vcc_lo
	v_cmp_o_f32_e32 vcc_lo, v35, v35
	v_and_b32_e32 v37, 0xffff0000, v37
	v_bfe_u32 v45, v34, 16, 1
	s_delay_alu instid0(VALU_DEP_4) | instskip(SKIP_2) | instid1(VALU_DEP_4)
	v_mul_f32_e32 v38, v38, v40
	v_cndmask_b32_e32 v35, 0x7fc00000, v44, vcc_lo
	v_cmp_o_f32_e32 vcc_lo, v34, v34
	v_add3_u32 v45, v34, v45, 0x7fff
	v_and_b32_e32 v36, 0xffff0000, v36
	v_bfe_u32 v40, v39, 16, 1
	v_mul_f32_e32 v37, v35, v37
	v_bfe_u32 v35, v38, 16, 1
	v_and_b32_e32 v42, 0xffff0000, v45
	s_delay_alu instid0(VALU_DEP_2) | instskip(NEXT) | instid1(VALU_DEP_2)
	v_add3_u32 v35, v38, v35, 0x7fff
	v_cndmask_b32_e32 v34, 0x7fc00000, v42, vcc_lo
	v_cmp_o_f32_e32 vcc_lo, v39, v39
	s_delay_alu instid0(VALU_DEP_2) | instskip(SKIP_2) | instid1(VALU_DEP_3)
	v_dual_mul_f32 v36, v34, v36 :: v_dual_and_b32 v35, 0xffff0000, v35
	v_add3_u32 v34, v39, v40, 0x7fff
	v_bfe_u32 v40, v37, 16, 1
	v_bfe_u32 v41, v36, 16, 1
	s_delay_alu instid0(VALU_DEP_3) | instskip(NEXT) | instid1(VALU_DEP_3)
	v_and_b32_e32 v34, 0xffff0000, v34
	v_add3_u32 v40, v37, v40, 0x7fff
	s_delay_alu instid0(VALU_DEP_3) | instskip(NEXT) | instid1(VALU_DEP_3)
	v_add3_u32 v41, v36, v41, 0x7fff
	v_cndmask_b32_e64 v39, 0x7fc00000, |v34|, vcc_lo
	v_cmp_o_f32_e32 vcc_lo, v38, v38
	s_delay_alu instid0(VALU_DEP_4) | instskip(NEXT) | instid1(VALU_DEP_4)
	v_and_b32_e32 v40, 0xffff0000, v40
	v_and_b32_e32 v41, 0xffff0000, v41
	v_cndmask_b32_e64 v38, 0x7fc00000, |v35|, vcc_lo
	v_add_co_u32 v34, vcc_lo, s8, v13
	v_add_co_ci_u32_e32 v35, vcc_lo, s9, v14, vcc_lo
	v_cmp_o_f32_e32 vcc_lo, v36, v36
	s_delay_alu instid0(VALU_DEP_4) | instskip(SKIP_3) | instid1(VALU_DEP_1)
	v_max3_f32 v4, v4, v39, v38
	v_cndmask_b32_e64 v36, 0x7fc00000, |v41|, vcc_lo
	v_cmp_o_f32_e32 vcc_lo, v37, v37
	v_cndmask_b32_e64 v37, 0x7fc00000, |v40|, vcc_lo
	v_max3_f32 v4, v4, v36, v37
	v_cmpx_lt_i64_e64 v[34:35], v[9:10]
	s_cbranch_execz .LBB84_19
; %bb.23:                               ;   in Loop: Header=BB84_21 Depth=1
	v_add_co_u32 v34, vcc_lo, v19, v11
	v_add_co_ci_u32_e32 v35, vcc_lo, v20, v12, vcc_lo
	v_add_co_u32 v36, vcc_lo, v27, v11
	v_add_co_ci_u32_e32 v37, vcc_lo, v29, v12, vcc_lo
	global_load_b64 v[34:35], v[34:35], off
	global_load_b64 v[36:37], v[36:37], off
	s_waitcnt vmcnt(1)
	v_lshlrev_b32_e32 v39, 16, v34
	v_and_b32_e32 v38, 0xffff0000, v34
	v_alignbit_b32 v34, v35, v34, 16
	s_delay_alu instid0(VALU_DEP_3) | instskip(NEXT) | instid1(VALU_DEP_3)
	v_mul_f32_e32 v39, v28, v39
	v_dual_mul_f32 v38, v28, v38 :: v_dual_and_b32 v35, 0xffff0000, v35
	s_waitcnt vmcnt(0)
	v_and_b32_e32 v40, 0xffff0000, v36
	s_delay_alu instid0(VALU_DEP_3) | instskip(NEXT) | instid1(VALU_DEP_3)
	v_bfe_u32 v42, v39, 16, 1
	v_mul_f32_e32 v35, v28, v35
	v_cmp_o_f32_e32 vcc_lo, v39, v39
	v_bfe_u32 v43, v38, 16, 1
	s_delay_alu instid0(VALU_DEP_4) | instskip(NEXT) | instid1(VALU_DEP_4)
	v_add3_u32 v42, v39, v42, 0x7fff
	v_bfe_u32 v44, v35, 16, 1
	s_delay_alu instid0(VALU_DEP_3) | instskip(NEXT) | instid1(VALU_DEP_3)
	v_add3_u32 v43, v38, v43, 0x7fff
	v_and_b32_e32 v42, 0xffff0000, v42
	s_delay_alu instid0(VALU_DEP_3) | instskip(NEXT) | instid1(VALU_DEP_3)
	v_add3_u32 v44, v35, v44, 0x7fff
	v_and_b32_e32 v43, 0xffff0000, v43
	s_delay_alu instid0(VALU_DEP_3)
	v_cndmask_b32_e32 v39, 0x7fc00000, v42, vcc_lo
	v_and_b32_e32 v34, 0xffff0000, v34
	v_lshlrev_b32_e32 v41, 16, v36
	v_cmp_o_f32_e32 vcc_lo, v38, v38
	v_and_b32_e32 v44, 0xffff0000, v44
	v_alignbit_b32 v36, v37, v36, 16
	s_delay_alu instid0(VALU_DEP_4) | instskip(SKIP_3) | instid1(VALU_DEP_4)
	v_dual_mul_f32 v34, v28, v34 :: v_dual_mul_f32 v39, v39, v41
	v_cndmask_b32_e32 v38, 0x7fc00000, v43, vcc_lo
	v_cmp_o_f32_e32 vcc_lo, v35, v35
	v_and_b32_e32 v37, 0xffff0000, v37
	v_bfe_u32 v45, v34, 16, 1
	s_delay_alu instid0(VALU_DEP_4) | instskip(SKIP_2) | instid1(VALU_DEP_4)
	v_mul_f32_e32 v38, v38, v40
	v_cndmask_b32_e32 v35, 0x7fc00000, v44, vcc_lo
	v_cmp_o_f32_e32 vcc_lo, v34, v34
	v_add3_u32 v45, v34, v45, 0x7fff
	v_and_b32_e32 v36, 0xffff0000, v36
	v_bfe_u32 v40, v39, 16, 1
	v_mul_f32_e32 v35, v35, v37
	v_bfe_u32 v37, v38, 16, 1
	v_and_b32_e32 v42, 0xffff0000, v45
	s_delay_alu instid0(VALU_DEP_2) | instskip(NEXT) | instid1(VALU_DEP_2)
	v_add3_u32 v37, v38, v37, 0x7fff
	v_cndmask_b32_e32 v34, 0x7fc00000, v42, vcc_lo
	v_cmp_o_f32_e32 vcc_lo, v39, v39
	s_delay_alu instid0(VALU_DEP_2) | instskip(SKIP_2) | instid1(VALU_DEP_3)
	v_dual_mul_f32 v34, v34, v36 :: v_dual_and_b32 v37, 0xffff0000, v37
	v_add3_u32 v36, v39, v40, 0x7fff
	v_bfe_u32 v40, v35, 16, 1
	v_bfe_u32 v41, v34, 16, 1
	s_delay_alu instid0(VALU_DEP_3) | instskip(NEXT) | instid1(VALU_DEP_3)
	v_and_b32_e32 v36, 0xffff0000, v36
	v_add3_u32 v40, v35, v40, 0x7fff
	s_delay_alu instid0(VALU_DEP_3) | instskip(NEXT) | instid1(VALU_DEP_3)
	v_add3_u32 v41, v34, v41, 0x7fff
	v_cndmask_b32_e64 v36, 0x7fc00000, |v36|, vcc_lo
	v_cmp_o_f32_e32 vcc_lo, v38, v38
	s_delay_alu instid0(VALU_DEP_4) | instskip(NEXT) | instid1(VALU_DEP_4)
	v_and_b32_e32 v39, 0xffff0000, v40
	v_and_b32_e32 v38, 0xffff0000, v41
	v_cndmask_b32_e64 v37, 0x7fc00000, |v37|, vcc_lo
	v_add_co_u32 v13, vcc_lo, s24, v13
	v_add_co_ci_u32_e32 v14, vcc_lo, s15, v14, vcc_lo
	v_cmp_o_f32_e32 vcc_lo, v34, v34
	s_delay_alu instid0(VALU_DEP_4) | instskip(SKIP_4) | instid1(VALU_DEP_2)
	v_max3_f32 v4, v4, v36, v37
	v_cndmask_b32_e64 v34, 0x7fc00000, |v38|, vcc_lo
	v_cmp_o_f32_e32 vcc_lo, v35, v35
	v_cndmask_b32_e64 v35, 0x7fc00000, |v39|, vcc_lo
	v_cmp_lt_i64_e32 vcc_lo, v[13:14], v[9:10]
                                        ; implicit-def: $vgpr13_vgpr14
	v_max3_f32 v4, v4, v34, v35
	s_and_saveexec_b32 s34, vcc_lo
	s_delay_alu instid0(SALU_CYCLE_1)
	s_xor_b32 s34, exec_lo, s34
	s_cbranch_execz .LBB84_18
; %bb.24:                               ;   in Loop: Header=BB84_21 Depth=1
	v_add_co_u32 v13, vcc_lo, v17, v11
	v_add_co_ci_u32_e32 v14, vcc_lo, v18, v12, vcc_lo
	v_add_co_u32 v34, vcc_lo, v25, v11
	v_add_co_ci_u32_e32 v35, vcc_lo, v26, v12, vcc_lo
	v_add_co_u32 v17, vcc_lo, v17, s22
	global_load_b64 v[13:14], v[13:14], off
	global_load_b64 v[34:35], v[34:35], off
	v_add_co_ci_u32_e32 v18, vcc_lo, s23, v18, vcc_lo
	v_add_co_u32 v19, vcc_lo, v19, s22
	v_add_co_ci_u32_e32 v20, vcc_lo, s23, v20, vcc_lo
	v_add_co_u32 v21, vcc_lo, v21, s22
	;; [unrolled: 2-line block ×5, first 2 shown]
	v_add_co_ci_u32_e32 v29, vcc_lo, s23, v29, vcc_lo
	s_add_u32 s3, s20, s20
	s_addc_u32 s35, s21, s21
	s_add_u32 s3, s3, s20
	s_addc_u32 s35, s35, s21
	s_waitcnt vmcnt(1)
	v_lshlrev_b32_e32 v37, 16, v13
	s_waitcnt vmcnt(0)
	v_and_b32_e32 v38, 0xffff0000, v34
	v_lshlrev_b32_e32 v39, 16, v34
	v_alignbit_b32 v34, v35, v34, 16
	v_mul_f32_e32 v37, v28, v37
	s_delay_alu instid0(VALU_DEP_1) | instskip(SKIP_1) | instid1(VALU_DEP_2)
	v_bfe_u32 v40, v37, 16, 1
	v_cmp_o_f32_e32 vcc_lo, v37, v37
	v_add3_u32 v40, v37, v40, 0x7fff
	s_delay_alu instid0(VALU_DEP_1) | instskip(NEXT) | instid1(VALU_DEP_1)
	v_and_b32_e32 v40, 0xffff0000, v40
	v_cndmask_b32_e32 v37, 0x7fc00000, v40, vcc_lo
	v_and_b32_e32 v36, 0xffff0000, v13
	v_alignbit_b32 v13, v14, v13, 16
	s_delay_alu instid0(VALU_DEP_2) | instskip(NEXT) | instid1(VALU_DEP_2)
	v_dual_mul_f32 v37, v37, v39 :: v_dual_mul_f32 v36, v28, v36
	v_and_b32_e32 v13, 0xffff0000, v13
	v_and_b32_e32 v14, 0xffff0000, v14
	s_delay_alu instid0(VALU_DEP_3) | instskip(NEXT) | instid1(VALU_DEP_3)
	v_bfe_u32 v41, v36, 16, 1
	v_mul_f32_e32 v13, v28, v13
	s_delay_alu instid0(VALU_DEP_3) | instskip(SKIP_1) | instid1(VALU_DEP_4)
	v_mul_f32_e32 v14, v28, v14
	v_cmp_o_f32_e32 vcc_lo, v36, v36
	v_add3_u32 v41, v36, v41, 0x7fff
	s_delay_alu instid0(VALU_DEP_4) | instskip(NEXT) | instid1(VALU_DEP_4)
	v_bfe_u32 v43, v13, 16, 1
	v_bfe_u32 v42, v14, 16, 1
	s_delay_alu instid0(VALU_DEP_3) | instskip(NEXT) | instid1(VALU_DEP_3)
	v_and_b32_e32 v41, 0xffff0000, v41
	v_add3_u32 v43, v13, v43, 0x7fff
	s_delay_alu instid0(VALU_DEP_3) | instskip(NEXT) | instid1(VALU_DEP_3)
	v_add3_u32 v42, v14, v42, 0x7fff
	v_cndmask_b32_e32 v36, 0x7fc00000, v41, vcc_lo
	v_cmp_o_f32_e32 vcc_lo, v14, v14
	s_delay_alu instid0(VALU_DEP_3) | instskip(SKIP_3) | instid1(VALU_DEP_4)
	v_and_b32_e32 v42, 0xffff0000, v42
	v_and_b32_e32 v35, 0xffff0000, v35
	v_and_b32_e32 v40, 0xffff0000, v43
	v_mul_f32_e32 v36, v36, v38
	v_cndmask_b32_e32 v14, 0x7fc00000, v42, vcc_lo
	v_and_b32_e32 v34, 0xffff0000, v34
	v_cmp_o_f32_e32 vcc_lo, v13, v13
	s_delay_alu instid0(VALU_DEP_4) | instskip(NEXT) | instid1(VALU_DEP_4)
	v_bfe_u32 v38, v36, 16, 1
	v_mul_f32_e32 v35, v14, v35
	v_bfe_u32 v14, v37, 16, 1
	v_cndmask_b32_e32 v13, 0x7fc00000, v40, vcc_lo
	s_delay_alu instid0(VALU_DEP_4) | instskip(SKIP_1) | instid1(VALU_DEP_4)
	v_add3_u32 v38, v36, v38, 0x7fff
	v_cmp_o_f32_e32 vcc_lo, v37, v37
	v_add3_u32 v14, v37, v14, 0x7fff
	s_delay_alu instid0(VALU_DEP_4) | instskip(SKIP_2) | instid1(VALU_DEP_4)
	v_mul_f32_e32 v34, v13, v34
	v_bfe_u32 v13, v35, 16, 1
	v_and_b32_e32 v38, 0xffff0000, v38
	v_and_b32_e32 v14, 0xffff0000, v14
	s_delay_alu instid0(VALU_DEP_4) | instskip(NEXT) | instid1(VALU_DEP_4)
	v_bfe_u32 v39, v34, 16, 1
	v_add3_u32 v13, v35, v13, 0x7fff
	s_delay_alu instid0(VALU_DEP_3) | instskip(SKIP_1) | instid1(VALU_DEP_3)
	v_cndmask_b32_e64 v37, 0x7fc00000, |v14|, vcc_lo
	v_cmp_o_f32_e32 vcc_lo, v36, v36
	v_and_b32_e32 v40, 0xffff0000, v13
	v_add3_u32 v39, v34, v39, 0x7fff
	v_cndmask_b32_e64 v36, 0x7fc00000, |v38|, vcc_lo
	v_add_co_u32 v13, vcc_lo, s3, v15
	v_add_co_ci_u32_e32 v14, vcc_lo, s35, v16, vcc_lo
	v_cmp_o_f32_e32 vcc_lo, v35, v35
	v_and_b32_e32 v15, 0xffff0000, v39
	v_max3_f32 v4, v4, v37, v36
	v_add_co_u32 v32, s3, v32, s22
	v_cndmask_b32_e64 v16, 0x7fc00000, |v40|, vcc_lo
	v_cmp_o_f32_e32 vcc_lo, v34, v34
	v_add_co_ci_u32_e64 v33, s3, s23, v33, s3
	v_cndmask_b32_e64 v15, 0x7fc00000, |v15|, vcc_lo
	v_add_co_u32 v30, vcc_lo, v30, s22
	v_add_co_ci_u32_e32 v31, vcc_lo, s23, v31, vcc_lo
	v_cmp_ge_i64_e32 vcc_lo, v[13:14], v[9:10]
	s_delay_alu instid0(VALU_DEP_4)
	v_max3_f32 v4, v4, v15, v16
	s_or_not1_b32 s3, vcc_lo, exec_lo
	s_branch .LBB84_18
.LBB84_25:
	s_or_b32 exec_lo, exec_lo, s25
.LBB84_26:
	s_delay_alu instid0(SALU_CYCLE_1)
	s_or_b32 exec_lo, exec_lo, s13
	s_lshr_b32 s15, s28, 5
	v_lshlrev_b32_e32 v29, 2, v0
	v_cvt_f32_u32_e32 v9, s15
	s_sub_i32 s8, 0, s15
	s_add_i32 s9, s12, s15
	s_delay_alu instid0(SALU_CYCLE_1) | instskip(NEXT) | instid1(VALU_DEP_1)
	s_add_i32 s9, s9, -1
	v_rcp_iflag_f32_e32 v9, v9
	s_abs_i32 s13, s9
	s_ashr_i32 s9, s9, 31
	ds_store_b32 v29, v4
	s_waitcnt lgkmcnt(0)
	s_barrier
	buffer_gl0_inv
	v_mul_f32_e32 v9, 0x4f7ffffe, v9
	s_delay_alu instid0(VALU_DEP_1) | instskip(NEXT) | instid1(VALU_DEP_1)
	v_cvt_u32_f32_e32 v9, v9
	v_readfirstlane_b32 s3, v9
	s_delay_alu instid0(VALU_DEP_1) | instskip(NEXT) | instid1(SALU_CYCLE_1)
	s_mul_i32 s8, s8, s3
	s_mul_hi_u32 s8, s3, s8
	s_delay_alu instid0(SALU_CYCLE_1) | instskip(NEXT) | instid1(SALU_CYCLE_1)
	s_add_i32 s3, s3, s8
	s_mul_hi_u32 s3, s13, s3
	s_delay_alu instid0(SALU_CYCLE_1) | instskip(NEXT) | instid1(SALU_CYCLE_1)
	s_mul_i32 s8, s3, s15
	s_sub_i32 s8, s13, s8
	s_add_i32 s13, s3, 1
	s_sub_i32 s22, s8, s15
	s_cmp_ge_u32 s8, s15
	s_cselect_b32 s3, s13, s3
	s_cselect_b32 s8, s22, s8
	s_add_i32 s13, s3, 1
	s_cmp_ge_u32 s8, s15
	s_cselect_b32 s3, s13, s3
	s_delay_alu instid0(SALU_CYCLE_1) | instskip(NEXT) | instid1(SALU_CYCLE_1)
	s_xor_b32 s3, s3, s9
	s_sub_i32 s8, s3, s9
	s_delay_alu instid0(SALU_CYCLE_1) | instskip(NEXT) | instid1(SALU_CYCLE_1)
	s_ashr_i32 s9, s8, 31
	v_cmp_lt_i64_e64 s3, s[8:9], 1
	s_delay_alu instid0(VALU_DEP_1)
	s_and_b32 vcc_lo, exec_lo, s3
	s_cbranch_vccnz .LBB84_46
; %bb.27:
	v_lshrrev_b32_e32 v9, 5, v0
	v_and_b32_e32 v4, 31, v0
	s_ashr_i32 s13, s12, 31
	s_mov_b64 s[22:23], 0
	s_mov_b64 s[24:25], src_shared_base
	v_mul_lo_u32 v19, s20, v9
	v_add_co_u32 v11, s3, v4, 16
	s_delay_alu instid0(VALU_DEP_1) | instskip(SKIP_1) | instid1(VALU_DEP_1)
	v_add_co_ci_u32_e64 v12, null, 0, 0, s3
	v_add_co_u32 v13, s3, v4, 8
	v_add_co_ci_u32_e64 v14, null, 0, 0, s3
	v_add_co_u32 v15, s3, v4, 4
	v_dual_mov_b32 v10, 0 :: v_dual_lshlrev_b32 v21, 2, v19
	v_lshlrev_b32_e32 v22, 2, v4
	v_add_co_ci_u32_e64 v16, null, 0, 0, s3
	v_add_co_u32 v17, s3, v4, 2
	s_delay_alu instid0(VALU_DEP_1) | instskip(SKIP_1) | instid1(VALU_DEP_1)
	v_add_co_ci_u32_e64 v18, null, 0, 0, s3
	v_add_co_u32 v19, s3, v4, 1
	v_add_co_ci_u32_e64 v20, null, 0, 0, s3
	v_add3_u32 v30, v21, v22, 0x80
	s_mul_i32 s3, s20, s15
	s_delay_alu instid0(SALU_CYCLE_1)
	s_lshl_b32 s30, s3, 2
	s_branch .LBB84_30
.LBB84_28:                              ;   in Loop: Header=BB84_30 Depth=1
	s_or_b32 exec_lo, exec_lo, s3
	v_mov_b32_e32 v22, s25
	flat_load_b32 v21, v[21:22] glc dlc
	s_waitcnt vmcnt(0)
.LBB84_29:                              ;   in Loop: Header=BB84_30 Depth=1
	s_or_b32 exec_lo, exec_lo, s24
	s_add_u32 s22, s22, 1
	v_add_nc_u32_e32 v30, s30, v30
	s_addc_u32 s23, s23, 0
	s_delay_alu instid0(SALU_CYCLE_1)
	s_cmp_eq_u64 s[22:23], s[8:9]
	s_cbranch_scc1 .LBB84_46
.LBB84_30:                              ; =>This Loop Header: Depth=1
                                        ;     Child Loop BB84_33 Depth 2
	s_waitcnt lgkmcnt(0)
	v_mad_u64_u32 v[21:22], null, s22, s15, v[9:10]
	s_mov_b32 s24, exec_lo
	s_delay_alu instid0(VALU_DEP_1) | instskip(NEXT) | instid1(VALU_DEP_1)
	v_mad_u64_u32 v[23:24], null, s23, s15, v[22:23]
	v_mov_b32_e32 v22, v23
	s_delay_alu instid0(VALU_DEP_1)
	v_cmpx_gt_i64_e64 s[12:13], v[21:22]
	s_cbranch_execz .LBB84_29
; %bb.31:                               ;   in Loop: Header=BB84_30 Depth=1
	v_mul_lo_u32 v24, v22, s20
	v_mul_lo_u32 v25, v21, s21
	v_mad_u64_u32 v[22:23], null, v21, s20, 0
	s_delay_alu instid0(VALU_DEP_1) | instskip(NEXT) | instid1(VALU_DEP_2)
	v_add3_u32 v23, v23, v25, v24
	v_add_co_u32 v24, vcc_lo, v22, s20
	v_add_co_u32 v31, s3, v22, v4
	s_delay_alu instid0(VALU_DEP_3) | instskip(SKIP_2) | instid1(VALU_DEP_2)
	v_add_co_ci_u32_e32 v25, vcc_lo, s21, v23, vcc_lo
	v_add_co_ci_u32_e64 v21, s3, 0, v23, s3
	s_mov_b32 s3, exec_lo
	v_cmp_gt_i64_e32 vcc_lo, s[18:19], v[24:25]
	v_cndmask_b32_e32 v25, s19, v25, vcc_lo
	v_cndmask_b32_e32 v24, s18, v24, vcc_lo
	v_add_co_u32 v26, vcc_lo, v31, 32
	v_add_co_ci_u32_e32 v27, vcc_lo, 0, v21, vcc_lo
	v_lshlrev_b32_e32 v21, 2, v31
	s_delay_alu instid0(VALU_DEP_2)
	v_cmpx_lt_i64_e64 v[26:27], v[24:25]
	s_cbranch_execz .LBB84_34
; %bb.32:                               ;   in Loop: Header=BB84_30 Depth=1
	ds_load_b32 v33, v21
	v_mov_b32_e32 v32, v30
	s_mov_b32 s31, 0
.LBB84_33:                              ;   Parent Loop BB84_30 Depth=1
                                        ; =>  This Inner Loop Header: Depth=2
	ds_load_b32 v34, v32
	v_add_co_u32 v26, vcc_lo, v26, 32
	v_add_co_ci_u32_e32 v27, vcc_lo, 0, v27, vcc_lo
	s_waitcnt lgkmcnt(1)
	v_dual_max_f32 v33, v33, v33 :: v_dual_add_nc_u32 v32, 0x80, v32
	s_delay_alu instid0(VALU_DEP_2) | instskip(SKIP_3) | instid1(VALU_DEP_1)
	v_cmp_ge_i64_e32 vcc_lo, v[26:27], v[24:25]
	s_or_b32 s31, vcc_lo, s31
	s_waitcnt lgkmcnt(0)
	v_max_f32_e32 v34, v34, v34
	v_max_f32_e32 v33, v33, v34
	ds_store_b32 v21, v33
	s_and_not1_b32 exec_lo, exec_lo, s31
	s_cbranch_execnz .LBB84_33
.LBB84_34:                              ;   in Loop: Header=BB84_30 Depth=1
	s_or_b32 exec_lo, exec_lo, s3
	v_sub_co_u32 v22, vcc_lo, v24, v22
	v_sub_co_ci_u32_e32 v23, vcc_lo, v25, v23, vcc_lo
	s_mov_b32 s3, exec_lo
	s_delay_alu instid0(VALU_DEP_1) | instskip(SKIP_1) | instid1(VALU_DEP_1)
	v_cmp_gt_i64_e32 vcc_lo, 32, v[22:23]
	v_dual_cndmask_b32 v24, 0, v23 :: v_dual_cndmask_b32 v23, 32, v22
	v_cmpx_lt_i64_e64 v[11:12], v[23:24]
	s_cbranch_execz .LBB84_36
; %bb.35:                               ;   in Loop: Header=BB84_30 Depth=1
	v_dual_mov_b32 v22, s25 :: v_dual_add_nc_u32 v25, 64, v21
	v_mov_b32_e32 v26, s25
	flat_load_b32 v27, v[21:22] glc dlc
	s_waitcnt vmcnt(0)
	flat_load_b32 v25, v[25:26] glc dlc
	s_waitcnt vmcnt(0) lgkmcnt(0)
	v_dual_max_f32 v26, v27, v27 :: v_dual_max_f32 v25, v25, v25
	s_delay_alu instid0(VALU_DEP_1)
	v_max_f32_e32 v25, v26, v25
	flat_store_b32 v[21:22], v25 dlc
	s_waitcnt_vscnt null, 0x0
.LBB84_36:                              ;   in Loop: Header=BB84_30 Depth=1
	s_or_b32 exec_lo, exec_lo, s3
	s_delay_alu instid0(SALU_CYCLE_1)
	s_mov_b32 s3, exec_lo
	v_cmpx_lt_i64_e64 v[13:14], v[23:24]
	s_cbranch_execz .LBB84_38
; %bb.37:                               ;   in Loop: Header=BB84_30 Depth=1
	v_dual_mov_b32 v22, s25 :: v_dual_add_nc_u32 v25, 32, v21
	v_mov_b32_e32 v26, s25
	flat_load_b32 v27, v[21:22] glc dlc
	s_waitcnt vmcnt(0)
	flat_load_b32 v25, v[25:26] glc dlc
	s_waitcnt vmcnt(0) lgkmcnt(0)
	v_dual_max_f32 v26, v27, v27 :: v_dual_max_f32 v25, v25, v25
	s_delay_alu instid0(VALU_DEP_1)
	v_max_f32_e32 v25, v26, v25
	flat_store_b32 v[21:22], v25 dlc
	s_waitcnt_vscnt null, 0x0
.LBB84_38:                              ;   in Loop: Header=BB84_30 Depth=1
	s_or_b32 exec_lo, exec_lo, s3
	s_delay_alu instid0(SALU_CYCLE_1)
	s_mov_b32 s3, exec_lo
	v_cmpx_ge_i64_e64 v[15:16], v[23:24]
	s_xor_b32 s3, exec_lo, s3
; %bb.39:                               ;   in Loop: Header=BB84_30 Depth=1
                                        ; implicit-def: $vgpr21
; %bb.40:                               ;   in Loop: Header=BB84_30 Depth=1
	s_delay_alu instid0(SALU_CYCLE_1)
	s_and_not1_saveexec_b32 s3, s3
	s_cbranch_execz .LBB84_42
; %bb.41:                               ;   in Loop: Header=BB84_30 Depth=1
	v_dual_mov_b32 v22, s25 :: v_dual_add_nc_u32 v25, 16, v21
	v_mov_b32_e32 v26, s25
	flat_load_b32 v27, v[21:22] glc dlc
	s_waitcnt vmcnt(0)
	flat_load_b32 v25, v[25:26] glc dlc
	s_waitcnt vmcnt(0) lgkmcnt(0)
	v_dual_max_f32 v26, v27, v27 :: v_dual_max_f32 v25, v25, v25
	s_delay_alu instid0(VALU_DEP_1)
	v_max_f32_e32 v25, v26, v25
	flat_store_b32 v[21:22], v25 dlc
	s_waitcnt_vscnt null, 0x0
.LBB84_42:                              ;   in Loop: Header=BB84_30 Depth=1
	s_or_b32 exec_lo, exec_lo, s3
	v_lshlrev_b32_e32 v21, 2, v31
	s_mov_b32 s3, exec_lo
	v_cmpx_lt_i64_e64 v[17:18], v[23:24]
	s_cbranch_execz .LBB84_44
; %bb.43:                               ;   in Loop: Header=BB84_30 Depth=1
	s_delay_alu instid0(VALU_DEP_2)
	v_dual_mov_b32 v22, s25 :: v_dual_add_nc_u32 v25, 8, v21
	v_mov_b32_e32 v26, s25
	flat_load_b32 v27, v[21:22] glc dlc
	s_waitcnt vmcnt(0)
	flat_load_b32 v25, v[25:26] glc dlc
	s_waitcnt vmcnt(0) lgkmcnt(0)
	v_dual_max_f32 v26, v27, v27 :: v_dual_max_f32 v25, v25, v25
	s_delay_alu instid0(VALU_DEP_1)
	v_max_f32_e32 v25, v26, v25
	flat_store_b32 v[21:22], v25 dlc
	s_waitcnt_vscnt null, 0x0
.LBB84_44:                              ;   in Loop: Header=BB84_30 Depth=1
	s_or_b32 exec_lo, exec_lo, s3
	s_delay_alu instid0(SALU_CYCLE_1)
	s_mov_b32 s3, exec_lo
	v_cmpx_lt_i64_e64 v[19:20], v[23:24]
	s_cbranch_execz .LBB84_28
; %bb.45:                               ;   in Loop: Header=BB84_30 Depth=1
	v_dual_mov_b32 v22, s25 :: v_dual_add_nc_u32 v23, 4, v21
	v_mov_b32_e32 v24, s25
	flat_load_b32 v25, v[21:22] glc dlc
	s_waitcnt vmcnt(0)
	flat_load_b32 v23, v[23:24] glc dlc
	s_waitcnt vmcnt(0) lgkmcnt(0)
	v_dual_max_f32 v24, v25, v25 :: v_dual_max_f32 v23, v23, v23
	s_delay_alu instid0(VALU_DEP_1)
	v_max_f32_e32 v23, v24, v23
	flat_store_b32 v[21:22], v23 dlc
	s_waitcnt_vscnt null, 0x0
	s_branch .LBB84_28
.LBB84_46:
	s_load_b64 s[8:9], s[0:1], 0x40
	v_cmp_lt_i64_e32 vcc_lo, v[7:8], v[5:6]
	v_cmp_eq_u32_e64 s3, 0, v3
	s_waitcnt lgkmcnt(0)
	s_barrier
	buffer_gl0_inv
	s_and_b32 s12, s3, vcc_lo
	s_delay_alu instid0(SALU_CYCLE_1)
	s_and_saveexec_b32 s3, s12
	s_cbranch_execz .LBB84_53
; %bb.47:
	s_load_b64 s[0:1], s[0:1], 0x20
	ds_load_b32 v5, v29
	s_waitcnt lgkmcnt(0)
	s_cmp_eq_u64 s[0:1], 0
	s_cbranch_scc1 .LBB84_49
; %bb.48:
	s_load_b32 s0, s[0:1], 0x0
	v_max_f32_e32 v3, v5, v5
	s_waitcnt lgkmcnt(0)
	v_max_f32_e64 v4, s0, s0
	s_delay_alu instid0(VALU_DEP_1)
	v_min_f32_e32 v5, v3, v4
.LBB84_49:
	s_add_u32 s0, s8, s29
	s_addc_u32 s1, s9, 0
	s_add_u32 s12, s0, -1
	s_addc_u32 s13, s1, -1
	s_delay_alu instid0(SALU_CYCLE_1) | instskip(SKIP_1) | instid1(SALU_CYCLE_1)
	s_or_b64 s[20:21], s[12:13], s[8:9]
	s_mov_b32 s20, 0
	s_cmp_lg_u64 s[20:21], 0
	s_cbranch_scc0 .LBB84_162
; %bb.50:
	s_ashr_i32 s0, s9, 31
	s_delay_alu instid0(SALU_CYCLE_1) | instskip(SKIP_2) | instid1(SALU_CYCLE_1)
	s_add_u32 s22, s8, s0
	s_mov_b32 s1, s0
	s_addc_u32 s23, s9, s0
	s_xor_b64 s[0:1], s[22:23], s[0:1]
	s_delay_alu instid0(SALU_CYCLE_1) | instskip(SKIP_3) | instid1(VALU_DEP_1)
	v_cvt_f32_u32_e32 v3, s0
	v_cvt_f32_u32_e32 v4, s1
	s_sub_u32 s22, 0, s0
	s_subb_u32 s23, 0, s1
	v_fmamk_f32 v3, v4, 0x4f800000, v3
	s_delay_alu instid0(VALU_DEP_1) | instskip(SKIP_2) | instid1(VALU_DEP_1)
	v_rcp_f32_e32 v3, v3
	s_waitcnt_depctr 0xfff
	v_mul_f32_e32 v3, 0x5f7ffffc, v3
	v_mul_f32_e32 v4, 0x2f800000, v3
	s_delay_alu instid0(VALU_DEP_1) | instskip(NEXT) | instid1(VALU_DEP_1)
	v_trunc_f32_e32 v4, v4
	v_fmamk_f32 v3, v4, 0xcf800000, v3
	v_cvt_u32_f32_e32 v4, v4
	s_delay_alu instid0(VALU_DEP_2) | instskip(NEXT) | instid1(VALU_DEP_2)
	v_cvt_u32_f32_e32 v3, v3
	v_readfirstlane_b32 s15, v4
	s_delay_alu instid0(VALU_DEP_2) | instskip(NEXT) | instid1(VALU_DEP_2)
	v_readfirstlane_b32 s21, v3
	s_mul_i32 s24, s22, s15
	s_delay_alu instid0(VALU_DEP_1)
	s_mul_hi_u32 s30, s22, s21
	s_mul_i32 s25, s23, s21
	s_add_i32 s24, s30, s24
	s_mul_i32 s31, s22, s21
	s_add_i32 s24, s24, s25
	s_mul_hi_u32 s30, s21, s31
	s_mul_hi_u32 s33, s15, s31
	s_mul_i32 s25, s15, s31
	s_mul_hi_u32 s31, s21, s24
	s_mul_i32 s21, s21, s24
	s_mul_hi_u32 s34, s15, s24
	s_add_u32 s21, s30, s21
	s_addc_u32 s30, 0, s31
	s_add_u32 s21, s21, s25
	s_mul_i32 s24, s15, s24
	s_addc_u32 s21, s30, s33
	s_addc_u32 s25, s34, 0
	s_add_u32 s21, s21, s24
	s_addc_u32 s24, 0, s25
	v_add_co_u32 v3, s21, v3, s21
	s_delay_alu instid0(VALU_DEP_1) | instskip(SKIP_1) | instid1(VALU_DEP_1)
	s_cmp_lg_u32 s21, 0
	s_addc_u32 s15, s15, s24
	v_readfirstlane_b32 s21, v3
	s_mul_i32 s24, s22, s15
	s_delay_alu instid0(VALU_DEP_1)
	s_mul_hi_u32 s25, s22, s21
	s_mul_i32 s23, s23, s21
	s_add_i32 s24, s25, s24
	s_mul_i32 s22, s22, s21
	s_add_i32 s24, s24, s23
	s_mul_hi_u32 s25, s15, s22
	s_mul_i32 s30, s15, s22
	s_mul_hi_u32 s22, s21, s22
	s_mul_hi_u32 s31, s21, s24
	s_mul_i32 s21, s21, s24
	s_mul_hi_u32 s23, s15, s24
	s_add_u32 s21, s22, s21
	s_addc_u32 s22, 0, s31
	s_add_u32 s21, s21, s30
	s_mul_i32 s24, s15, s24
	s_addc_u32 s21, s22, s25
	s_addc_u32 s22, s23, 0
	s_add_u32 s21, s21, s24
	s_addc_u32 s22, 0, s22
	v_add_co_u32 v3, s21, v3, s21
	s_delay_alu instid0(VALU_DEP_1) | instskip(SKIP_2) | instid1(VALU_DEP_1)
	s_cmp_lg_u32 s21, 0
	s_addc_u32 s15, s15, s22
	s_ashr_i32 s22, s13, 31
	v_readfirstlane_b32 s21, v3
	s_add_u32 s24, s12, s22
	s_mov_b32 s23, s22
	s_addc_u32 s25, s13, s22
	s_delay_alu instid0(SALU_CYCLE_1) | instskip(NEXT) | instid1(SALU_CYCLE_1)
	s_xor_b64 s[24:25], s[24:25], s[22:23]
	s_mul_i32 s30, s24, s15
	s_mul_hi_u32 s31, s24, s21
	s_mul_hi_u32 s23, s24, s15
	;; [unrolled: 1-line block ×3, first 2 shown]
	s_mul_i32 s21, s25, s21
	s_add_u32 s30, s31, s30
	s_addc_u32 s23, 0, s23
	s_mul_hi_u32 s33, s25, s15
	s_add_u32 s21, s30, s21
	s_mul_i32 s15, s25, s15
	s_addc_u32 s21, s23, s34
	s_addc_u32 s23, s33, 0
	s_add_u32 s15, s21, s15
	s_addc_u32 s21, 0, s23
	s_mul_hi_u32 s23, s0, s15
	s_mul_i32 s21, s0, s21
	s_mul_i32 s30, s1, s15
	;; [unrolled: 1-line block ×3, first 2 shown]
	s_add_i32 s21, s23, s21
	v_sub_co_u32 v3, s15, s24, s15
	s_add_i32 s21, s21, s30
	s_delay_alu instid0(SALU_CYCLE_1) | instskip(SKIP_1) | instid1(VALU_DEP_1)
	s_sub_i32 s23, s25, s21
	s_cmp_lg_u32 s15, 0
	v_sub_co_u32 v4, s24, v3, s0
	s_subb_u32 s23, s23, s1
	s_cmp_lg_u32 s24, 0
	s_subb_u32 s30, s23, 0
	s_delay_alu instid0(VALU_DEP_1)
	v_cmp_le_u32_e32 vcc_lo, s0, v4
	s_cmp_ge_u32 s30, s1
	s_cselect_b32 s31, -1, 0
	s_cmp_eq_u32 s30, s1
	v_cndmask_b32_e64 v6, 0, -1, vcc_lo
	s_cselect_b32 vcc_lo, -1, 0
	s_cmp_lg_u32 s24, 0
	v_sub_co_u32 v7, s24, v4, s0
	s_subb_u32 s23, s23, s1
	s_cmp_lg_u32 s24, 0
	v_cndmask_b32_e32 v6, s31, v6, vcc_lo
	s_subb_u32 s23, s23, 0
	s_cmp_lg_u32 s15, 0
	v_cmp_le_u32_e32 vcc_lo, s0, v3
	s_subb_u32 s15, s25, s21
	s_delay_alu instid0(SALU_CYCLE_1)
	s_cmp_ge_u32 s15, s1
	v_cndmask_b32_e64 v8, 0, -1, vcc_lo
	s_cselect_b32 s21, -1, 0
	s_cmp_eq_u32 s15, s1
	v_cmp_ne_u32_e32 vcc_lo, 0, v6
	v_mov_b32_e32 v6, s23
	s_cselect_b32 s0, -1, 0
	s_delay_alu instid0(SALU_CYCLE_1) | instskip(SKIP_1) | instid1(VALU_DEP_3)
	v_cndmask_b32_e64 v8, s21, v8, s0
	v_cndmask_b32_e32 v4, v4, v7, vcc_lo
	v_cndmask_b32_e32 v6, s30, v6, vcc_lo
	s_delay_alu instid0(VALU_DEP_3) | instskip(NEXT) | instid1(VALU_DEP_3)
	v_cmp_ne_u32_e32 vcc_lo, 0, v8
	v_cndmask_b32_e32 v3, v3, v4, vcc_lo
	s_delay_alu instid0(VALU_DEP_3) | instskip(NEXT) | instid1(VALU_DEP_2)
	v_cndmask_b32_e32 v6, s15, v6, vcc_lo
	v_xor_b32_e32 v3, s22, v3
	s_delay_alu instid0(VALU_DEP_2) | instskip(NEXT) | instid1(VALU_DEP_2)
	v_xor_b32_e32 v4, s22, v6
	v_sub_co_u32 v3, vcc_lo, v3, s22
	s_delay_alu instid0(VALU_DEP_2)
	v_subrev_co_ci_u32_e32 v4, vcc_lo, s22, v4, vcc_lo
	s_and_not1_b32 vcc_lo, exec_lo, s20
	s_cbranch_vccnz .LBB84_52
.LBB84_51:
	v_cvt_f32_u32_e32 v3, s8
	s_sub_i32 s0, 0, s8
	s_delay_alu instid0(VALU_DEP_1) | instskip(SKIP_2) | instid1(VALU_DEP_1)
	v_rcp_iflag_f32_e32 v3, v3
	s_waitcnt_depctr 0xfff
	v_mul_f32_e32 v3, 0x4f7ffffe, v3
	v_cvt_u32_f32_e32 v3, v3
	s_delay_alu instid0(VALU_DEP_1) | instskip(NEXT) | instid1(VALU_DEP_1)
	v_mul_lo_u32 v4, s0, v3
	v_mul_hi_u32 v4, v3, v4
	s_delay_alu instid0(VALU_DEP_1) | instskip(NEXT) | instid1(VALU_DEP_1)
	v_add_nc_u32_e32 v3, v3, v4
	v_mul_hi_u32 v3, s12, v3
	s_delay_alu instid0(VALU_DEP_1) | instskip(NEXT) | instid1(VALU_DEP_1)
	v_mul_lo_u32 v3, v3, s8
	v_sub_nc_u32_e32 v3, s12, v3
	s_delay_alu instid0(VALU_DEP_1) | instskip(SKIP_1) | instid1(VALU_DEP_2)
	v_subrev_nc_u32_e32 v4, s8, v3
	v_cmp_le_u32_e32 vcc_lo, s8, v3
	v_cndmask_b32_e32 v3, v3, v4, vcc_lo
	s_delay_alu instid0(VALU_DEP_1) | instskip(SKIP_1) | instid1(VALU_DEP_2)
	v_subrev_nc_u32_e32 v4, s8, v3
	v_cmp_le_u32_e32 vcc_lo, s8, v3
	v_dual_cndmask_b32 v3, v3, v4 :: v_dual_mov_b32 v4, 0
.LBB84_52:
	v_div_scale_f32 v6, null, 0x43e00000, 0x43e00000, v5
	v_div_scale_f32 v9, vcc_lo, v5, 0x43e00000, v5
	s_delay_alu instid0(VALU_DEP_3) | instskip(NEXT) | instid1(VALU_DEP_3)
	v_sub_co_u32 v10, s0, s12, v3
	v_rcp_f32_e32 v7, v6
	v_sub_co_ci_u32_e64 v3, s0, s13, v4, s0
	s_lshl_b64 s[0:1], s[16:17], 2
	s_delay_alu instid0(SALU_CYCLE_1) | instskip(NEXT) | instid1(VALU_DEP_1)
	s_add_u32 s0, s0, s6
	v_mul_lo_u32 v11, v3, v1
	s_addc_u32 s1, s1, s7
	s_waitcnt_depctr 0xfff
	v_fma_f32 v8, -v6, v7, 1.0
	s_delay_alu instid0(VALU_DEP_1) | instskip(NEXT) | instid1(VALU_DEP_1)
	v_fmac_f32_e32 v7, v8, v7
	v_mul_f32_e32 v8, v9, v7
	s_delay_alu instid0(VALU_DEP_1) | instskip(NEXT) | instid1(VALU_DEP_1)
	v_fma_f32 v4, -v6, v8, v9
	v_fmac_f32_e32 v8, v4, v7
	v_mul_lo_u32 v4, v10, v2
	v_mad_u64_u32 v[2:3], null, v10, v1, 0
	s_delay_alu instid0(VALU_DEP_3) | instskip(NEXT) | instid1(VALU_DEP_2)
	v_fma_f32 v1, -v6, v8, v9
	v_add3_u32 v3, v3, v4, v11
	s_delay_alu instid0(VALU_DEP_2) | instskip(NEXT) | instid1(VALU_DEP_1)
	v_div_fmas_f32 v1, v1, v7, v8
	v_div_fixup_f32 v4, v1, 0x43e00000, v5
	s_delay_alu instid0(VALU_DEP_3) | instskip(NEXT) | instid1(VALU_DEP_2)
	v_lshlrev_b64 v[1:2], 2, v[2:3]
	v_max_f32_e32 v3, 0x36924925, v4
	s_delay_alu instid0(VALU_DEP_2) | instskip(NEXT) | instid1(VALU_DEP_3)
	v_add_co_u32 v1, vcc_lo, s0, v1
	v_add_co_ci_u32_e32 v2, vcc_lo, s1, v2, vcc_lo
	global_store_b32 v[1:2], v3, off
.LBB84_53:
	s_or_b32 exec_lo, exec_lo, s3
	s_waitcnt_vscnt null, 0x0
	s_barrier
	buffer_gl0_inv
	s_and_saveexec_b32 s0, s2
	s_cbranch_execz .LBB84_161
; %bb.54:
	s_add_u32 s0, s8, s29
	s_addc_u32 s1, s9, 0
	s_add_u32 s2, s0, -1
	s_addc_u32 s3, s1, -1
	s_delay_alu instid0(SALU_CYCLE_1) | instskip(SKIP_1) | instid1(SALU_CYCLE_1)
	s_or_b64 s[12:13], s[2:3], s[8:9]
	s_mov_b32 s12, 0
	s_cmp_lg_u64 s[12:13], 0
	s_cbranch_scc0 .LBB84_163
; %bb.55:
	s_ashr_i32 s0, s9, 31
	s_delay_alu instid0(SALU_CYCLE_1) | instskip(SKIP_2) | instid1(SALU_CYCLE_1)
	s_add_u32 s20, s8, s0
	s_mov_b32 s1, s0
	s_addc_u32 s21, s9, s0
	s_xor_b64 s[0:1], s[20:21], s[0:1]
	s_delay_alu instid0(SALU_CYCLE_1) | instskip(SKIP_3) | instid1(VALU_DEP_1)
	v_cvt_f32_u32_e32 v1, s0
	v_cvt_f32_u32_e32 v2, s1
	s_sub_u32 s15, 0, s0
	s_subb_u32 s20, 0, s1
	v_fmamk_f32 v1, v2, 0x4f800000, v1
	s_delay_alu instid0(VALU_DEP_1) | instskip(SKIP_2) | instid1(VALU_DEP_1)
	v_rcp_f32_e32 v1, v1
	s_waitcnt_depctr 0xfff
	v_mul_f32_e32 v1, 0x5f7ffffc, v1
	v_mul_f32_e32 v2, 0x2f800000, v1
	s_delay_alu instid0(VALU_DEP_1) | instskip(NEXT) | instid1(VALU_DEP_1)
	v_trunc_f32_e32 v2, v2
	v_fmamk_f32 v1, v2, 0xcf800000, v1
	v_cvt_u32_f32_e32 v2, v2
	s_delay_alu instid0(VALU_DEP_2) | instskip(NEXT) | instid1(VALU_DEP_2)
	v_cvt_u32_f32_e32 v1, v1
	v_readfirstlane_b32 s9, v2
	s_delay_alu instid0(VALU_DEP_2) | instskip(NEXT) | instid1(VALU_DEP_2)
	v_readfirstlane_b32 s13, v1
	s_mul_i32 s21, s15, s9
	s_delay_alu instid0(VALU_DEP_1)
	s_mul_hi_u32 s23, s15, s13
	s_mul_i32 s22, s20, s13
	s_add_i32 s21, s23, s21
	s_mul_i32 s24, s15, s13
	s_add_i32 s21, s21, s22
	s_mul_hi_u32 s23, s13, s24
	s_mul_hi_u32 s25, s9, s24
	s_mul_i32 s22, s9, s24
	s_mul_hi_u32 s24, s13, s21
	s_mul_i32 s13, s13, s21
	s_mul_hi_u32 s29, s9, s21
	s_add_u32 s13, s23, s13
	s_addc_u32 s23, 0, s24
	s_add_u32 s13, s13, s22
	s_mul_i32 s21, s9, s21
	s_addc_u32 s13, s23, s25
	s_addc_u32 s22, s29, 0
	s_add_u32 s13, s13, s21
	s_addc_u32 s21, 0, s22
	v_add_co_u32 v1, s13, v1, s13
	s_delay_alu instid0(VALU_DEP_1) | instskip(SKIP_1) | instid1(VALU_DEP_1)
	s_cmp_lg_u32 s13, 0
	s_addc_u32 s9, s9, s21
	v_readfirstlane_b32 s13, v1
	s_mul_i32 s21, s15, s9
	s_delay_alu instid0(VALU_DEP_1)
	s_mul_hi_u32 s22, s15, s13
	s_mul_i32 s20, s20, s13
	s_add_i32 s21, s22, s21
	s_mul_i32 s15, s15, s13
	s_add_i32 s21, s21, s20
	s_mul_hi_u32 s22, s9, s15
	s_mul_i32 s23, s9, s15
	s_mul_hi_u32 s15, s13, s15
	s_mul_hi_u32 s24, s13, s21
	s_mul_i32 s13, s13, s21
	s_mul_hi_u32 s20, s9, s21
	s_add_u32 s13, s15, s13
	s_addc_u32 s15, 0, s24
	s_add_u32 s13, s13, s23
	s_mul_i32 s21, s9, s21
	s_addc_u32 s13, s15, s22
	s_addc_u32 s15, s20, 0
	s_add_u32 s13, s13, s21
	s_addc_u32 s15, 0, s15
	v_add_co_u32 v1, s13, v1, s13
	s_delay_alu instid0(VALU_DEP_1) | instskip(SKIP_2) | instid1(VALU_DEP_1)
	s_cmp_lg_u32 s13, 0
	s_addc_u32 s9, s9, s15
	s_ashr_i32 s20, s3, 31
	v_readfirstlane_b32 s13, v1
	s_add_u32 s22, s2, s20
	s_mov_b32 s21, s20
	s_addc_u32 s23, s3, s20
	s_delay_alu instid0(SALU_CYCLE_1) | instskip(NEXT) | instid1(SALU_CYCLE_1)
	s_xor_b64 s[22:23], s[22:23], s[20:21]
	s_mul_i32 s21, s22, s9
	s_mul_hi_u32 s24, s22, s13
	s_mul_hi_u32 s15, s22, s9
	;; [unrolled: 1-line block ×3, first 2 shown]
	s_mul_i32 s13, s23, s13
	s_add_u32 s21, s24, s21
	s_addc_u32 s15, 0, s15
	s_mul_hi_u32 s25, s23, s9
	s_add_u32 s13, s21, s13
	s_mul_i32 s9, s23, s9
	s_addc_u32 s13, s15, s29
	s_addc_u32 s15, s25, 0
	s_add_u32 s9, s13, s9
	s_addc_u32 s13, 0, s15
	s_mul_hi_u32 s15, s0, s9
	s_mul_i32 s13, s0, s13
	s_mul_i32 s21, s1, s9
	;; [unrolled: 1-line block ×3, first 2 shown]
	s_add_i32 s13, s15, s13
	v_sub_co_u32 v1, s9, s22, s9
	s_add_i32 s13, s13, s21
	s_delay_alu instid0(SALU_CYCLE_1) | instskip(SKIP_1) | instid1(VALU_DEP_1)
	s_sub_i32 s15, s23, s13
	s_cmp_lg_u32 s9, 0
	v_sub_co_u32 v2, s21, v1, s0
	s_subb_u32 s15, s15, s1
	s_cmp_lg_u32 s21, 0
	s_subb_u32 s22, s15, 0
	s_delay_alu instid0(VALU_DEP_1)
	v_cmp_le_u32_e32 vcc_lo, s0, v2
	s_cmp_ge_u32 s22, s1
	s_cselect_b32 s24, -1, 0
	s_cmp_eq_u32 s22, s1
	v_cndmask_b32_e64 v3, 0, -1, vcc_lo
	s_cselect_b32 vcc_lo, -1, 0
	s_cmp_lg_u32 s21, 0
	v_sub_co_u32 v4, s21, v2, s0
	s_subb_u32 s15, s15, s1
	s_cmp_lg_u32 s21, 0
	v_cndmask_b32_e32 v3, s24, v3, vcc_lo
	s_subb_u32 s15, s15, 0
	s_cmp_lg_u32 s9, 0
	v_cmp_le_u32_e32 vcc_lo, s0, v1
	s_subb_u32 s9, s23, s13
	s_delay_alu instid0(SALU_CYCLE_1)
	s_cmp_ge_u32 s9, s1
	v_cndmask_b32_e64 v5, 0, -1, vcc_lo
	s_cselect_b32 s13, -1, 0
	s_cmp_eq_u32 s9, s1
	v_cmp_ne_u32_e32 vcc_lo, 0, v3
	v_mov_b32_e32 v3, s15
	s_cselect_b32 s0, -1, 0
	s_delay_alu instid0(SALU_CYCLE_1) | instskip(SKIP_1) | instid1(VALU_DEP_3)
	v_cndmask_b32_e64 v5, s13, v5, s0
	v_cndmask_b32_e32 v2, v2, v4, vcc_lo
	v_cndmask_b32_e32 v3, s22, v3, vcc_lo
	s_delay_alu instid0(VALU_DEP_3) | instskip(NEXT) | instid1(VALU_DEP_3)
	v_cmp_ne_u32_e32 vcc_lo, 0, v5
	v_cndmask_b32_e32 v1, v1, v2, vcc_lo
	s_delay_alu instid0(VALU_DEP_3) | instskip(NEXT) | instid1(VALU_DEP_2)
	v_cndmask_b32_e32 v3, s9, v3, vcc_lo
	v_xor_b32_e32 v1, s20, v1
	s_delay_alu instid0(VALU_DEP_2) | instskip(NEXT) | instid1(VALU_DEP_2)
	v_xor_b32_e32 v2, s20, v3
	v_sub_co_u32 v1, vcc_lo, v1, s20
	s_delay_alu instid0(VALU_DEP_2)
	v_subrev_co_ci_u32_e32 v2, vcc_lo, s20, v2, vcc_lo
	s_and_not1_b32 vcc_lo, exec_lo, s12
	s_cbranch_vccnz .LBB84_57
.LBB84_56:
	v_cvt_f32_u32_e32 v1, s8
	s_sub_i32 s0, 0, s8
	s_delay_alu instid0(VALU_DEP_1) | instskip(SKIP_2) | instid1(VALU_DEP_1)
	v_rcp_iflag_f32_e32 v1, v1
	s_waitcnt_depctr 0xfff
	v_mul_f32_e32 v1, 0x4f7ffffe, v1
	v_cvt_u32_f32_e32 v1, v1
	s_delay_alu instid0(VALU_DEP_1) | instskip(NEXT) | instid1(VALU_DEP_1)
	v_mul_lo_u32 v2, s0, v1
	v_mul_hi_u32 v2, v1, v2
	s_delay_alu instid0(VALU_DEP_1) | instskip(NEXT) | instid1(VALU_DEP_1)
	v_add_nc_u32_e32 v1, v1, v2
	v_mul_hi_u32 v1, s2, v1
	s_delay_alu instid0(VALU_DEP_1) | instskip(NEXT) | instid1(VALU_DEP_1)
	v_mul_lo_u32 v1, v1, s8
	v_sub_nc_u32_e32 v1, s2, v1
	s_delay_alu instid0(VALU_DEP_1) | instskip(SKIP_1) | instid1(VALU_DEP_2)
	v_subrev_nc_u32_e32 v2, s8, v1
	v_cmp_le_u32_e32 vcc_lo, s8, v1
	v_cndmask_b32_e32 v1, v1, v2, vcc_lo
	s_delay_alu instid0(VALU_DEP_1) | instskip(SKIP_1) | instid1(VALU_DEP_2)
	v_subrev_nc_u32_e32 v2, s8, v1
	v_cmp_le_u32_e32 vcc_lo, s8, v1
	v_dual_cndmask_b32 v1, v1, v2 :: v_dual_mov_b32 v2, 0
.LBB84_57:
	s_mul_i32 s0, s19, s16
	s_mul_hi_u32 s1, s18, s16
	s_mul_i32 s8, s18, s16
	s_add_i32 s1, s1, s0
	v_sub_co_u32 v9, vcc_lo, s2, v1
	s_add_u32 s0, s4, s8
	s_addc_u32 s1, s5, s1
	s_lshl_b64 s[4:5], s[16:17], 2
	v_sub_co_ci_u32_e32 v10, vcc_lo, s3, v2, vcc_lo
	v_mov_b32_e32 v1, 0
	s_add_u32 s4, s6, s4
	s_addc_u32 s5, s7, s5
	s_mul_i32 s2, s28, 3
	s_lshl_b32 s3, s28, 1
	s_mov_b32 s6, 0
	s_mov_b32 s7, 0x43e00000
	s_add_i32 s8, s28, s28
	s_branch .LBB84_63
.LBB84_58:                              ;   in Loop: Header=BB84_63 Depth=1
	s_or_b32 exec_lo, exec_lo, s16
.LBB84_59:                              ;   in Loop: Header=BB84_63 Depth=1
	s_delay_alu instid0(SALU_CYCLE_1)
	s_or_b32 exec_lo, exec_lo, s15
	v_lshrrev_b32_e32 v6, 24, v14
	v_lshrrev_b32_e32 v12, 24, v13
	v_and_b32_e32 v13, 0x80000000, v4
	v_lshrrev_b32_e32 v11, 24, v11
	v_and_b32_e32 v8, 0xff, v8
	v_and_b32_e32 v6, 0x80, v6
	;; [unrolled: 1-line block ×3, first 2 shown]
	s_delay_alu instid0(VALU_DEP_3) | instskip(NEXT) | instid1(VALU_DEP_3)
	v_and_or_b32 v8, 0x80, v11, v8
	v_and_or_b32 v5, 0xff, v5, v6
	v_lshlrev_b32_e32 v6, 24, v3
	v_lshlrev_b64 v[3:4], 2, v[0:1]
	v_and_or_b32 v7, 0xff, v7, v12
	v_add3_u32 v0, s8, s28, v2
	v_lshlrev_b32_e32 v5, 16, v5
	s_delay_alu instid0(VALU_DEP_3) | instskip(SKIP_1) | instid1(VALU_DEP_3)
	v_lshlrev_b32_e32 v7, 8, v7
	v_add_co_u32 v2, vcc_lo, s0, v3
	v_or3_b32 v5, v13, v6, v5
	v_add_co_ci_u32_e32 v3, vcc_lo, s1, v4, vcc_lo
	v_cmp_le_u32_e32 vcc_lo, s14, v0
	s_delay_alu instid0(VALU_DEP_3)
	v_or3_b32 v4, v5, v7, v8
	s_or_not1_b32 s15, vcc_lo, exec_lo
	global_store_b32 v[2:3], v4, off
.LBB84_60:                              ;   in Loop: Header=BB84_63 Depth=1
	s_or_b32 exec_lo, exec_lo, s13
	s_delay_alu instid0(SALU_CYCLE_1)
	s_or_not1_b32 s13, s15, exec_lo
.LBB84_61:                              ;   in Loop: Header=BB84_63 Depth=1
	s_or_b32 exec_lo, exec_lo, s12
	s_delay_alu instid0(SALU_CYCLE_1)
	s_or_not1_b32 s12, s13, exec_lo
.LBB84_62:                              ;   in Loop: Header=BB84_63 Depth=1
	s_or_b32 exec_lo, exec_lo, s9
	s_delay_alu instid0(SALU_CYCLE_1) | instskip(NEXT) | instid1(SALU_CYCLE_1)
	s_and_b32 s9, exec_lo, s12
	s_or_b32 s6, s9, s6
	s_delay_alu instid0(SALU_CYCLE_1)
	s_and_not1_b32 exec_lo, exec_lo, s6
	s_cbranch_execz .LBB84_161
.LBB84_63:                              ; =>This Inner Loop Header: Depth=1
	v_lshlrev_b64 v[4:5], 3, v[0:1]
	v_bfe_u32 v8, v0, 4, 26
	s_mov_b32 s9, exec_lo
	s_delay_alu instid0(VALU_DEP_1) | instskip(NEXT) | instid1(VALU_DEP_3)
	v_mad_u64_u32 v[6:7], null, v9, v8, 0
	v_add_co_u32 v2, vcc_lo, s26, v4
	s_delay_alu instid0(VALU_DEP_4)
	v_add_co_ci_u32_e32 v3, vcc_lo, s27, v5, vcc_lo
	v_add_co_u32 v4, vcc_lo, s10, v4
	v_add_co_ci_u32_e32 v5, vcc_lo, s11, v5, vcc_lo
	global_load_b64 v[2:3], v[2:3], off
	v_mad_u64_u32 v[11:12], null, v10, v8, v[7:8]
	global_load_b64 v[4:5], v[4:5], off
	v_mov_b32_e32 v7, v11
	s_delay_alu instid0(VALU_DEP_1) | instskip(NEXT) | instid1(VALU_DEP_1)
	v_lshlrev_b64 v[6:7], 2, v[6:7]
	v_add_co_u32 v6, vcc_lo, s4, v6
	s_delay_alu instid0(VALU_DEP_2)
	v_add_co_ci_u32_e32 v7, vcc_lo, s5, v7, vcc_lo
	global_load_b32 v11, v[6:7], off
	s_waitcnt vmcnt(2)
	v_lshlrev_b32_e32 v6, 16, v2
	s_waitcnt vmcnt(1)
	v_lshlrev_b32_e32 v8, 16, v4
	s_delay_alu instid0(VALU_DEP_2) | instskip(NEXT) | instid1(VALU_DEP_1)
	v_mul_f32_e32 v6, v28, v6
	v_bfe_u32 v7, v6, 16, 1
	s_delay_alu instid0(VALU_DEP_1) | instskip(NEXT) | instid1(VALU_DEP_1)
	v_add3_u32 v7, v6, v7, 0x7fff
	v_and_b32_e32 v7, 0xffff0000, v7
	v_cmp_o_f32_e32 vcc_lo, v6, v6
	s_delay_alu instid0(VALU_DEP_2) | instskip(NEXT) | instid1(VALU_DEP_1)
	v_cndmask_b32_e32 v6, 0x7fc00000, v7, vcc_lo
	v_mul_f32_e32 v6, v6, v8
	s_delay_alu instid0(VALU_DEP_1) | instskip(NEXT) | instid1(VALU_DEP_1)
	v_bfe_u32 v7, v6, 16, 1
	v_add3_u32 v7, v6, v7, 0x7fff
	s_delay_alu instid0(VALU_DEP_1) | instskip(SKIP_1) | instid1(VALU_DEP_2)
	v_and_b32_e32 v7, 0xffff0000, v7
	v_cmp_o_f32_e32 vcc_lo, v6, v6
	v_cndmask_b32_e32 v6, 0x7fc00000, v7, vcc_lo
	s_waitcnt vmcnt(0)
	s_delay_alu instid0(VALU_DEP_1) | instskip(SKIP_1) | instid1(VALU_DEP_2)
	v_div_scale_f32 v7, null, v11, v11, v6
	v_div_scale_f32 v13, vcc_lo, v6, v11, v6
	v_rcp_f32_e32 v8, v7
	s_waitcnt_depctr 0xfff
	v_fma_f32 v12, -v7, v8, 1.0
	s_delay_alu instid0(VALU_DEP_1) | instskip(NEXT) | instid1(VALU_DEP_1)
	v_fmac_f32_e32 v8, v12, v8
	v_mul_f32_e32 v12, v13, v8
	s_delay_alu instid0(VALU_DEP_1) | instskip(NEXT) | instid1(VALU_DEP_1)
	v_fma_f32 v14, -v7, v12, v13
	v_fmac_f32_e32 v12, v14, v8
	s_delay_alu instid0(VALU_DEP_1) | instskip(NEXT) | instid1(VALU_DEP_1)
	v_fma_f32 v7, -v7, v12, v13
	v_div_fmas_f32 v7, v7, v8, v12
	s_delay_alu instid0(VALU_DEP_1) | instskip(SKIP_1) | instid1(VALU_DEP_2)
	v_div_fixup_f32 v6, v7, v11, v6
	v_mov_b32_e32 v7, 0x7f
	v_minmax_f32 v8, v6, s7, 0xc3e00000
	v_mov_b32_e32 v6, 0x7f
	s_delay_alu instid0(VALU_DEP_2) | instskip(NEXT) | instid1(VALU_DEP_1)
	v_and_b32_e32 v12, 0x7fffffff, v8
	v_cmpx_gt_u32_e32 0x43f00000, v12
	s_cbranch_execz .LBB84_69
; %bb.64:                               ;   in Loop: Header=BB84_63 Depth=1
	s_mov_b32 s12, exec_lo
                                        ; implicit-def: $vgpr7
	v_cmpx_lt_u32_e32 0x3c7fffff, v12
	s_xor_b32 s12, exec_lo, s12
; %bb.65:                               ;   in Loop: Header=BB84_63 Depth=1
	v_bfe_u32 v7, v8, 20, 1
	s_delay_alu instid0(VALU_DEP_1) | instskip(NEXT) | instid1(VALU_DEP_1)
	v_add3_u32 v7, v8, v7, 0x407ffff
	v_lshrrev_b32_e32 v7, 20, v7
; %bb.66:                               ;   in Loop: Header=BB84_63 Depth=1
	s_and_not1_saveexec_b32 s12, s12
; %bb.67:                               ;   in Loop: Header=BB84_63 Depth=1
	v_add_f32_e64 v7, 0x46800000, |v8|
; %bb.68:                               ;   in Loop: Header=BB84_63 Depth=1
	s_or_b32 exec_lo, exec_lo, s12
.LBB84_69:                              ;   in Loop: Header=BB84_63 Depth=1
	s_delay_alu instid0(SALU_CYCLE_1) | instskip(SKIP_3) | instid1(VALU_DEP_2)
	s_or_b32 exec_lo, exec_lo, s9
	v_and_b32_e32 v12, 0xffff0000, v2
	v_and_b32_e32 v14, 0xffff0000, v4
	s_mov_b32 s9, exec_lo
	v_mul_f32_e32 v12, v28, v12
	s_delay_alu instid0(VALU_DEP_1) | instskip(NEXT) | instid1(VALU_DEP_1)
	v_bfe_u32 v13, v12, 16, 1
	v_add3_u32 v13, v12, v13, 0x7fff
	s_delay_alu instid0(VALU_DEP_1) | instskip(SKIP_1) | instid1(VALU_DEP_2)
	v_and_b32_e32 v13, 0xffff0000, v13
	v_cmp_o_f32_e32 vcc_lo, v12, v12
	v_cndmask_b32_e32 v12, 0x7fc00000, v13, vcc_lo
	s_delay_alu instid0(VALU_DEP_1) | instskip(NEXT) | instid1(VALU_DEP_1)
	v_mul_f32_e32 v12, v12, v14
	v_bfe_u32 v13, v12, 16, 1
	s_delay_alu instid0(VALU_DEP_1) | instskip(NEXT) | instid1(VALU_DEP_1)
	v_add3_u32 v13, v12, v13, 0x7fff
	v_and_b32_e32 v13, 0xffff0000, v13
	v_cmp_o_f32_e32 vcc_lo, v12, v12
	s_delay_alu instid0(VALU_DEP_2) | instskip(NEXT) | instid1(VALU_DEP_1)
	v_cndmask_b32_e32 v12, 0x7fc00000, v13, vcc_lo
	v_div_scale_f32 v13, null, v11, v11, v12
	s_delay_alu instid0(VALU_DEP_1) | instskip(SKIP_2) | instid1(VALU_DEP_1)
	v_rcp_f32_e32 v14, v13
	s_waitcnt_depctr 0xfff
	v_fma_f32 v15, -v13, v14, 1.0
	v_fmac_f32_e32 v14, v15, v14
	v_div_scale_f32 v15, vcc_lo, v12, v11, v12
	s_delay_alu instid0(VALU_DEP_1) | instskip(NEXT) | instid1(VALU_DEP_1)
	v_mul_f32_e32 v16, v15, v14
	v_fma_f32 v17, -v13, v16, v15
	s_delay_alu instid0(VALU_DEP_1) | instskip(NEXT) | instid1(VALU_DEP_1)
	v_fmac_f32_e32 v16, v17, v14
	v_fma_f32 v13, -v13, v16, v15
	s_delay_alu instid0(VALU_DEP_1) | instskip(NEXT) | instid1(VALU_DEP_1)
	v_div_fmas_f32 v13, v13, v14, v16
	v_div_fixup_f32 v12, v13, v11, v12
	s_delay_alu instid0(VALU_DEP_1) | instskip(NEXT) | instid1(VALU_DEP_1)
	v_minmax_f32 v12, v12, s7, 0xc3e00000
	v_and_b32_e32 v13, 0x7fffffff, v12
	s_delay_alu instid0(VALU_DEP_1)
	v_cmpx_gt_u32_e32 0x43f00000, v13
	s_cbranch_execz .LBB84_75
; %bb.70:                               ;   in Loop: Header=BB84_63 Depth=1
	s_mov_b32 s12, exec_lo
                                        ; implicit-def: $vgpr6
	v_cmpx_lt_u32_e32 0x3c7fffff, v13
	s_xor_b32 s12, exec_lo, s12
; %bb.71:                               ;   in Loop: Header=BB84_63 Depth=1
	v_bfe_u32 v6, v12, 20, 1
	s_delay_alu instid0(VALU_DEP_1) | instskip(NEXT) | instid1(VALU_DEP_1)
	v_add3_u32 v6, v12, v6, 0x407ffff
	v_lshrrev_b32_e32 v6, 20, v6
; %bb.72:                               ;   in Loop: Header=BB84_63 Depth=1
	s_and_not1_saveexec_b32 s12, s12
; %bb.73:                               ;   in Loop: Header=BB84_63 Depth=1
	v_add_f32_e64 v6, 0x46800000, |v12|
; %bb.74:                               ;   in Loop: Header=BB84_63 Depth=1
	s_or_b32 exec_lo, exec_lo, s12
.LBB84_75:                              ;   in Loop: Header=BB84_63 Depth=1
	s_delay_alu instid0(SALU_CYCLE_1) | instskip(SKIP_3) | instid1(VALU_DEP_2)
	s_or_b32 exec_lo, exec_lo, s9
	v_alignbit_b32 v2, v3, v2, 16
	v_alignbit_b32 v4, v5, v4, 16
	s_mov_b32 s9, exec_lo
	v_and_b32_e32 v2, 0xffff0000, v2
	s_delay_alu instid0(VALU_DEP_2) | instskip(NEXT) | instid1(VALU_DEP_2)
	v_and_b32_e32 v4, 0xffff0000, v4
	v_mul_f32_e32 v2, v28, v2
	s_delay_alu instid0(VALU_DEP_1) | instskip(NEXT) | instid1(VALU_DEP_1)
	v_bfe_u32 v13, v2, 16, 1
	v_add3_u32 v13, v2, v13, 0x7fff
	s_delay_alu instid0(VALU_DEP_1) | instskip(SKIP_1) | instid1(VALU_DEP_2)
	v_and_b32_e32 v13, 0xffff0000, v13
	v_cmp_o_f32_e32 vcc_lo, v2, v2
	v_cndmask_b32_e32 v2, 0x7fc00000, v13, vcc_lo
	s_delay_alu instid0(VALU_DEP_1) | instskip(NEXT) | instid1(VALU_DEP_1)
	v_mul_f32_e32 v2, v2, v4
	v_bfe_u32 v4, v2, 16, 1
	v_cmp_o_f32_e32 vcc_lo, v2, v2
	s_delay_alu instid0(VALU_DEP_2) | instskip(NEXT) | instid1(VALU_DEP_1)
	v_add3_u32 v4, v2, v4, 0x7fff
	v_and_b32_e32 v4, 0xffff0000, v4
	s_delay_alu instid0(VALU_DEP_1) | instskip(NEXT) | instid1(VALU_DEP_1)
	v_cndmask_b32_e32 v2, 0x7fc00000, v4, vcc_lo
	v_div_scale_f32 v4, null, v11, v11, v2
	v_div_scale_f32 v15, vcc_lo, v2, v11, v2
	s_delay_alu instid0(VALU_DEP_2) | instskip(SKIP_2) | instid1(VALU_DEP_1)
	v_rcp_f32_e32 v13, v4
	s_waitcnt_depctr 0xfff
	v_fma_f32 v14, -v4, v13, 1.0
	v_fmac_f32_e32 v13, v14, v13
	s_delay_alu instid0(VALU_DEP_1) | instskip(NEXT) | instid1(VALU_DEP_1)
	v_mul_f32_e32 v14, v15, v13
	v_fma_f32 v16, -v4, v14, v15
	s_delay_alu instid0(VALU_DEP_1) | instskip(NEXT) | instid1(VALU_DEP_1)
	v_fmac_f32_e32 v14, v16, v13
	v_fma_f32 v4, -v4, v14, v15
	s_delay_alu instid0(VALU_DEP_1) | instskip(NEXT) | instid1(VALU_DEP_1)
	v_div_fmas_f32 v4, v4, v13, v14
	v_div_fixup_f32 v2, v4, v11, v2
	v_mov_b32_e32 v4, 0x7f
	s_delay_alu instid0(VALU_DEP_2) | instskip(SKIP_1) | instid1(VALU_DEP_2)
	v_minmax_f32 v13, v2, s7, 0xc3e00000
	v_mov_b32_e32 v2, 0x7f
	v_and_b32_e32 v14, 0x7fffffff, v13
	s_delay_alu instid0(VALU_DEP_1)
	v_cmpx_gt_u32_e32 0x43f00000, v14
	s_cbranch_execz .LBB84_81
; %bb.76:                               ;   in Loop: Header=BB84_63 Depth=1
	s_mov_b32 s12, exec_lo
                                        ; implicit-def: $vgpr4
	v_cmpx_lt_u32_e32 0x3c7fffff, v14
	s_xor_b32 s12, exec_lo, s12
; %bb.77:                               ;   in Loop: Header=BB84_63 Depth=1
	v_bfe_u32 v4, v13, 20, 1
	s_delay_alu instid0(VALU_DEP_1) | instskip(NEXT) | instid1(VALU_DEP_1)
	v_add3_u32 v4, v13, v4, 0x407ffff
	v_lshrrev_b32_e32 v4, 20, v4
; %bb.78:                               ;   in Loop: Header=BB84_63 Depth=1
	s_and_not1_saveexec_b32 s12, s12
; %bb.79:                               ;   in Loop: Header=BB84_63 Depth=1
	v_add_f32_e64 v4, 0x46800000, |v13|
; %bb.80:                               ;   in Loop: Header=BB84_63 Depth=1
	s_or_b32 exec_lo, exec_lo, s12
.LBB84_81:                              ;   in Loop: Header=BB84_63 Depth=1
	s_delay_alu instid0(SALU_CYCLE_1) | instskip(SKIP_3) | instid1(VALU_DEP_2)
	s_or_b32 exec_lo, exec_lo, s9
	v_and_b32_e32 v3, 0xffff0000, v3
	v_and_b32_e32 v5, 0xffff0000, v5
	s_mov_b32 s9, exec_lo
	v_mul_f32_e32 v3, v28, v3
	s_delay_alu instid0(VALU_DEP_1) | instskip(NEXT) | instid1(VALU_DEP_1)
	v_bfe_u32 v14, v3, 16, 1
	v_add3_u32 v14, v3, v14, 0x7fff
	s_delay_alu instid0(VALU_DEP_1) | instskip(SKIP_1) | instid1(VALU_DEP_2)
	v_and_b32_e32 v14, 0xffff0000, v14
	v_cmp_o_f32_e32 vcc_lo, v3, v3
	v_cndmask_b32_e32 v3, 0x7fc00000, v14, vcc_lo
	s_delay_alu instid0(VALU_DEP_1) | instskip(NEXT) | instid1(VALU_DEP_1)
	v_mul_f32_e32 v3, v3, v5
	v_bfe_u32 v5, v3, 16, 1
	v_cmp_o_f32_e32 vcc_lo, v3, v3
	s_delay_alu instid0(VALU_DEP_2) | instskip(NEXT) | instid1(VALU_DEP_1)
	v_add3_u32 v5, v3, v5, 0x7fff
	v_and_b32_e32 v5, 0xffff0000, v5
	s_delay_alu instid0(VALU_DEP_1) | instskip(NEXT) | instid1(VALU_DEP_1)
	v_cndmask_b32_e32 v3, 0x7fc00000, v5, vcc_lo
	v_div_scale_f32 v5, null, v11, v11, v3
	s_delay_alu instid0(VALU_DEP_1) | instskip(SKIP_2) | instid1(VALU_DEP_1)
	v_rcp_f32_e32 v14, v5
	s_waitcnt_depctr 0xfff
	v_fma_f32 v15, -v5, v14, 1.0
	v_fmac_f32_e32 v14, v15, v14
	v_div_scale_f32 v15, vcc_lo, v3, v11, v3
	s_delay_alu instid0(VALU_DEP_1) | instskip(NEXT) | instid1(VALU_DEP_1)
	v_mul_f32_e32 v16, v15, v14
	v_fma_f32 v17, -v5, v16, v15
	s_delay_alu instid0(VALU_DEP_1) | instskip(NEXT) | instid1(VALU_DEP_1)
	v_fmac_f32_e32 v16, v17, v14
	v_fma_f32 v5, -v5, v16, v15
	s_delay_alu instid0(VALU_DEP_1) | instskip(NEXT) | instid1(VALU_DEP_1)
	v_div_fmas_f32 v5, v5, v14, v16
	v_div_fixup_f32 v3, v5, v11, v3
	s_delay_alu instid0(VALU_DEP_1) | instskip(NEXT) | instid1(VALU_DEP_1)
	v_minmax_f32 v3, v3, s7, 0xc3e00000
	v_and_b32_e32 v5, 0x7fffffff, v3
	s_delay_alu instid0(VALU_DEP_1)
	v_cmpx_gt_u32_e32 0x43f00000, v5
	s_cbranch_execz .LBB84_87
; %bb.82:                               ;   in Loop: Header=BB84_63 Depth=1
	s_mov_b32 s12, exec_lo
                                        ; implicit-def: $vgpr2
	v_cmpx_lt_u32_e32 0x3c7fffff, v5
	s_xor_b32 s12, exec_lo, s12
; %bb.83:                               ;   in Loop: Header=BB84_63 Depth=1
	v_bfe_u32 v2, v3, 20, 1
	s_delay_alu instid0(VALU_DEP_1) | instskip(NEXT) | instid1(VALU_DEP_1)
	v_add3_u32 v2, v3, v2, 0x407ffff
	v_lshrrev_b32_e32 v2, 20, v2
; %bb.84:                               ;   in Loop: Header=BB84_63 Depth=1
	s_and_not1_saveexec_b32 s12, s12
; %bb.85:                               ;   in Loop: Header=BB84_63 Depth=1
	v_add_f32_e64 v2, 0x46800000, |v3|
; %bb.86:                               ;   in Loop: Header=BB84_63 Depth=1
	s_or_b32 exec_lo, exec_lo, s12
.LBB84_87:                              ;   in Loop: Header=BB84_63 Depth=1
	s_delay_alu instid0(SALU_CYCLE_1)
	s_or_b32 exec_lo, exec_lo, s9
	v_lshrrev_b32_e32 v5, 24, v13
	v_lshrrev_b32_e32 v11, 24, v12
	;; [unrolled: 1-line block ×3, first 2 shown]
	v_lshlrev_b32_e32 v2, 24, v2
	v_and_b32_e32 v7, 0xff, v7
	v_and_b32_e32 v5, 0x80, v5
	v_and_b32_e32 v11, 0x80, v11
	s_mov_b32 s12, -1
	s_mov_b32 s9, exec_lo
	v_and_or_b32 v7, 0x80, v8, v7
	v_and_or_b32 v4, 0xff, v4, v5
	v_and_b32_e32 v5, 0x80000000, v3
	v_and_or_b32 v6, 0xff, v6, v11
	s_delay_alu instid0(VALU_DEP_3) | instskip(SKIP_1) | instid1(VALU_DEP_3)
	v_lshlrev_b32_e32 v11, 16, v4
	v_lshlrev_b64 v[3:4], 2, v[0:1]
	v_lshlrev_b32_e32 v6, 8, v6
	s_delay_alu instid0(VALU_DEP_3) | instskip(SKIP_1) | instid1(VALU_DEP_4)
	v_or3_b32 v5, v5, v2, v11
	v_add_nc_u32_e32 v2, s28, v0
	v_add_co_u32 v3, vcc_lo, s0, v3
	v_add_co_ci_u32_e32 v4, vcc_lo, s1, v4, vcc_lo
	s_delay_alu instid0(VALU_DEP_4)
	v_or3_b32 v5, v5, v6, v7
	global_store_b32 v[3:4], v5, off
	v_cmpx_gt_u32_e64 s14, v2
	s_cbranch_execz .LBB84_62
; %bb.88:                               ;   in Loop: Header=BB84_63 Depth=1
	v_bfe_u32 v14, v2, 4, 26
	s_mov_b32 s12, exec_lo
	s_delay_alu instid0(VALU_DEP_1) | instskip(NEXT) | instid1(VALU_DEP_1)
	v_mad_u64_u32 v[11:12], null, v9, v14, 0
	v_dual_mov_b32 v3, v1 :: v_dual_mov_b32 v8, v12
	s_delay_alu instid0(VALU_DEP_1) | instskip(NEXT) | instid1(VALU_DEP_2)
	v_lshlrev_b64 v[6:7], 3, v[2:3]
	v_mad_u64_u32 v[12:13], null, v10, v14, v[8:9]
	s_delay_alu instid0(VALU_DEP_2) | instskip(NEXT) | instid1(VALU_DEP_3)
	v_add_co_u32 v4, vcc_lo, s26, v6
	v_add_co_ci_u32_e32 v5, vcc_lo, s27, v7, vcc_lo
	v_add_co_u32 v6, vcc_lo, s10, v6
	v_add_co_ci_u32_e32 v7, vcc_lo, s11, v7, vcc_lo
	global_load_b64 v[4:5], v[4:5], off
	v_lshlrev_b64 v[11:12], 2, v[11:12]
	global_load_b64 v[6:7], v[6:7], off
	v_add_co_u32 v11, vcc_lo, s4, v11
	v_add_co_ci_u32_e32 v12, vcc_lo, s5, v12, vcc_lo
	global_load_b32 v13, v[11:12], off
	s_waitcnt vmcnt(2)
	v_lshlrev_b32_e32 v8, 16, v4
	s_waitcnt vmcnt(1)
	v_lshlrev_b32_e32 v12, 16, v6
	s_delay_alu instid0(VALU_DEP_2) | instskip(NEXT) | instid1(VALU_DEP_1)
	v_mul_f32_e32 v8, v28, v8
	v_bfe_u32 v11, v8, 16, 1
	s_delay_alu instid0(VALU_DEP_1) | instskip(NEXT) | instid1(VALU_DEP_1)
	v_add3_u32 v11, v8, v11, 0x7fff
	v_and_b32_e32 v11, 0xffff0000, v11
	v_cmp_o_f32_e32 vcc_lo, v8, v8
	s_delay_alu instid0(VALU_DEP_2) | instskip(NEXT) | instid1(VALU_DEP_1)
	v_cndmask_b32_e32 v8, 0x7fc00000, v11, vcc_lo
	v_mul_f32_e32 v8, v8, v12
	s_delay_alu instid0(VALU_DEP_1) | instskip(NEXT) | instid1(VALU_DEP_1)
	v_bfe_u32 v11, v8, 16, 1
	v_add3_u32 v11, v8, v11, 0x7fff
	s_delay_alu instid0(VALU_DEP_1) | instskip(SKIP_1) | instid1(VALU_DEP_2)
	v_and_b32_e32 v11, 0xffff0000, v11
	v_cmp_o_f32_e32 vcc_lo, v8, v8
	v_cndmask_b32_e32 v8, 0x7fc00000, v11, vcc_lo
	s_waitcnt vmcnt(0)
	s_delay_alu instid0(VALU_DEP_1) | instskip(SKIP_1) | instid1(VALU_DEP_2)
	v_div_scale_f32 v11, null, v13, v13, v8
	v_div_scale_f32 v15, vcc_lo, v8, v13, v8
	v_rcp_f32_e32 v12, v11
	s_waitcnt_depctr 0xfff
	v_fma_f32 v14, -v11, v12, 1.0
	s_delay_alu instid0(VALU_DEP_1) | instskip(NEXT) | instid1(VALU_DEP_1)
	v_fmac_f32_e32 v12, v14, v12
	v_mul_f32_e32 v14, v15, v12
	s_delay_alu instid0(VALU_DEP_1) | instskip(NEXT) | instid1(VALU_DEP_1)
	v_fma_f32 v16, -v11, v14, v15
	v_fmac_f32_e32 v14, v16, v12
	s_delay_alu instid0(VALU_DEP_1) | instskip(NEXT) | instid1(VALU_DEP_1)
	v_fma_f32 v11, -v11, v14, v15
	v_div_fmas_f32 v11, v11, v12, v14
	s_delay_alu instid0(VALU_DEP_1) | instskip(SKIP_1) | instid1(VALU_DEP_2)
	v_div_fixup_f32 v8, v11, v13, v8
	v_mov_b32_e32 v11, 0x7f
	v_minmax_f32 v12, v8, s7, 0xc3e00000
	v_mov_b32_e32 v8, 0x7f
	s_delay_alu instid0(VALU_DEP_2) | instskip(NEXT) | instid1(VALU_DEP_1)
	v_and_b32_e32 v14, 0x7fffffff, v12
	v_cmpx_gt_u32_e32 0x43f00000, v14
	s_cbranch_execz .LBB84_94
; %bb.89:                               ;   in Loop: Header=BB84_63 Depth=1
	s_mov_b32 s13, exec_lo
                                        ; implicit-def: $vgpr11
	v_cmpx_lt_u32_e32 0x3c7fffff, v14
	s_xor_b32 s13, exec_lo, s13
; %bb.90:                               ;   in Loop: Header=BB84_63 Depth=1
	v_bfe_u32 v11, v12, 20, 1
	s_delay_alu instid0(VALU_DEP_1) | instskip(NEXT) | instid1(VALU_DEP_1)
	v_add3_u32 v11, v12, v11, 0x407ffff
	v_lshrrev_b32_e32 v11, 20, v11
; %bb.91:                               ;   in Loop: Header=BB84_63 Depth=1
	s_and_not1_saveexec_b32 s13, s13
; %bb.92:                               ;   in Loop: Header=BB84_63 Depth=1
	v_add_f32_e64 v11, 0x46800000, |v12|
; %bb.93:                               ;   in Loop: Header=BB84_63 Depth=1
	s_or_b32 exec_lo, exec_lo, s13
.LBB84_94:                              ;   in Loop: Header=BB84_63 Depth=1
	s_delay_alu instid0(SALU_CYCLE_1) | instskip(SKIP_3) | instid1(VALU_DEP_2)
	s_or_b32 exec_lo, exec_lo, s12
	v_and_b32_e32 v14, 0xffff0000, v4
	v_and_b32_e32 v16, 0xffff0000, v6
	s_mov_b32 s12, exec_lo
	v_mul_f32_e32 v14, v28, v14
	s_delay_alu instid0(VALU_DEP_1) | instskip(NEXT) | instid1(VALU_DEP_1)
	v_bfe_u32 v15, v14, 16, 1
	v_add3_u32 v15, v14, v15, 0x7fff
	s_delay_alu instid0(VALU_DEP_1) | instskip(SKIP_1) | instid1(VALU_DEP_2)
	v_and_b32_e32 v15, 0xffff0000, v15
	v_cmp_o_f32_e32 vcc_lo, v14, v14
	v_cndmask_b32_e32 v14, 0x7fc00000, v15, vcc_lo
	s_delay_alu instid0(VALU_DEP_1) | instskip(NEXT) | instid1(VALU_DEP_1)
	v_mul_f32_e32 v14, v14, v16
	v_bfe_u32 v15, v14, 16, 1
	s_delay_alu instid0(VALU_DEP_1) | instskip(NEXT) | instid1(VALU_DEP_1)
	v_add3_u32 v15, v14, v15, 0x7fff
	v_and_b32_e32 v15, 0xffff0000, v15
	v_cmp_o_f32_e32 vcc_lo, v14, v14
	s_delay_alu instid0(VALU_DEP_2) | instskip(NEXT) | instid1(VALU_DEP_1)
	v_cndmask_b32_e32 v14, 0x7fc00000, v15, vcc_lo
	v_div_scale_f32 v15, null, v13, v13, v14
	s_delay_alu instid0(VALU_DEP_1) | instskip(SKIP_2) | instid1(VALU_DEP_1)
	v_rcp_f32_e32 v16, v15
	s_waitcnt_depctr 0xfff
	v_fma_f32 v17, -v15, v16, 1.0
	v_fmac_f32_e32 v16, v17, v16
	v_div_scale_f32 v17, vcc_lo, v14, v13, v14
	s_delay_alu instid0(VALU_DEP_1) | instskip(NEXT) | instid1(VALU_DEP_1)
	v_mul_f32_e32 v18, v17, v16
	v_fma_f32 v19, -v15, v18, v17
	s_delay_alu instid0(VALU_DEP_1) | instskip(NEXT) | instid1(VALU_DEP_1)
	v_fmac_f32_e32 v18, v19, v16
	v_fma_f32 v15, -v15, v18, v17
	s_delay_alu instid0(VALU_DEP_1) | instskip(NEXT) | instid1(VALU_DEP_1)
	v_div_fmas_f32 v15, v15, v16, v18
	v_div_fixup_f32 v14, v15, v13, v14
	s_delay_alu instid0(VALU_DEP_1) | instskip(NEXT) | instid1(VALU_DEP_1)
	v_minmax_f32 v14, v14, s7, 0xc3e00000
	v_and_b32_e32 v15, 0x7fffffff, v14
	s_delay_alu instid0(VALU_DEP_1)
	v_cmpx_gt_u32_e32 0x43f00000, v15
	s_cbranch_execz .LBB84_100
; %bb.95:                               ;   in Loop: Header=BB84_63 Depth=1
	s_mov_b32 s13, exec_lo
                                        ; implicit-def: $vgpr8
	v_cmpx_lt_u32_e32 0x3c7fffff, v15
	s_xor_b32 s13, exec_lo, s13
; %bb.96:                               ;   in Loop: Header=BB84_63 Depth=1
	v_bfe_u32 v8, v14, 20, 1
	s_delay_alu instid0(VALU_DEP_1) | instskip(NEXT) | instid1(VALU_DEP_1)
	v_add3_u32 v8, v14, v8, 0x407ffff
	v_lshrrev_b32_e32 v8, 20, v8
; %bb.97:                               ;   in Loop: Header=BB84_63 Depth=1
	s_and_not1_saveexec_b32 s13, s13
; %bb.98:                               ;   in Loop: Header=BB84_63 Depth=1
	v_add_f32_e64 v8, 0x46800000, |v14|
; %bb.99:                               ;   in Loop: Header=BB84_63 Depth=1
	s_or_b32 exec_lo, exec_lo, s13
.LBB84_100:                             ;   in Loop: Header=BB84_63 Depth=1
	s_delay_alu instid0(SALU_CYCLE_1) | instskip(SKIP_3) | instid1(VALU_DEP_2)
	s_or_b32 exec_lo, exec_lo, s12
	v_alignbit_b32 v4, v5, v4, 16
	v_alignbit_b32 v6, v7, v6, 16
	s_mov_b32 s12, exec_lo
	v_and_b32_e32 v4, 0xffff0000, v4
	s_delay_alu instid0(VALU_DEP_2) | instskip(NEXT) | instid1(VALU_DEP_2)
	v_and_b32_e32 v6, 0xffff0000, v6
	v_mul_f32_e32 v4, v28, v4
	s_delay_alu instid0(VALU_DEP_1) | instskip(NEXT) | instid1(VALU_DEP_1)
	v_bfe_u32 v15, v4, 16, 1
	v_add3_u32 v15, v4, v15, 0x7fff
	s_delay_alu instid0(VALU_DEP_1) | instskip(SKIP_1) | instid1(VALU_DEP_2)
	v_and_b32_e32 v15, 0xffff0000, v15
	v_cmp_o_f32_e32 vcc_lo, v4, v4
	v_cndmask_b32_e32 v4, 0x7fc00000, v15, vcc_lo
	s_delay_alu instid0(VALU_DEP_1) | instskip(NEXT) | instid1(VALU_DEP_1)
	v_mul_f32_e32 v4, v4, v6
	v_bfe_u32 v6, v4, 16, 1
	v_cmp_o_f32_e32 vcc_lo, v4, v4
	s_delay_alu instid0(VALU_DEP_2) | instskip(NEXT) | instid1(VALU_DEP_1)
	v_add3_u32 v6, v4, v6, 0x7fff
	v_and_b32_e32 v6, 0xffff0000, v6
	s_delay_alu instid0(VALU_DEP_1) | instskip(NEXT) | instid1(VALU_DEP_1)
	v_cndmask_b32_e32 v4, 0x7fc00000, v6, vcc_lo
	v_div_scale_f32 v6, null, v13, v13, v4
	v_div_scale_f32 v17, vcc_lo, v4, v13, v4
	s_delay_alu instid0(VALU_DEP_2) | instskip(SKIP_2) | instid1(VALU_DEP_1)
	v_rcp_f32_e32 v15, v6
	s_waitcnt_depctr 0xfff
	v_fma_f32 v16, -v6, v15, 1.0
	v_fmac_f32_e32 v15, v16, v15
	s_delay_alu instid0(VALU_DEP_1) | instskip(NEXT) | instid1(VALU_DEP_1)
	v_mul_f32_e32 v16, v17, v15
	v_fma_f32 v18, -v6, v16, v17
	s_delay_alu instid0(VALU_DEP_1) | instskip(NEXT) | instid1(VALU_DEP_1)
	v_fmac_f32_e32 v16, v18, v15
	v_fma_f32 v6, -v6, v16, v17
	s_delay_alu instid0(VALU_DEP_1) | instskip(NEXT) | instid1(VALU_DEP_1)
	v_div_fmas_f32 v6, v6, v15, v16
	v_div_fixup_f32 v4, v6, v13, v4
	v_mov_b32_e32 v6, 0x7f
	s_delay_alu instid0(VALU_DEP_2) | instskip(SKIP_1) | instid1(VALU_DEP_2)
	v_minmax_f32 v15, v4, s7, 0xc3e00000
	v_mov_b32_e32 v4, 0x7f
	v_and_b32_e32 v16, 0x7fffffff, v15
	s_delay_alu instid0(VALU_DEP_1)
	v_cmpx_gt_u32_e32 0x43f00000, v16
	s_cbranch_execz .LBB84_106
; %bb.101:                              ;   in Loop: Header=BB84_63 Depth=1
	s_mov_b32 s13, exec_lo
                                        ; implicit-def: $vgpr6
	v_cmpx_lt_u32_e32 0x3c7fffff, v16
	s_xor_b32 s13, exec_lo, s13
; %bb.102:                              ;   in Loop: Header=BB84_63 Depth=1
	v_bfe_u32 v6, v15, 20, 1
	s_delay_alu instid0(VALU_DEP_1) | instskip(NEXT) | instid1(VALU_DEP_1)
	v_add3_u32 v6, v15, v6, 0x407ffff
	v_lshrrev_b32_e32 v6, 20, v6
; %bb.103:                              ;   in Loop: Header=BB84_63 Depth=1
	s_and_not1_saveexec_b32 s13, s13
; %bb.104:                              ;   in Loop: Header=BB84_63 Depth=1
	v_add_f32_e64 v6, 0x46800000, |v15|
; %bb.105:                              ;   in Loop: Header=BB84_63 Depth=1
	s_or_b32 exec_lo, exec_lo, s13
.LBB84_106:                             ;   in Loop: Header=BB84_63 Depth=1
	s_delay_alu instid0(SALU_CYCLE_1) | instskip(SKIP_3) | instid1(VALU_DEP_2)
	s_or_b32 exec_lo, exec_lo, s12
	v_and_b32_e32 v5, 0xffff0000, v5
	v_and_b32_e32 v7, 0xffff0000, v7
	s_mov_b32 s12, exec_lo
	v_mul_f32_e32 v5, v28, v5
	s_delay_alu instid0(VALU_DEP_1) | instskip(NEXT) | instid1(VALU_DEP_1)
	v_bfe_u32 v16, v5, 16, 1
	v_add3_u32 v16, v5, v16, 0x7fff
	s_delay_alu instid0(VALU_DEP_1) | instskip(SKIP_1) | instid1(VALU_DEP_2)
	v_and_b32_e32 v16, 0xffff0000, v16
	v_cmp_o_f32_e32 vcc_lo, v5, v5
	v_cndmask_b32_e32 v5, 0x7fc00000, v16, vcc_lo
	s_delay_alu instid0(VALU_DEP_1) | instskip(NEXT) | instid1(VALU_DEP_1)
	v_mul_f32_e32 v5, v5, v7
	v_bfe_u32 v7, v5, 16, 1
	v_cmp_o_f32_e32 vcc_lo, v5, v5
	s_delay_alu instid0(VALU_DEP_2) | instskip(NEXT) | instid1(VALU_DEP_1)
	v_add3_u32 v7, v5, v7, 0x7fff
	v_and_b32_e32 v7, 0xffff0000, v7
	s_delay_alu instid0(VALU_DEP_1) | instskip(NEXT) | instid1(VALU_DEP_1)
	v_cndmask_b32_e32 v5, 0x7fc00000, v7, vcc_lo
	v_div_scale_f32 v7, null, v13, v13, v5
	s_delay_alu instid0(VALU_DEP_1) | instskip(SKIP_2) | instid1(VALU_DEP_1)
	v_rcp_f32_e32 v16, v7
	s_waitcnt_depctr 0xfff
	v_fma_f32 v17, -v7, v16, 1.0
	v_fmac_f32_e32 v16, v17, v16
	v_div_scale_f32 v17, vcc_lo, v5, v13, v5
	s_delay_alu instid0(VALU_DEP_1) | instskip(NEXT) | instid1(VALU_DEP_1)
	v_mul_f32_e32 v18, v17, v16
	v_fma_f32 v19, -v7, v18, v17
	s_delay_alu instid0(VALU_DEP_1) | instskip(NEXT) | instid1(VALU_DEP_1)
	v_fmac_f32_e32 v18, v19, v16
	v_fma_f32 v7, -v7, v18, v17
	s_delay_alu instid0(VALU_DEP_1) | instskip(NEXT) | instid1(VALU_DEP_1)
	v_div_fmas_f32 v7, v7, v16, v18
	v_div_fixup_f32 v5, v7, v13, v5
	s_delay_alu instid0(VALU_DEP_1) | instskip(NEXT) | instid1(VALU_DEP_1)
	v_minmax_f32 v5, v5, s7, 0xc3e00000
	v_and_b32_e32 v7, 0x7fffffff, v5
	s_delay_alu instid0(VALU_DEP_1)
	v_cmpx_gt_u32_e32 0x43f00000, v7
	s_cbranch_execz .LBB84_112
; %bb.107:                              ;   in Loop: Header=BB84_63 Depth=1
	s_mov_b32 s13, exec_lo
                                        ; implicit-def: $vgpr4
	v_cmpx_lt_u32_e32 0x3c7fffff, v7
	s_xor_b32 s13, exec_lo, s13
; %bb.108:                              ;   in Loop: Header=BB84_63 Depth=1
	v_bfe_u32 v4, v5, 20, 1
	s_delay_alu instid0(VALU_DEP_1) | instskip(NEXT) | instid1(VALU_DEP_1)
	v_add3_u32 v4, v5, v4, 0x407ffff
	v_lshrrev_b32_e32 v4, 20, v4
; %bb.109:                              ;   in Loop: Header=BB84_63 Depth=1
	s_and_not1_saveexec_b32 s13, s13
; %bb.110:                              ;   in Loop: Header=BB84_63 Depth=1
	v_add_f32_e64 v4, 0x46800000, |v5|
; %bb.111:                              ;   in Loop: Header=BB84_63 Depth=1
	s_or_b32 exec_lo, exec_lo, s13
.LBB84_112:                             ;   in Loop: Header=BB84_63 Depth=1
	s_delay_alu instid0(SALU_CYCLE_1)
	s_or_b32 exec_lo, exec_lo, s12
	v_lshrrev_b32_e32 v7, 24, v15
	v_lshrrev_b32_e32 v13, 24, v14
	;; [unrolled: 1-line block ×3, first 2 shown]
	v_and_b32_e32 v14, 0x80000000, v5
	v_and_b32_e32 v11, 0xff, v11
	;; [unrolled: 1-line block ×4, first 2 shown]
	s_mov_b32 s13, -1
	s_mov_b32 s12, exec_lo
	v_and_or_b32 v11, 0x80, v12, v11
	v_and_or_b32 v6, 0xff, v6, v7
	v_lshlrev_b32_e32 v7, 24, v4
	v_and_or_b32 v8, 0xff, v8, v13
	v_lshlrev_b64 v[4:5], 2, v[2:3]
	v_add_nc_u32_e32 v3, s3, v0
	v_lshlrev_b32_e32 v6, 16, v6
	s_delay_alu instid0(VALU_DEP_4) | instskip(NEXT) | instid1(VALU_DEP_4)
	v_lshlrev_b32_e32 v8, 8, v8
	v_add_co_u32 v4, vcc_lo, s0, v4
	s_delay_alu instid0(VALU_DEP_3) | instskip(SKIP_1) | instid1(VALU_DEP_2)
	v_or3_b32 v6, v14, v7, v6
	v_add_co_ci_u32_e32 v5, vcc_lo, s1, v5, vcc_lo
	v_or3_b32 v6, v6, v8, v11
	global_store_b32 v[4:5], v6, off
	v_cmpx_gt_u32_e64 s14, v3
	s_cbranch_execz .LBB84_61
; %bb.113:                              ;   in Loop: Header=BB84_63 Depth=1
	v_mov_b32_e32 v4, v1
	v_bfe_u32 v15, v3, 4, 26
	s_mov_b32 s13, exec_lo
	s_delay_alu instid0(VALU_DEP_2) | instskip(NEXT) | instid1(VALU_DEP_2)
	v_lshlrev_b64 v[7:8], 3, v[3:4]
	v_mad_u64_u32 v[11:12], null, v9, v15, 0
	s_delay_alu instid0(VALU_DEP_2) | instskip(NEXT) | instid1(VALU_DEP_3)
	v_add_co_u32 v5, vcc_lo, s26, v7
	v_add_co_ci_u32_e32 v6, vcc_lo, s27, v8, vcc_lo
	v_add_co_u32 v7, vcc_lo, s10, v7
	v_add_co_ci_u32_e32 v8, vcc_lo, s11, v8, vcc_lo
	global_load_b64 v[5:6], v[5:6], off
	v_mad_u64_u32 v[13:14], null, v10, v15, v[12:13]
	global_load_b64 v[7:8], v[7:8], off
	v_mov_b32_e32 v12, v13
	s_delay_alu instid0(VALU_DEP_1) | instskip(NEXT) | instid1(VALU_DEP_1)
	v_lshlrev_b64 v[11:12], 2, v[11:12]
	v_add_co_u32 v11, vcc_lo, s4, v11
	s_delay_alu instid0(VALU_DEP_2)
	v_add_co_ci_u32_e32 v12, vcc_lo, s5, v12, vcc_lo
	global_load_b32 v14, v[11:12], off
	s_waitcnt vmcnt(2)
	v_lshlrev_b32_e32 v11, 16, v5
	s_waitcnt vmcnt(1)
	v_lshlrev_b32_e32 v13, 16, v7
	s_delay_alu instid0(VALU_DEP_2) | instskip(NEXT) | instid1(VALU_DEP_1)
	v_mul_f32_e32 v11, v28, v11
	v_bfe_u32 v12, v11, 16, 1
	v_cmp_o_f32_e32 vcc_lo, v11, v11
	s_delay_alu instid0(VALU_DEP_2) | instskip(NEXT) | instid1(VALU_DEP_1)
	v_add3_u32 v12, v11, v12, 0x7fff
	v_and_b32_e32 v12, 0xffff0000, v12
	s_delay_alu instid0(VALU_DEP_1) | instskip(NEXT) | instid1(VALU_DEP_1)
	v_cndmask_b32_e32 v11, 0x7fc00000, v12, vcc_lo
	v_mul_f32_e32 v11, v11, v13
	s_delay_alu instid0(VALU_DEP_1) | instskip(SKIP_1) | instid1(VALU_DEP_2)
	v_bfe_u32 v12, v11, 16, 1
	v_cmp_o_f32_e32 vcc_lo, v11, v11
	v_add3_u32 v12, v11, v12, 0x7fff
	s_delay_alu instid0(VALU_DEP_1) | instskip(NEXT) | instid1(VALU_DEP_1)
	v_and_b32_e32 v12, 0xffff0000, v12
	v_cndmask_b32_e32 v11, 0x7fc00000, v12, vcc_lo
	s_waitcnt vmcnt(0)
	s_delay_alu instid0(VALU_DEP_1) | instskip(SKIP_1) | instid1(VALU_DEP_2)
	v_div_scale_f32 v12, null, v14, v14, v11
	v_div_scale_f32 v16, vcc_lo, v11, v14, v11
	v_rcp_f32_e32 v13, v12
	s_waitcnt_depctr 0xfff
	v_fma_f32 v15, -v12, v13, 1.0
	s_delay_alu instid0(VALU_DEP_1) | instskip(NEXT) | instid1(VALU_DEP_1)
	v_fmac_f32_e32 v13, v15, v13
	v_mul_f32_e32 v15, v16, v13
	s_delay_alu instid0(VALU_DEP_1) | instskip(NEXT) | instid1(VALU_DEP_1)
	v_fma_f32 v17, -v12, v15, v16
	v_fmac_f32_e32 v15, v17, v13
	s_delay_alu instid0(VALU_DEP_1) | instskip(NEXT) | instid1(VALU_DEP_1)
	v_fma_f32 v12, -v12, v15, v16
	v_div_fmas_f32 v12, v12, v13, v15
	s_delay_alu instid0(VALU_DEP_1) | instskip(SKIP_1) | instid1(VALU_DEP_2)
	v_div_fixup_f32 v11, v12, v14, v11
	v_mov_b32_e32 v12, 0x7f
	v_minmax_f32 v13, v11, s7, 0xc3e00000
	v_mov_b32_e32 v11, 0x7f
	s_delay_alu instid0(VALU_DEP_2) | instskip(NEXT) | instid1(VALU_DEP_1)
	v_and_b32_e32 v15, 0x7fffffff, v13
	v_cmpx_gt_u32_e32 0x43f00000, v15
	s_cbranch_execz .LBB84_119
; %bb.114:                              ;   in Loop: Header=BB84_63 Depth=1
	s_mov_b32 s15, exec_lo
                                        ; implicit-def: $vgpr12
	v_cmpx_lt_u32_e32 0x3c7fffff, v15
	s_xor_b32 s15, exec_lo, s15
; %bb.115:                              ;   in Loop: Header=BB84_63 Depth=1
	v_bfe_u32 v12, v13, 20, 1
	s_delay_alu instid0(VALU_DEP_1) | instskip(NEXT) | instid1(VALU_DEP_1)
	v_add3_u32 v12, v13, v12, 0x407ffff
	v_lshrrev_b32_e32 v12, 20, v12
; %bb.116:                              ;   in Loop: Header=BB84_63 Depth=1
	s_and_not1_saveexec_b32 s15, s15
; %bb.117:                              ;   in Loop: Header=BB84_63 Depth=1
	v_add_f32_e64 v12, 0x46800000, |v13|
; %bb.118:                              ;   in Loop: Header=BB84_63 Depth=1
	s_or_b32 exec_lo, exec_lo, s15
.LBB84_119:                             ;   in Loop: Header=BB84_63 Depth=1
	s_delay_alu instid0(SALU_CYCLE_1) | instskip(SKIP_3) | instid1(VALU_DEP_2)
	s_or_b32 exec_lo, exec_lo, s13
	v_and_b32_e32 v15, 0xffff0000, v5
	v_and_b32_e32 v17, 0xffff0000, v7
	s_mov_b32 s13, exec_lo
	v_mul_f32_e32 v15, v28, v15
	s_delay_alu instid0(VALU_DEP_1) | instskip(NEXT) | instid1(VALU_DEP_1)
	v_bfe_u32 v16, v15, 16, 1
	v_add3_u32 v16, v15, v16, 0x7fff
	s_delay_alu instid0(VALU_DEP_1) | instskip(SKIP_1) | instid1(VALU_DEP_2)
	v_and_b32_e32 v16, 0xffff0000, v16
	v_cmp_o_f32_e32 vcc_lo, v15, v15
	v_cndmask_b32_e32 v15, 0x7fc00000, v16, vcc_lo
	s_delay_alu instid0(VALU_DEP_1) | instskip(NEXT) | instid1(VALU_DEP_1)
	v_mul_f32_e32 v15, v15, v17
	v_bfe_u32 v16, v15, 16, 1
	s_delay_alu instid0(VALU_DEP_1) | instskip(NEXT) | instid1(VALU_DEP_1)
	v_add3_u32 v16, v15, v16, 0x7fff
	v_and_b32_e32 v16, 0xffff0000, v16
	v_cmp_o_f32_e32 vcc_lo, v15, v15
	s_delay_alu instid0(VALU_DEP_2) | instskip(NEXT) | instid1(VALU_DEP_1)
	v_cndmask_b32_e32 v15, 0x7fc00000, v16, vcc_lo
	v_div_scale_f32 v16, null, v14, v14, v15
	s_delay_alu instid0(VALU_DEP_1) | instskip(SKIP_2) | instid1(VALU_DEP_1)
	v_rcp_f32_e32 v17, v16
	s_waitcnt_depctr 0xfff
	v_fma_f32 v18, -v16, v17, 1.0
	v_fmac_f32_e32 v17, v18, v17
	v_div_scale_f32 v18, vcc_lo, v15, v14, v15
	s_delay_alu instid0(VALU_DEP_1) | instskip(NEXT) | instid1(VALU_DEP_1)
	v_mul_f32_e32 v19, v18, v17
	v_fma_f32 v20, -v16, v19, v18
	s_delay_alu instid0(VALU_DEP_1) | instskip(NEXT) | instid1(VALU_DEP_1)
	v_fmac_f32_e32 v19, v20, v17
	v_fma_f32 v16, -v16, v19, v18
	s_delay_alu instid0(VALU_DEP_1) | instskip(NEXT) | instid1(VALU_DEP_1)
	v_div_fmas_f32 v16, v16, v17, v19
	v_div_fixup_f32 v15, v16, v14, v15
	s_delay_alu instid0(VALU_DEP_1) | instskip(NEXT) | instid1(VALU_DEP_1)
	v_minmax_f32 v15, v15, s7, 0xc3e00000
	v_and_b32_e32 v16, 0x7fffffff, v15
	s_delay_alu instid0(VALU_DEP_1)
	v_cmpx_gt_u32_e32 0x43f00000, v16
	s_cbranch_execz .LBB84_125
; %bb.120:                              ;   in Loop: Header=BB84_63 Depth=1
	s_mov_b32 s15, exec_lo
                                        ; implicit-def: $vgpr11
	v_cmpx_lt_u32_e32 0x3c7fffff, v16
	s_xor_b32 s15, exec_lo, s15
; %bb.121:                              ;   in Loop: Header=BB84_63 Depth=1
	v_bfe_u32 v11, v15, 20, 1
	s_delay_alu instid0(VALU_DEP_1) | instskip(NEXT) | instid1(VALU_DEP_1)
	v_add3_u32 v11, v15, v11, 0x407ffff
	v_lshrrev_b32_e32 v11, 20, v11
; %bb.122:                              ;   in Loop: Header=BB84_63 Depth=1
	s_and_not1_saveexec_b32 s15, s15
; %bb.123:                              ;   in Loop: Header=BB84_63 Depth=1
	v_add_f32_e64 v11, 0x46800000, |v15|
; %bb.124:                              ;   in Loop: Header=BB84_63 Depth=1
	s_or_b32 exec_lo, exec_lo, s15
.LBB84_125:                             ;   in Loop: Header=BB84_63 Depth=1
	s_delay_alu instid0(SALU_CYCLE_1) | instskip(SKIP_3) | instid1(VALU_DEP_2)
	s_or_b32 exec_lo, exec_lo, s13
	v_alignbit_b32 v5, v6, v5, 16
	v_alignbit_b32 v7, v8, v7, 16
	s_mov_b32 s13, exec_lo
	v_and_b32_e32 v5, 0xffff0000, v5
	s_delay_alu instid0(VALU_DEP_2) | instskip(NEXT) | instid1(VALU_DEP_2)
	v_and_b32_e32 v7, 0xffff0000, v7
	v_mul_f32_e32 v5, v28, v5
	s_delay_alu instid0(VALU_DEP_1) | instskip(NEXT) | instid1(VALU_DEP_1)
	v_bfe_u32 v16, v5, 16, 1
	v_add3_u32 v16, v5, v16, 0x7fff
	s_delay_alu instid0(VALU_DEP_1) | instskip(SKIP_1) | instid1(VALU_DEP_2)
	v_and_b32_e32 v16, 0xffff0000, v16
	v_cmp_o_f32_e32 vcc_lo, v5, v5
	v_cndmask_b32_e32 v5, 0x7fc00000, v16, vcc_lo
	s_delay_alu instid0(VALU_DEP_1) | instskip(NEXT) | instid1(VALU_DEP_1)
	v_mul_f32_e32 v5, v5, v7
	v_bfe_u32 v7, v5, 16, 1
	v_cmp_o_f32_e32 vcc_lo, v5, v5
	s_delay_alu instid0(VALU_DEP_2) | instskip(NEXT) | instid1(VALU_DEP_1)
	v_add3_u32 v7, v5, v7, 0x7fff
	v_and_b32_e32 v7, 0xffff0000, v7
	s_delay_alu instid0(VALU_DEP_1) | instskip(NEXT) | instid1(VALU_DEP_1)
	v_cndmask_b32_e32 v5, 0x7fc00000, v7, vcc_lo
	v_div_scale_f32 v7, null, v14, v14, v5
	v_div_scale_f32 v18, vcc_lo, v5, v14, v5
	s_delay_alu instid0(VALU_DEP_2) | instskip(SKIP_2) | instid1(VALU_DEP_1)
	v_rcp_f32_e32 v16, v7
	s_waitcnt_depctr 0xfff
	v_fma_f32 v17, -v7, v16, 1.0
	v_fmac_f32_e32 v16, v17, v16
	s_delay_alu instid0(VALU_DEP_1) | instskip(NEXT) | instid1(VALU_DEP_1)
	v_mul_f32_e32 v17, v18, v16
	v_fma_f32 v19, -v7, v17, v18
	s_delay_alu instid0(VALU_DEP_1) | instskip(NEXT) | instid1(VALU_DEP_1)
	v_fmac_f32_e32 v17, v19, v16
	v_fma_f32 v7, -v7, v17, v18
	s_delay_alu instid0(VALU_DEP_1) | instskip(NEXT) | instid1(VALU_DEP_1)
	v_div_fmas_f32 v7, v7, v16, v17
	v_div_fixup_f32 v5, v7, v14, v5
	v_mov_b32_e32 v7, 0x7f
	s_delay_alu instid0(VALU_DEP_2) | instskip(SKIP_1) | instid1(VALU_DEP_2)
	v_minmax_f32 v16, v5, s7, 0xc3e00000
	v_mov_b32_e32 v5, 0x7f
	v_and_b32_e32 v17, 0x7fffffff, v16
	s_delay_alu instid0(VALU_DEP_1)
	v_cmpx_gt_u32_e32 0x43f00000, v17
	s_cbranch_execz .LBB84_131
; %bb.126:                              ;   in Loop: Header=BB84_63 Depth=1
	s_mov_b32 s15, exec_lo
                                        ; implicit-def: $vgpr7
	v_cmpx_lt_u32_e32 0x3c7fffff, v17
	s_xor_b32 s15, exec_lo, s15
; %bb.127:                              ;   in Loop: Header=BB84_63 Depth=1
	v_bfe_u32 v7, v16, 20, 1
	s_delay_alu instid0(VALU_DEP_1) | instskip(NEXT) | instid1(VALU_DEP_1)
	v_add3_u32 v7, v16, v7, 0x407ffff
	v_lshrrev_b32_e32 v7, 20, v7
; %bb.128:                              ;   in Loop: Header=BB84_63 Depth=1
	s_and_not1_saveexec_b32 s15, s15
; %bb.129:                              ;   in Loop: Header=BB84_63 Depth=1
	v_add_f32_e64 v7, 0x46800000, |v16|
; %bb.130:                              ;   in Loop: Header=BB84_63 Depth=1
	s_or_b32 exec_lo, exec_lo, s15
.LBB84_131:                             ;   in Loop: Header=BB84_63 Depth=1
	s_delay_alu instid0(SALU_CYCLE_1) | instskip(SKIP_3) | instid1(VALU_DEP_2)
	s_or_b32 exec_lo, exec_lo, s13
	v_and_b32_e32 v6, 0xffff0000, v6
	v_and_b32_e32 v8, 0xffff0000, v8
	s_mov_b32 s13, exec_lo
	v_mul_f32_e32 v6, v28, v6
	s_delay_alu instid0(VALU_DEP_1) | instskip(NEXT) | instid1(VALU_DEP_1)
	v_bfe_u32 v17, v6, 16, 1
	v_add3_u32 v17, v6, v17, 0x7fff
	s_delay_alu instid0(VALU_DEP_1) | instskip(SKIP_1) | instid1(VALU_DEP_2)
	v_and_b32_e32 v17, 0xffff0000, v17
	v_cmp_o_f32_e32 vcc_lo, v6, v6
	v_cndmask_b32_e32 v6, 0x7fc00000, v17, vcc_lo
	s_delay_alu instid0(VALU_DEP_1) | instskip(NEXT) | instid1(VALU_DEP_1)
	v_mul_f32_e32 v6, v6, v8
	v_bfe_u32 v8, v6, 16, 1
	v_cmp_o_f32_e32 vcc_lo, v6, v6
	s_delay_alu instid0(VALU_DEP_2) | instskip(NEXT) | instid1(VALU_DEP_1)
	v_add3_u32 v8, v6, v8, 0x7fff
	v_and_b32_e32 v8, 0xffff0000, v8
	s_delay_alu instid0(VALU_DEP_1) | instskip(NEXT) | instid1(VALU_DEP_1)
	v_cndmask_b32_e32 v6, 0x7fc00000, v8, vcc_lo
	v_div_scale_f32 v8, null, v14, v14, v6
	s_delay_alu instid0(VALU_DEP_1) | instskip(SKIP_2) | instid1(VALU_DEP_1)
	v_rcp_f32_e32 v17, v8
	s_waitcnt_depctr 0xfff
	v_fma_f32 v18, -v8, v17, 1.0
	v_fmac_f32_e32 v17, v18, v17
	v_div_scale_f32 v18, vcc_lo, v6, v14, v6
	s_delay_alu instid0(VALU_DEP_1) | instskip(NEXT) | instid1(VALU_DEP_1)
	v_mul_f32_e32 v19, v18, v17
	v_fma_f32 v20, -v8, v19, v18
	s_delay_alu instid0(VALU_DEP_1) | instskip(NEXT) | instid1(VALU_DEP_1)
	v_fmac_f32_e32 v19, v20, v17
	v_fma_f32 v8, -v8, v19, v18
	s_delay_alu instid0(VALU_DEP_1) | instskip(NEXT) | instid1(VALU_DEP_1)
	v_div_fmas_f32 v8, v8, v17, v19
	v_div_fixup_f32 v6, v8, v14, v6
	s_delay_alu instid0(VALU_DEP_1) | instskip(NEXT) | instid1(VALU_DEP_1)
	v_minmax_f32 v6, v6, s7, 0xc3e00000
	v_and_b32_e32 v8, 0x7fffffff, v6
	s_delay_alu instid0(VALU_DEP_1)
	v_cmpx_gt_u32_e32 0x43f00000, v8
	s_cbranch_execz .LBB84_137
; %bb.132:                              ;   in Loop: Header=BB84_63 Depth=1
	s_mov_b32 s15, exec_lo
                                        ; implicit-def: $vgpr5
	v_cmpx_lt_u32_e32 0x3c7fffff, v8
	s_xor_b32 s15, exec_lo, s15
; %bb.133:                              ;   in Loop: Header=BB84_63 Depth=1
	v_bfe_u32 v5, v6, 20, 1
	s_delay_alu instid0(VALU_DEP_1) | instskip(NEXT) | instid1(VALU_DEP_1)
	v_add3_u32 v5, v6, v5, 0x407ffff
	v_lshrrev_b32_e32 v5, 20, v5
; %bb.134:                              ;   in Loop: Header=BB84_63 Depth=1
	s_and_not1_saveexec_b32 s15, s15
; %bb.135:                              ;   in Loop: Header=BB84_63 Depth=1
	v_add_f32_e64 v5, 0x46800000, |v6|
; %bb.136:                              ;   in Loop: Header=BB84_63 Depth=1
	s_or_b32 exec_lo, exec_lo, s15
.LBB84_137:                             ;   in Loop: Header=BB84_63 Depth=1
	s_delay_alu instid0(SALU_CYCLE_1)
	s_or_b32 exec_lo, exec_lo, s13
	v_lshrrev_b32_e32 v8, 24, v16
	v_lshrrev_b32_e32 v14, 24, v15
	;; [unrolled: 1-line block ×3, first 2 shown]
	v_lshlrev_b32_e32 v5, 24, v5
	v_and_b32_e32 v6, 0x80000000, v6
	v_and_b32_e32 v8, 0x80, v8
	;; [unrolled: 1-line block ×3, first 2 shown]
	v_lshlrev_b64 v[3:4], 2, v[3:4]
	v_add_nc_u32_e32 v0, s2, v0
	s_mov_b32 s15, -1
	v_and_or_b32 v7, 0xff, v7, v8
	v_and_b32_e32 v8, 0xff, v12
	v_and_or_b32 v11, 0xff, v11, v14
	v_add_co_u32 v3, vcc_lo, s0, v3
	s_delay_alu instid0(VALU_DEP_4) | instskip(NEXT) | instid1(VALU_DEP_4)
	v_lshlrev_b32_e32 v7, 16, v7
	v_and_or_b32 v8, 0x80, v13, v8
	s_delay_alu instid0(VALU_DEP_4) | instskip(SKIP_1) | instid1(VALU_DEP_4)
	v_lshlrev_b32_e32 v11, 8, v11
	v_add_co_ci_u32_e32 v4, vcc_lo, s1, v4, vcc_lo
	v_or3_b32 v5, v6, v5, v7
	s_mov_b32 s13, exec_lo
	s_delay_alu instid0(VALU_DEP_1)
	v_or3_b32 v5, v5, v11, v8
	global_store_b32 v[3:4], v5, off
	v_cmpx_gt_u32_e64 s14, v0
	s_cbranch_execz .LBB84_60
; %bb.138:                              ;   in Loop: Header=BB84_63 Depth=1
	v_lshlrev_b64 v[5:6], 3, v[0:1]
	v_bfe_u32 v13, v0, 4, 26
	s_mov_b32 s15, exec_lo
	s_delay_alu instid0(VALU_DEP_1) | instskip(NEXT) | instid1(VALU_DEP_3)
	v_mad_u64_u32 v[7:8], null, v9, v13, 0
	v_add_co_u32 v3, vcc_lo, s26, v5
	s_delay_alu instid0(VALU_DEP_4)
	v_add_co_ci_u32_e32 v4, vcc_lo, s27, v6, vcc_lo
	v_add_co_u32 v5, vcc_lo, s10, v5
	v_add_co_ci_u32_e32 v6, vcc_lo, s11, v6, vcc_lo
	global_load_b64 v[3:4], v[3:4], off
	v_mad_u64_u32 v[11:12], null, v10, v13, v[8:9]
	global_load_b64 v[5:6], v[5:6], off
	v_mov_b32_e32 v8, v11
	s_delay_alu instid0(VALU_DEP_1) | instskip(NEXT) | instid1(VALU_DEP_1)
	v_lshlrev_b64 v[7:8], 2, v[7:8]
	v_add_co_u32 v7, vcc_lo, s4, v7
	s_delay_alu instid0(VALU_DEP_2)
	v_add_co_ci_u32_e32 v8, vcc_lo, s5, v8, vcc_lo
	global_load_b32 v12, v[7:8], off
	s_waitcnt vmcnt(2)
	v_lshlrev_b32_e32 v7, 16, v3
	s_waitcnt vmcnt(1)
	v_lshlrev_b32_e32 v11, 16, v5
	s_delay_alu instid0(VALU_DEP_2) | instskip(NEXT) | instid1(VALU_DEP_1)
	v_mul_f32_e32 v7, v28, v7
	v_bfe_u32 v8, v7, 16, 1
	s_delay_alu instid0(VALU_DEP_1) | instskip(NEXT) | instid1(VALU_DEP_1)
	v_add3_u32 v8, v7, v8, 0x7fff
	v_and_b32_e32 v8, 0xffff0000, v8
	v_cmp_o_f32_e32 vcc_lo, v7, v7
	s_delay_alu instid0(VALU_DEP_2) | instskip(NEXT) | instid1(VALU_DEP_1)
	v_cndmask_b32_e32 v7, 0x7fc00000, v8, vcc_lo
	v_mul_f32_e32 v7, v7, v11
	s_delay_alu instid0(VALU_DEP_1) | instskip(NEXT) | instid1(VALU_DEP_1)
	v_bfe_u32 v8, v7, 16, 1
	v_add3_u32 v8, v7, v8, 0x7fff
	s_delay_alu instid0(VALU_DEP_1) | instskip(SKIP_1) | instid1(VALU_DEP_2)
	v_and_b32_e32 v8, 0xffff0000, v8
	v_cmp_o_f32_e32 vcc_lo, v7, v7
	v_cndmask_b32_e32 v7, 0x7fc00000, v8, vcc_lo
	s_waitcnt vmcnt(0)
	s_delay_alu instid0(VALU_DEP_1) | instskip(SKIP_1) | instid1(VALU_DEP_2)
	v_div_scale_f32 v8, null, v12, v12, v7
	v_div_scale_f32 v14, vcc_lo, v7, v12, v7
	v_rcp_f32_e32 v11, v8
	s_waitcnt_depctr 0xfff
	v_fma_f32 v13, -v8, v11, 1.0
	s_delay_alu instid0(VALU_DEP_1) | instskip(NEXT) | instid1(VALU_DEP_1)
	v_fmac_f32_e32 v11, v13, v11
	v_mul_f32_e32 v13, v14, v11
	s_delay_alu instid0(VALU_DEP_1) | instskip(NEXT) | instid1(VALU_DEP_1)
	v_fma_f32 v15, -v8, v13, v14
	v_fmac_f32_e32 v13, v15, v11
	s_delay_alu instid0(VALU_DEP_1) | instskip(NEXT) | instid1(VALU_DEP_1)
	v_fma_f32 v8, -v8, v13, v14
	v_div_fmas_f32 v8, v8, v11, v13
	s_delay_alu instid0(VALU_DEP_1) | instskip(SKIP_1) | instid1(VALU_DEP_2)
	v_div_fixup_f32 v7, v8, v12, v7
	v_mov_b32_e32 v8, 0x7f
	v_minmax_f32 v11, v7, s7, 0xc3e00000
	v_mov_b32_e32 v7, 0x7f
	s_delay_alu instid0(VALU_DEP_2) | instskip(NEXT) | instid1(VALU_DEP_1)
	v_and_b32_e32 v13, 0x7fffffff, v11
	v_cmpx_gt_u32_e32 0x43f00000, v13
	s_cbranch_execz .LBB84_144
; %bb.139:                              ;   in Loop: Header=BB84_63 Depth=1
	s_mov_b32 s16, exec_lo
                                        ; implicit-def: $vgpr8
	v_cmpx_lt_u32_e32 0x3c7fffff, v13
	s_xor_b32 s16, exec_lo, s16
; %bb.140:                              ;   in Loop: Header=BB84_63 Depth=1
	v_bfe_u32 v8, v11, 20, 1
	s_delay_alu instid0(VALU_DEP_1) | instskip(NEXT) | instid1(VALU_DEP_1)
	v_add3_u32 v8, v11, v8, 0x407ffff
	v_lshrrev_b32_e32 v8, 20, v8
; %bb.141:                              ;   in Loop: Header=BB84_63 Depth=1
	s_and_not1_saveexec_b32 s16, s16
; %bb.142:                              ;   in Loop: Header=BB84_63 Depth=1
	v_add_f32_e64 v8, 0x46800000, |v11|
; %bb.143:                              ;   in Loop: Header=BB84_63 Depth=1
	s_or_b32 exec_lo, exec_lo, s16
.LBB84_144:                             ;   in Loop: Header=BB84_63 Depth=1
	s_delay_alu instid0(SALU_CYCLE_1) | instskip(SKIP_3) | instid1(VALU_DEP_2)
	s_or_b32 exec_lo, exec_lo, s15
	v_and_b32_e32 v13, 0xffff0000, v3
	v_and_b32_e32 v15, 0xffff0000, v5
	s_mov_b32 s15, exec_lo
	v_mul_f32_e32 v13, v28, v13
	s_delay_alu instid0(VALU_DEP_1) | instskip(NEXT) | instid1(VALU_DEP_1)
	v_bfe_u32 v14, v13, 16, 1
	v_add3_u32 v14, v13, v14, 0x7fff
	s_delay_alu instid0(VALU_DEP_1) | instskip(SKIP_1) | instid1(VALU_DEP_2)
	v_and_b32_e32 v14, 0xffff0000, v14
	v_cmp_o_f32_e32 vcc_lo, v13, v13
	v_cndmask_b32_e32 v13, 0x7fc00000, v14, vcc_lo
	s_delay_alu instid0(VALU_DEP_1) | instskip(NEXT) | instid1(VALU_DEP_1)
	v_mul_f32_e32 v13, v13, v15
	v_bfe_u32 v14, v13, 16, 1
	s_delay_alu instid0(VALU_DEP_1) | instskip(NEXT) | instid1(VALU_DEP_1)
	v_add3_u32 v14, v13, v14, 0x7fff
	v_and_b32_e32 v14, 0xffff0000, v14
	v_cmp_o_f32_e32 vcc_lo, v13, v13
	s_delay_alu instid0(VALU_DEP_2) | instskip(NEXT) | instid1(VALU_DEP_1)
	v_cndmask_b32_e32 v13, 0x7fc00000, v14, vcc_lo
	v_div_scale_f32 v14, null, v12, v12, v13
	s_delay_alu instid0(VALU_DEP_1) | instskip(SKIP_2) | instid1(VALU_DEP_1)
	v_rcp_f32_e32 v15, v14
	s_waitcnt_depctr 0xfff
	v_fma_f32 v16, -v14, v15, 1.0
	v_fmac_f32_e32 v15, v16, v15
	v_div_scale_f32 v16, vcc_lo, v13, v12, v13
	s_delay_alu instid0(VALU_DEP_1) | instskip(NEXT) | instid1(VALU_DEP_1)
	v_mul_f32_e32 v17, v16, v15
	v_fma_f32 v18, -v14, v17, v16
	s_delay_alu instid0(VALU_DEP_1) | instskip(NEXT) | instid1(VALU_DEP_1)
	v_fmac_f32_e32 v17, v18, v15
	v_fma_f32 v14, -v14, v17, v16
	s_delay_alu instid0(VALU_DEP_1) | instskip(NEXT) | instid1(VALU_DEP_1)
	v_div_fmas_f32 v14, v14, v15, v17
	v_div_fixup_f32 v13, v14, v12, v13
	s_delay_alu instid0(VALU_DEP_1) | instskip(NEXT) | instid1(VALU_DEP_1)
	v_minmax_f32 v13, v13, s7, 0xc3e00000
	v_and_b32_e32 v14, 0x7fffffff, v13
	s_delay_alu instid0(VALU_DEP_1)
	v_cmpx_gt_u32_e32 0x43f00000, v14
	s_cbranch_execz .LBB84_150
; %bb.145:                              ;   in Loop: Header=BB84_63 Depth=1
	s_mov_b32 s16, exec_lo
                                        ; implicit-def: $vgpr7
	v_cmpx_lt_u32_e32 0x3c7fffff, v14
	s_xor_b32 s16, exec_lo, s16
; %bb.146:                              ;   in Loop: Header=BB84_63 Depth=1
	v_bfe_u32 v7, v13, 20, 1
	s_delay_alu instid0(VALU_DEP_1) | instskip(NEXT) | instid1(VALU_DEP_1)
	v_add3_u32 v7, v13, v7, 0x407ffff
	v_lshrrev_b32_e32 v7, 20, v7
; %bb.147:                              ;   in Loop: Header=BB84_63 Depth=1
	s_and_not1_saveexec_b32 s16, s16
; %bb.148:                              ;   in Loop: Header=BB84_63 Depth=1
	v_add_f32_e64 v7, 0x46800000, |v13|
; %bb.149:                              ;   in Loop: Header=BB84_63 Depth=1
	s_or_b32 exec_lo, exec_lo, s16
.LBB84_150:                             ;   in Loop: Header=BB84_63 Depth=1
	s_delay_alu instid0(SALU_CYCLE_1) | instskip(SKIP_3) | instid1(VALU_DEP_2)
	s_or_b32 exec_lo, exec_lo, s15
	v_alignbit_b32 v3, v4, v3, 16
	v_alignbit_b32 v5, v6, v5, 16
	s_mov_b32 s15, exec_lo
	v_and_b32_e32 v3, 0xffff0000, v3
	s_delay_alu instid0(VALU_DEP_2) | instskip(NEXT) | instid1(VALU_DEP_2)
	v_and_b32_e32 v5, 0xffff0000, v5
	v_mul_f32_e32 v3, v28, v3
	s_delay_alu instid0(VALU_DEP_1) | instskip(NEXT) | instid1(VALU_DEP_1)
	v_bfe_u32 v14, v3, 16, 1
	v_add3_u32 v14, v3, v14, 0x7fff
	s_delay_alu instid0(VALU_DEP_1) | instskip(SKIP_1) | instid1(VALU_DEP_2)
	v_and_b32_e32 v14, 0xffff0000, v14
	v_cmp_o_f32_e32 vcc_lo, v3, v3
	v_cndmask_b32_e32 v3, 0x7fc00000, v14, vcc_lo
	s_delay_alu instid0(VALU_DEP_1) | instskip(NEXT) | instid1(VALU_DEP_1)
	v_mul_f32_e32 v3, v3, v5
	v_bfe_u32 v5, v3, 16, 1
	v_cmp_o_f32_e32 vcc_lo, v3, v3
	s_delay_alu instid0(VALU_DEP_2) | instskip(NEXT) | instid1(VALU_DEP_1)
	v_add3_u32 v5, v3, v5, 0x7fff
	v_and_b32_e32 v5, 0xffff0000, v5
	s_delay_alu instid0(VALU_DEP_1) | instskip(NEXT) | instid1(VALU_DEP_1)
	v_cndmask_b32_e32 v3, 0x7fc00000, v5, vcc_lo
	v_div_scale_f32 v5, null, v12, v12, v3
	v_div_scale_f32 v16, vcc_lo, v3, v12, v3
	s_delay_alu instid0(VALU_DEP_2) | instskip(SKIP_2) | instid1(VALU_DEP_1)
	v_rcp_f32_e32 v14, v5
	s_waitcnt_depctr 0xfff
	v_fma_f32 v15, -v5, v14, 1.0
	v_fmac_f32_e32 v14, v15, v14
	s_delay_alu instid0(VALU_DEP_1) | instskip(NEXT) | instid1(VALU_DEP_1)
	v_mul_f32_e32 v15, v16, v14
	v_fma_f32 v17, -v5, v15, v16
	s_delay_alu instid0(VALU_DEP_1) | instskip(NEXT) | instid1(VALU_DEP_1)
	v_fmac_f32_e32 v15, v17, v14
	v_fma_f32 v5, -v5, v15, v16
	s_delay_alu instid0(VALU_DEP_1) | instskip(NEXT) | instid1(VALU_DEP_1)
	v_div_fmas_f32 v5, v5, v14, v15
	v_div_fixup_f32 v3, v5, v12, v3
	v_mov_b32_e32 v5, 0x7f
	s_delay_alu instid0(VALU_DEP_2) | instskip(SKIP_1) | instid1(VALU_DEP_2)
	v_minmax_f32 v14, v3, s7, 0xc3e00000
	v_mov_b32_e32 v3, 0x7f
	v_and_b32_e32 v15, 0x7fffffff, v14
	s_delay_alu instid0(VALU_DEP_1)
	v_cmpx_gt_u32_e32 0x43f00000, v15
	s_cbranch_execz .LBB84_156
; %bb.151:                              ;   in Loop: Header=BB84_63 Depth=1
	s_mov_b32 s16, exec_lo
                                        ; implicit-def: $vgpr5
	v_cmpx_lt_u32_e32 0x3c7fffff, v15
	s_xor_b32 s16, exec_lo, s16
; %bb.152:                              ;   in Loop: Header=BB84_63 Depth=1
	v_bfe_u32 v5, v14, 20, 1
	s_delay_alu instid0(VALU_DEP_1) | instskip(NEXT) | instid1(VALU_DEP_1)
	v_add3_u32 v5, v14, v5, 0x407ffff
	v_lshrrev_b32_e32 v5, 20, v5
; %bb.153:                              ;   in Loop: Header=BB84_63 Depth=1
	s_and_not1_saveexec_b32 s16, s16
; %bb.154:                              ;   in Loop: Header=BB84_63 Depth=1
	v_add_f32_e64 v5, 0x46800000, |v14|
; %bb.155:                              ;   in Loop: Header=BB84_63 Depth=1
	s_or_b32 exec_lo, exec_lo, s16
.LBB84_156:                             ;   in Loop: Header=BB84_63 Depth=1
	s_delay_alu instid0(SALU_CYCLE_1) | instskip(SKIP_3) | instid1(VALU_DEP_2)
	s_or_b32 exec_lo, exec_lo, s15
	v_and_b32_e32 v4, 0xffff0000, v4
	v_and_b32_e32 v6, 0xffff0000, v6
	s_mov_b32 s15, exec_lo
	v_mul_f32_e32 v4, v28, v4
	s_delay_alu instid0(VALU_DEP_1) | instskip(NEXT) | instid1(VALU_DEP_1)
	v_bfe_u32 v15, v4, 16, 1
	v_add3_u32 v15, v4, v15, 0x7fff
	s_delay_alu instid0(VALU_DEP_1) | instskip(SKIP_1) | instid1(VALU_DEP_2)
	v_and_b32_e32 v15, 0xffff0000, v15
	v_cmp_o_f32_e32 vcc_lo, v4, v4
	v_cndmask_b32_e32 v4, 0x7fc00000, v15, vcc_lo
	s_delay_alu instid0(VALU_DEP_1) | instskip(NEXT) | instid1(VALU_DEP_1)
	v_mul_f32_e32 v4, v4, v6
	v_bfe_u32 v6, v4, 16, 1
	v_cmp_o_f32_e32 vcc_lo, v4, v4
	s_delay_alu instid0(VALU_DEP_2) | instskip(NEXT) | instid1(VALU_DEP_1)
	v_add3_u32 v6, v4, v6, 0x7fff
	v_and_b32_e32 v6, 0xffff0000, v6
	s_delay_alu instid0(VALU_DEP_1) | instskip(NEXT) | instid1(VALU_DEP_1)
	v_cndmask_b32_e32 v4, 0x7fc00000, v6, vcc_lo
	v_div_scale_f32 v6, null, v12, v12, v4
	s_delay_alu instid0(VALU_DEP_1) | instskip(SKIP_2) | instid1(VALU_DEP_1)
	v_rcp_f32_e32 v15, v6
	s_waitcnt_depctr 0xfff
	v_fma_f32 v16, -v6, v15, 1.0
	v_fmac_f32_e32 v15, v16, v15
	v_div_scale_f32 v16, vcc_lo, v4, v12, v4
	s_delay_alu instid0(VALU_DEP_1) | instskip(NEXT) | instid1(VALU_DEP_1)
	v_mul_f32_e32 v17, v16, v15
	v_fma_f32 v18, -v6, v17, v16
	s_delay_alu instid0(VALU_DEP_1) | instskip(NEXT) | instid1(VALU_DEP_1)
	v_fmac_f32_e32 v17, v18, v15
	v_fma_f32 v6, -v6, v17, v16
	s_delay_alu instid0(VALU_DEP_1) | instskip(NEXT) | instid1(VALU_DEP_1)
	v_div_fmas_f32 v6, v6, v15, v17
	v_div_fixup_f32 v4, v6, v12, v4
	s_delay_alu instid0(VALU_DEP_1) | instskip(NEXT) | instid1(VALU_DEP_1)
	v_minmax_f32 v4, v4, s7, 0xc3e00000
	v_and_b32_e32 v6, 0x7fffffff, v4
	s_delay_alu instid0(VALU_DEP_1)
	v_cmpx_gt_u32_e32 0x43f00000, v6
	s_cbranch_execz .LBB84_59
; %bb.157:                              ;   in Loop: Header=BB84_63 Depth=1
	s_mov_b32 s16, exec_lo
                                        ; implicit-def: $vgpr3
	v_cmpx_lt_u32_e32 0x3c7fffff, v6
	s_xor_b32 s16, exec_lo, s16
; %bb.158:                              ;   in Loop: Header=BB84_63 Depth=1
	v_bfe_u32 v3, v4, 20, 1
	s_delay_alu instid0(VALU_DEP_1) | instskip(NEXT) | instid1(VALU_DEP_1)
	v_add3_u32 v3, v4, v3, 0x407ffff
	v_lshrrev_b32_e32 v3, 20, v3
; %bb.159:                              ;   in Loop: Header=BB84_63 Depth=1
	s_and_not1_saveexec_b32 s16, s16
	s_cbranch_execz .LBB84_58
; %bb.160:                              ;   in Loop: Header=BB84_63 Depth=1
	v_add_f32_e64 v3, 0x46800000, |v4|
	s_branch .LBB84_58
.LBB84_161:
	s_nop 0
	s_sendmsg sendmsg(MSG_DEALLOC_VGPRS)
	s_endpgm
.LBB84_162:
                                        ; implicit-def: $vgpr3_vgpr4
	s_branch .LBB84_51
.LBB84_163:
                                        ; implicit-def: $vgpr1_vgpr2
	s_branch .LBB84_56
	.section	.rodata,"a",@progbits
	.p2align	6, 0x0
	.amdhsa_kernel _ZN4vllm31rms_norm_per_block_quant_kernelIN3c108BFloat16ENS1_13Float8_e4m3fnELb0ELb1ELi64EEEvPT0_PfPKT_S9_PKffiiPS7_l
		.amdhsa_group_segment_fixed_size 4228
		.amdhsa_private_segment_fixed_size 0
		.amdhsa_kernarg_size 328
		.amdhsa_user_sgpr_count 15
		.amdhsa_user_sgpr_dispatch_ptr 0
		.amdhsa_user_sgpr_queue_ptr 0
		.amdhsa_user_sgpr_kernarg_segment_ptr 1
		.amdhsa_user_sgpr_dispatch_id 0
		.amdhsa_user_sgpr_private_segment_size 0
		.amdhsa_wavefront_size32 1
		.amdhsa_uses_dynamic_stack 0
		.amdhsa_enable_private_segment 0
		.amdhsa_system_sgpr_workgroup_id_x 1
		.amdhsa_system_sgpr_workgroup_id_y 0
		.amdhsa_system_sgpr_workgroup_id_z 0
		.amdhsa_system_sgpr_workgroup_info 0
		.amdhsa_system_vgpr_workitem_id 0
		.amdhsa_next_free_vgpr 46
		.amdhsa_next_free_sgpr 36
		.amdhsa_reserve_vcc 1
		.amdhsa_float_round_mode_32 0
		.amdhsa_float_round_mode_16_64 0
		.amdhsa_float_denorm_mode_32 3
		.amdhsa_float_denorm_mode_16_64 3
		.amdhsa_dx10_clamp 1
		.amdhsa_ieee_mode 1
		.amdhsa_fp16_overflow 0
		.amdhsa_workgroup_processor_mode 1
		.amdhsa_memory_ordered 1
		.amdhsa_forward_progress 0
		.amdhsa_shared_vgpr_count 0
		.amdhsa_exception_fp_ieee_invalid_op 0
		.amdhsa_exception_fp_denorm_src 0
		.amdhsa_exception_fp_ieee_div_zero 0
		.amdhsa_exception_fp_ieee_overflow 0
		.amdhsa_exception_fp_ieee_underflow 0
		.amdhsa_exception_fp_ieee_inexact 0
		.amdhsa_exception_int_div_zero 0
	.end_amdhsa_kernel
	.section	.text._ZN4vllm31rms_norm_per_block_quant_kernelIN3c108BFloat16ENS1_13Float8_e4m3fnELb0ELb1ELi64EEEvPT0_PfPKT_S9_PKffiiPS7_l,"axG",@progbits,_ZN4vllm31rms_norm_per_block_quant_kernelIN3c108BFloat16ENS1_13Float8_e4m3fnELb0ELb1ELi64EEEvPT0_PfPKT_S9_PKffiiPS7_l,comdat
.Lfunc_end84:
	.size	_ZN4vllm31rms_norm_per_block_quant_kernelIN3c108BFloat16ENS1_13Float8_e4m3fnELb0ELb1ELi64EEEvPT0_PfPKT_S9_PKffiiPS7_l, .Lfunc_end84-_ZN4vllm31rms_norm_per_block_quant_kernelIN3c108BFloat16ENS1_13Float8_e4m3fnELb0ELb1ELi64EEEvPT0_PfPKT_S9_PKffiiPS7_l
                                        ; -- End function
	.section	.AMDGPU.csdata,"",@progbits
; Kernel info:
; codeLenInByte = 14736
; NumSgprs: 38
; NumVgprs: 46
; ScratchSize: 0
; MemoryBound: 0
; FloatMode: 240
; IeeeMode: 1
; LDSByteSize: 4228 bytes/workgroup (compile time only)
; SGPRBlocks: 4
; VGPRBlocks: 5
; NumSGPRsForWavesPerEU: 38
; NumVGPRsForWavesPerEU: 46
; Occupancy: 16
; WaveLimiterHint : 0
; COMPUTE_PGM_RSRC2:SCRATCH_EN: 0
; COMPUTE_PGM_RSRC2:USER_SGPR: 15
; COMPUTE_PGM_RSRC2:TRAP_HANDLER: 0
; COMPUTE_PGM_RSRC2:TGID_X_EN: 1
; COMPUTE_PGM_RSRC2:TGID_Y_EN: 0
; COMPUTE_PGM_RSRC2:TGID_Z_EN: 0
; COMPUTE_PGM_RSRC2:TIDIG_COMP_CNT: 0
	.section	.text._ZN4vllm31rms_norm_per_block_quant_kernelIN3c108BFloat16ENS1_15Float8_e4m3fnuzELb0ELb1ELi64EEEvPT0_PfPKT_S9_PKffiiPS7_l,"axG",@progbits,_ZN4vllm31rms_norm_per_block_quant_kernelIN3c108BFloat16ENS1_15Float8_e4m3fnuzELb0ELb1ELi64EEEvPT0_PfPKT_S9_PKffiiPS7_l,comdat
	.protected	_ZN4vllm31rms_norm_per_block_quant_kernelIN3c108BFloat16ENS1_15Float8_e4m3fnuzELb0ELb1ELi64EEEvPT0_PfPKT_S9_PKffiiPS7_l ; -- Begin function _ZN4vllm31rms_norm_per_block_quant_kernelIN3c108BFloat16ENS1_15Float8_e4m3fnuzELb0ELb1ELi64EEEvPT0_PfPKT_S9_PKffiiPS7_l
	.globl	_ZN4vllm31rms_norm_per_block_quant_kernelIN3c108BFloat16ENS1_15Float8_e4m3fnuzELb0ELb1ELi64EEEvPT0_PfPKT_S9_PKffiiPS7_l
	.p2align	8
	.type	_ZN4vllm31rms_norm_per_block_quant_kernelIN3c108BFloat16ENS1_15Float8_e4m3fnuzELb0ELb1ELi64EEEvPT0_PfPKT_S9_PKffiiPS7_l,@function
_ZN4vllm31rms_norm_per_block_quant_kernelIN3c108BFloat16ENS1_15Float8_e4m3fnuzELb0ELb1ELi64EEEvPT0_PfPKT_S9_PKffiiPS7_l: ; @_ZN4vllm31rms_norm_per_block_quant_kernelIN3c108BFloat16ENS1_15Float8_e4m3fnuzELb0ELb1ELi64EEEvPT0_PfPKT_S9_PKffiiPS7_l
; %bb.0:
	s_mov_b32 s16, s15
	s_clause 0x2
	s_load_b128 s[12:15], s[0:1], 0x28
	s_load_b256 s[4:11], s[0:1], 0x0
	s_load_b32 s29, s[0:1], 0x48
	v_mov_b32_e32 v6, 0
	s_mov_b32 s17, 0
	s_waitcnt lgkmcnt(0)
	s_ashr_i32 s2, s14, 31
	s_mul_hi_u32 s3, s14, s16
	s_mul_i32 s15, s2, s16
	s_mul_i32 s2, s14, s16
	s_add_i32 s3, s3, s15
	s_mov_b32 s18, s13
	s_lshl_b64 s[22:23], s[2:3], 1
	s_delay_alu instid0(SALU_CYCLE_1)
	s_add_u32 s26, s8, s22
	s_addc_u32 s27, s9, s23
	s_ashr_i32 s14, s13, 2
	s_add_u32 s20, s0, 0x48
	v_cmp_gt_u32_e64 s2, s14, v0
	s_addc_u32 s21, s1, 0
	s_delay_alu instid0(VALU_DEP_1)
	s_and_saveexec_b32 s3, s2
	s_cbranch_execz .LBB85_10
; %bb.1:
	s_cmp_lt_u32 s16, s29
	v_mov_b32_e32 v2, 0
	s_cselect_b32 s15, 12, 18
                                        ; implicit-def: $sgpr19
	v_mov_b32_e32 v1, v0
	s_add_u32 s24, s20, s15
	s_addc_u32 s25, s21, 0
	s_mov_b32 s15, s17
	global_load_u16 v7, v2, s[24:25]
	s_waitcnt vmcnt(0)
	v_lshlrev_b32_e32 v9, 1, v7
	v_mul_lo_u32 v8, v7, 3
	v_add_nc_u32_e32 v10, v7, v7
	v_mov_b32_e32 v6, v2
	s_branch .LBB85_5
.LBB85_2:                               ;   in Loop: Header=BB85_5 Depth=1
	s_or_b32 exec_lo, exec_lo, s28
	s_delay_alu instid0(SALU_CYCLE_1)
	s_or_not1_b32 s28, s30, exec_lo
.LBB85_3:                               ;   in Loop: Header=BB85_5 Depth=1
	s_or_b32 exec_lo, exec_lo, s25
	s_delay_alu instid0(SALU_CYCLE_1) | instskip(SKIP_1) | instid1(SALU_CYCLE_1)
	s_and_not1_b32 s19, s19, exec_lo
	s_and_b32 s25, s28, exec_lo
	s_or_b32 s19, s19, s25
.LBB85_4:                               ;   in Loop: Header=BB85_5 Depth=1
	s_or_b32 exec_lo, exec_lo, s24
	s_delay_alu instid0(SALU_CYCLE_1) | instskip(NEXT) | instid1(SALU_CYCLE_1)
	s_and_b32 s24, exec_lo, s19
	s_or_b32 s15, s24, s15
	s_delay_alu instid0(SALU_CYCLE_1)
	s_and_not1_b32 exec_lo, exec_lo, s15
	s_cbranch_execz .LBB85_9
.LBB85_5:                               ; =>This Inner Loop Header: Depth=1
	v_lshlrev_b64 v[3:4], 3, v[1:2]
	s_or_b32 s19, s19, exec_lo
	s_mov_b32 s24, exec_lo
	s_delay_alu instid0(VALU_DEP_1) | instskip(NEXT) | instid1(VALU_DEP_2)
	v_add_co_u32 v3, vcc_lo, s26, v3
	v_add_co_ci_u32_e32 v4, vcc_lo, s27, v4, vcc_lo
	global_load_b64 v[3:4], v[3:4], off
	s_waitcnt vmcnt(0)
	v_lshlrev_b32_e32 v5, 16, v3
	v_and_b32_e32 v11, 0xffff0000, v3
	v_alignbit_b32 v3, v4, v3, 16
	v_and_b32_e32 v4, 0xffff0000, v4
	s_delay_alu instid0(VALU_DEP_2) | instskip(NEXT) | instid1(VALU_DEP_1)
	v_dual_fmac_f32 v6, v5, v5 :: v_dual_and_b32 v3, 0xffff0000, v3
	v_fmac_f32_e32 v6, v11, v11
	s_delay_alu instid0(VALU_DEP_1) | instskip(NEXT) | instid1(VALU_DEP_1)
	v_fmac_f32_e32 v6, v3, v3
	v_dual_fmac_f32 v6, v4, v4 :: v_dual_add_nc_u32 v3, v1, v7
	s_delay_alu instid0(VALU_DEP_1)
	v_cmpx_gt_u32_e64 s14, v3
	s_cbranch_execz .LBB85_4
; %bb.6:                                ;   in Loop: Header=BB85_5 Depth=1
	v_mov_b32_e32 v4, v2
	s_mov_b32 s28, -1
	s_mov_b32 s25, exec_lo
	s_delay_alu instid0(VALU_DEP_1) | instskip(NEXT) | instid1(VALU_DEP_1)
	v_lshlrev_b64 v[4:5], 3, v[3:4]
	v_add_co_u32 v4, vcc_lo, s26, v4
	s_delay_alu instid0(VALU_DEP_2)
	v_add_co_ci_u32_e32 v5, vcc_lo, s27, v5, vcc_lo
	global_load_b64 v[4:5], v[4:5], off
	s_waitcnt vmcnt(0)
	v_lshlrev_b32_e32 v11, 16, v4
	v_and_b32_e32 v12, 0xffff0000, v4
	v_alignbit_b32 v4, v5, v4, 16
	s_delay_alu instid0(VALU_DEP_3) | instskip(NEXT) | instid1(VALU_DEP_2)
	v_dual_fmac_f32 v6, v11, v11 :: v_dual_and_b32 v5, 0xffff0000, v5
	v_and_b32_e32 v4, 0xffff0000, v4
	s_delay_alu instid0(VALU_DEP_2) | instskip(NEXT) | instid1(VALU_DEP_1)
	v_fmac_f32_e32 v6, v12, v12
	v_fmac_f32_e32 v6, v4, v4
	v_add_nc_u32_e32 v4, v9, v1
	s_delay_alu instid0(VALU_DEP_2) | instskip(NEXT) | instid1(VALU_DEP_2)
	v_fmac_f32_e32 v6, v5, v5
	v_cmpx_gt_u32_e64 s14, v4
	s_cbranch_execz .LBB85_3
; %bb.7:                                ;   in Loop: Header=BB85_5 Depth=1
	v_mov_b32_e32 v5, v2
	v_add_nc_u32_e32 v1, v8, v1
	s_mov_b32 s30, -1
	s_mov_b32 s28, exec_lo
	s_delay_alu instid0(VALU_DEP_2) | instskip(NEXT) | instid1(VALU_DEP_1)
	v_lshlrev_b64 v[4:5], 3, v[4:5]
	v_add_co_u32 v4, vcc_lo, s26, v4
	s_delay_alu instid0(VALU_DEP_2)
	v_add_co_ci_u32_e32 v5, vcc_lo, s27, v5, vcc_lo
	global_load_b64 v[4:5], v[4:5], off
	s_waitcnt vmcnt(0)
	v_and_b32_e32 v12, 0xffff0000, v4
	v_lshlrev_b32_e32 v11, 16, v4
	v_alignbit_b32 v4, v5, v4, 16
	s_delay_alu instid0(VALU_DEP_2) | instskip(NEXT) | instid1(VALU_DEP_2)
	v_dual_fmac_f32 v6, v11, v11 :: v_dual_and_b32 v5, 0xffff0000, v5
	v_and_b32_e32 v4, 0xffff0000, v4
	s_delay_alu instid0(VALU_DEP_2) | instskip(NEXT) | instid1(VALU_DEP_1)
	v_fmac_f32_e32 v6, v12, v12
	v_fmac_f32_e32 v6, v4, v4
	s_delay_alu instid0(VALU_DEP_1)
	v_fmac_f32_e32 v6, v5, v5
	v_cmpx_gt_u32_e64 s14, v1
	s_xor_b32 s28, exec_lo, s28
	s_cbranch_execz .LBB85_2
; %bb.8:                                ;   in Loop: Header=BB85_5 Depth=1
	v_lshlrev_b64 v[4:5], 3, v[1:2]
	s_delay_alu instid0(VALU_DEP_1) | instskip(NEXT) | instid1(VALU_DEP_2)
	v_add_co_u32 v4, vcc_lo, s26, v4
	v_add_co_ci_u32_e32 v5, vcc_lo, s27, v5, vcc_lo
	global_load_b64 v[4:5], v[4:5], off
	s_waitcnt vmcnt(0)
	v_and_b32_e32 v11, 0xffff0000, v4
	v_lshlrev_b32_e32 v1, 16, v4
	v_alignbit_b32 v4, v5, v4, 16
	s_delay_alu instid0(VALU_DEP_2) | instskip(NEXT) | instid1(VALU_DEP_2)
	v_fmac_f32_e32 v6, v1, v1
	v_and_b32_e32 v4, 0xffff0000, v4
	v_add3_u32 v1, v10, v7, v3
	s_delay_alu instid0(VALU_DEP_3) | instskip(NEXT) | instid1(VALU_DEP_2)
	v_dual_fmac_f32 v6, v11, v11 :: v_dual_and_b32 v3, 0xffff0000, v5
	v_cmp_le_u32_e32 vcc_lo, s14, v1
	s_delay_alu instid0(VALU_DEP_2) | instskip(SKIP_1) | instid1(VALU_DEP_1)
	v_fmac_f32_e32 v6, v4, v4
	s_or_not1_b32 s30, vcc_lo, exec_lo
	v_fmac_f32_e32 v6, v3, v3
	s_branch .LBB85_2
.LBB85_9:
	s_or_b32 exec_lo, exec_lo, s15
.LBB85_10:
	s_delay_alu instid0(SALU_CYCLE_1) | instskip(SKIP_4) | instid1(VALU_DEP_2)
	s_or_b32 exec_lo, exec_lo, s3
	v_mbcnt_lo_u32_b32 v1, -1, 0
	s_load_b32 s3, s[20:21], 0xc
	v_and_b32_e32 v7, 0x3e0, v0
	s_mov_b32 s15, exec_lo
	v_cmp_ne_u32_e32 vcc_lo, 31, v1
	v_add_nc_u32_e32 v3, 1, v1
	v_add_co_ci_u32_e32 v2, vcc_lo, 0, v1, vcc_lo
	v_cmp_gt_u32_e32 vcc_lo, 30, v1
	s_delay_alu instid0(VALU_DEP_2)
	v_lshlrev_b32_e32 v2, 2, v2
	v_cndmask_b32_e64 v5, 0, 1, vcc_lo
	ds_bpermute_b32 v4, v2, v6
	s_waitcnt lgkmcnt(0)
	s_and_b32 s3, s3, 0xffff
	v_lshlrev_b32_e32 v5, 1, v5
	v_sub_nc_u32_e64 v12, s3, v7 clamp
	s_delay_alu instid0(VALU_DEP_1) | instskip(SKIP_1) | instid1(VALU_DEP_4)
	v_cmp_lt_u32_e32 vcc_lo, v3, v12
	v_add_f32_e32 v7, v6, v4
	v_add_lshl_u32 v4, v5, v1, 2
	s_delay_alu instid0(VALU_DEP_2) | instskip(SKIP_2) | instid1(VALU_DEP_1)
	v_cndmask_b32_e32 v7, v6, v7, vcc_lo
	v_cmp_gt_u32_e32 vcc_lo, 28, v1
	v_cndmask_b32_e64 v5, 0, 1, vcc_lo
	v_lshlrev_b32_e32 v8, 2, v5
	ds_bpermute_b32 v6, v4, v7
	v_add_nc_u32_e32 v5, 2, v1
	s_delay_alu instid0(VALU_DEP_1) | instskip(SKIP_3) | instid1(VALU_DEP_2)
	v_cmp_lt_u32_e32 vcc_lo, v5, v12
	s_waitcnt lgkmcnt(0)
	v_add_f32_e32 v9, v7, v6
	v_add_lshl_u32 v6, v8, v1, 2
	v_cndmask_b32_e32 v9, v7, v9, vcc_lo
	v_cmp_gt_u32_e32 vcc_lo, 24, v1
	ds_bpermute_b32 v8, v6, v9
	v_cndmask_b32_e64 v7, 0, 1, vcc_lo
	s_delay_alu instid0(VALU_DEP_1) | instskip(SKIP_1) | instid1(VALU_DEP_1)
	v_lshlrev_b32_e32 v10, 3, v7
	v_add_nc_u32_e32 v7, 4, v1
	v_cmp_lt_u32_e32 vcc_lo, v7, v12
	s_waitcnt lgkmcnt(0)
	v_add_f32_e32 v11, v9, v8
	v_add_lshl_u32 v8, v10, v1, 2
	s_delay_alu instid0(VALU_DEP_2) | instskip(SKIP_3) | instid1(VALU_DEP_1)
	v_cndmask_b32_e32 v11, v9, v11, vcc_lo
	v_cmp_gt_u32_e32 vcc_lo, 16, v1
	ds_bpermute_b32 v10, v8, v11
	v_cndmask_b32_e64 v9, 0, 1, vcc_lo
	v_lshlrev_b32_e32 v13, 4, v9
	v_add_nc_u32_e32 v9, 8, v1
	s_delay_alu instid0(VALU_DEP_1) | instskip(SKIP_3) | instid1(VALU_DEP_2)
	v_cmp_lt_u32_e32 vcc_lo, v9, v12
	s_waitcnt lgkmcnt(0)
	v_add_f32_e32 v14, v11, v10
	v_add_lshl_u32 v10, v13, v1, 2
	v_cndmask_b32_e32 v13, v11, v14, vcc_lo
	v_add_nc_u32_e32 v11, 16, v1
	ds_bpermute_b32 v14, v10, v13
	v_cmp_lt_u32_e32 vcc_lo, v11, v12
	s_waitcnt lgkmcnt(0)
	v_add_f32_e32 v14, v13, v14
	s_delay_alu instid0(VALU_DEP_1)
	v_cndmask_b32_e32 v12, v13, v14, vcc_lo
	v_cmpx_eq_u32_e32 0, v1
	s_cbranch_execz .LBB85_12
; %bb.11:
	v_lshrrev_b32_e32 v13, 3, v0
	s_delay_alu instid0(VALU_DEP_1)
	v_and_b32_e32 v13, 0x7c, v13
	ds_store_b32 v13, v12 offset:4096
.LBB85_12:
	s_or_b32 exec_lo, exec_lo, s15
	s_delay_alu instid0(SALU_CYCLE_1)
	s_mov_b32 s15, exec_lo
	s_waitcnt lgkmcnt(0)
	s_barrier
	buffer_gl0_inv
	v_cmpx_gt_u32_e32 32, v0
	s_cbranch_execz .LBB85_14
; %bb.13:
	v_lshlrev_b32_e32 v1, 2, v1
	s_add_i32 s3, s3, 31
	s_delay_alu instid0(SALU_CYCLE_1) | instskip(NEXT) | instid1(SALU_CYCLE_1)
	s_lshr_b32 s3, s3, 5
	v_cmp_gt_u32_e32 vcc_lo, s3, v3
	ds_load_b32 v1, v1 offset:4096
	s_waitcnt lgkmcnt(0)
	ds_bpermute_b32 v2, v2, v1
	s_waitcnt lgkmcnt(0)
	v_add_f32_e32 v2, v1, v2
	s_delay_alu instid0(VALU_DEP_1) | instskip(SKIP_4) | instid1(VALU_DEP_1)
	v_cndmask_b32_e32 v1, v1, v2, vcc_lo
	v_cmp_gt_u32_e32 vcc_lo, s3, v5
	ds_bpermute_b32 v2, v4, v1
	s_waitcnt lgkmcnt(0)
	v_add_f32_e32 v2, v1, v2
	v_cndmask_b32_e32 v1, v1, v2, vcc_lo
	v_cmp_gt_u32_e32 vcc_lo, s3, v7
	ds_bpermute_b32 v2, v6, v1
	s_waitcnt lgkmcnt(0)
	v_add_f32_e32 v2, v1, v2
	s_delay_alu instid0(VALU_DEP_1) | instskip(SKIP_4) | instid1(VALU_DEP_1)
	v_cndmask_b32_e32 v1, v1, v2, vcc_lo
	v_cmp_gt_u32_e32 vcc_lo, s3, v9
	ds_bpermute_b32 v2, v8, v1
	s_waitcnt lgkmcnt(0)
	v_add_f32_e32 v2, v1, v2
	v_cndmask_b32_e32 v1, v1, v2, vcc_lo
	v_cmp_gt_u32_e32 vcc_lo, s3, v11
	ds_bpermute_b32 v2, v10, v1
	s_waitcnt lgkmcnt(0)
	v_add_f32_e32 v2, v1, v2
	s_delay_alu instid0(VALU_DEP_1)
	v_cndmask_b32_e32 v12, v1, v2, vcc_lo
.LBB85_14:
	s_or_b32 exec_lo, exec_lo, s15
	s_delay_alu instid0(SALU_CYCLE_1)
	s_mov_b32 s3, exec_lo
	v_cmpx_eq_u32_e32 0, v0
	s_cbranch_execz .LBB85_16
; %bb.15:
	v_cvt_f32_i32_e32 v1, s13
	s_delay_alu instid0(VALU_DEP_1) | instskip(SKIP_1) | instid1(VALU_DEP_2)
	v_div_scale_f32 v2, null, v1, v1, v12
	v_div_scale_f32 v5, vcc_lo, v12, v1, v12
	v_rcp_f32_e32 v3, v2
	s_waitcnt_depctr 0xfff
	v_fma_f32 v4, -v2, v3, 1.0
	s_delay_alu instid0(VALU_DEP_1) | instskip(NEXT) | instid1(VALU_DEP_1)
	v_fmac_f32_e32 v3, v4, v3
	v_mul_f32_e32 v4, v5, v3
	s_delay_alu instid0(VALU_DEP_1) | instskip(NEXT) | instid1(VALU_DEP_1)
	v_fma_f32 v6, -v2, v4, v5
	v_fmac_f32_e32 v4, v6, v3
	s_delay_alu instid0(VALU_DEP_1) | instskip(NEXT) | instid1(VALU_DEP_1)
	v_fma_f32 v2, -v2, v4, v5
	v_div_fmas_f32 v2, v2, v3, v4
	s_delay_alu instid0(VALU_DEP_1) | instskip(NEXT) | instid1(VALU_DEP_1)
	v_div_fixup_f32 v1, v2, v1, v12
	v_add_f32_e32 v1, s12, v1
	s_delay_alu instid0(VALU_DEP_1) | instskip(SKIP_1) | instid1(VALU_DEP_2)
	v_mul_f32_e32 v2, 0x4b800000, v1
	v_cmp_gt_f32_e32 vcc_lo, 0x800000, v1
	v_cndmask_b32_e32 v1, v1, v2, vcc_lo
	s_delay_alu instid0(VALU_DEP_1) | instskip(SKIP_2) | instid1(VALU_DEP_1)
	v_rsq_f32_e32 v1, v1
	s_waitcnt_depctr 0xfff
	v_mul_f32_e32 v2, 0x45800000, v1
	v_dual_cndmask_b32 v1, v1, v2 :: v_dual_mov_b32 v2, 0
	ds_store_b32 v2, v1 offset:4224
.LBB85_16:
	s_or_b32 exec_lo, exec_lo, s3
	s_ashr_i32 s19, s13, 31
	v_mov_b32_e32 v4, 0
	s_lshr_b32 s3, s19, 26
	s_waitcnt lgkmcnt(0)
	s_add_i32 s3, s13, s3
	s_barrier
	s_ashr_i32 s12, s3, 6
	s_cmp_lt_u32 s16, s29
	buffer_gl0_inv
	s_cselect_b32 s13, 12, 18
	ds_load_b32 v28, v4 offset:4224
	s_add_u32 s20, s20, s13
	s_addc_u32 s21, s21, 0
	s_abs_i32 s13, s12
	global_load_u16 v1, v4, s[20:21]
	v_cvt_f32_u32_e32 v2, s13
	s_sub_i32 s20, 0, s13
	s_ashr_i32 s3, s3, 31
	s_delay_alu instid0(VALU_DEP_1) | instskip(SKIP_2) | instid1(VALU_DEP_1)
	v_rcp_iflag_f32_e32 v2, v2
	s_waitcnt_depctr 0xfff
	v_mul_f32_e32 v2, 0x4f7ffffe, v2
	v_cvt_u32_f32_e32 v2, v2
	s_delay_alu instid0(VALU_DEP_1) | instskip(NEXT) | instid1(VALU_DEP_1)
	v_readfirstlane_b32 s15, v2
	s_mul_i32 s20, s20, s15
	s_delay_alu instid0(SALU_CYCLE_1) | instskip(NEXT) | instid1(SALU_CYCLE_1)
	s_mul_hi_u32 s20, s15, s20
	s_add_i32 s15, s15, s20
	s_waitcnt vmcnt(0)
	v_readfirstlane_b32 s28, v1
	s_delay_alu instid0(VALU_DEP_1) | instskip(NEXT) | instid1(SALU_CYCLE_1)
	s_mul_hi_u32 s15, s28, s15
	s_mul_i32 s20, s15, s13
	s_add_i32 s21, s15, 1
	s_sub_i32 s20, s28, s20
	s_delay_alu instid0(SALU_CYCLE_1)
	s_sub_i32 s24, s20, s13
	s_cmp_ge_u32 s20, s13
	s_cselect_b32 s15, s21, s15
	s_cselect_b32 s20, s24, s20
	s_add_i32 s21, s15, 1
	s_cmp_ge_u32 s20, s13
	s_cselect_b32 s13, s21, s15
	s_ashr_i32 s15, s14, 31
	s_xor_b32 s13, s13, s3
	s_delay_alu instid0(SALU_CYCLE_1) | instskip(NEXT) | instid1(SALU_CYCLE_1)
	s_sub_i32 s20, s13, s3
	s_abs_i32 s3, s20
	s_ashr_i32 s21, s20, 31
	v_cvt_f32_u32_e32 v1, s3
	s_sub_i32 s13, 0, s3
	s_delay_alu instid0(VALU_DEP_1) | instskip(SKIP_2) | instid1(VALU_DEP_1)
	v_rcp_iflag_f32_e32 v1, v1
	s_waitcnt_depctr 0xfff
	v_mul_f32_e32 v1, 0x4f7ffffe, v1
	v_cvt_u32_f32_e32 v1, v1
	s_delay_alu instid0(VALU_DEP_1) | instskip(SKIP_1) | instid1(VALU_DEP_1)
	v_mul_lo_u32 v2, s13, v1
	s_mov_b32 s13, exec_lo
	v_mul_hi_u32 v2, v1, v2
	s_delay_alu instid0(VALU_DEP_1) | instskip(NEXT) | instid1(VALU_DEP_1)
	v_add_nc_u32_e32 v1, v1, v2
	v_mul_hi_u32 v1, v0, v1
	s_delay_alu instid0(VALU_DEP_1) | instskip(SKIP_1) | instid1(VALU_DEP_2)
	v_mul_lo_u32 v2, v1, s3
	v_add_nc_u32_e32 v3, 1, v1
	v_sub_nc_u32_e32 v2, v0, v2
	s_delay_alu instid0(VALU_DEP_1) | instskip(SKIP_1) | instid1(VALU_DEP_2)
	v_subrev_nc_u32_e32 v5, s3, v2
	v_cmp_le_u32_e32 vcc_lo, s3, v2
	v_dual_cndmask_b32 v2, v2, v5 :: v_dual_cndmask_b32 v1, v1, v3
	s_delay_alu instid0(VALU_DEP_1) | instskip(NEXT) | instid1(VALU_DEP_2)
	v_cmp_le_u32_e32 vcc_lo, s3, v2
	v_add_nc_u32_e32 v3, 1, v1
	s_delay_alu instid0(VALU_DEP_1) | instskip(NEXT) | instid1(VALU_DEP_1)
	v_cndmask_b32_e32 v1, v1, v3, vcc_lo
	v_xor_b32_e32 v1, s21, v1
	s_delay_alu instid0(VALU_DEP_1) | instskip(NEXT) | instid1(VALU_DEP_1)
	v_subrev_nc_u32_e32 v1, s21, v1
	v_ashrrev_i32_e32 v2, 31, v1
	v_mul_lo_u32 v3, v1, s20
	s_delay_alu instid0(VALU_DEP_2) | instskip(NEXT) | instid1(VALU_DEP_2)
	v_lshlrev_b64 v[7:8], 4, v[1:2]
	v_sub_nc_u32_e32 v3, v0, v3
	s_delay_alu instid0(VALU_DEP_2) | instskip(NEXT) | instid1(VALU_DEP_3)
	v_add_co_u32 v5, vcc_lo, v7, 16
	v_add_co_ci_u32_e32 v6, vcc_lo, 0, v8, vcc_lo
	s_delay_alu instid0(VALU_DEP_1) | instskip(SKIP_4) | instid1(VALU_DEP_3)
	v_cmp_gt_i64_e32 vcc_lo, s[14:15], v[5:6]
	v_cndmask_b32_e32 v6, s15, v6, vcc_lo
	v_cndmask_b32_e32 v5, s14, v5, vcc_lo
	v_add_co_u32 v7, vcc_lo, v7, v3
	v_add_co_ci_u32_e32 v8, vcc_lo, 0, v8, vcc_lo
	v_ashrrev_i32_e32 v10, 31, v5
	v_mov_b32_e32 v9, v5
	s_delay_alu instid0(VALU_DEP_1)
	v_cmpx_lt_i64_e64 v[7:8], v[9:10]
	s_cbranch_execz .LBB85_26
; %bb.17:
	v_lshlrev_b64 v[13:14], 7, v[1:2]
	v_lshlrev_b64 v[11:12], 3, v[3:4]
	s_mul_i32 s3, s20, 24
	s_mul_hi_i32 s15, s20, 24
	s_add_u32 s24, s8, s3
	s_delay_alu instid0(VALU_DEP_2) | instskip(SKIP_2) | instid1(VALU_DEP_2)
	v_add_co_u32 v4, vcc_lo, s22, v13
	v_add_co_ci_u32_e32 v15, vcc_lo, s23, v14, vcc_lo
	s_addc_u32 s22, s9, s15
	v_add_co_u32 v17, vcc_lo, s24, v4
	s_lshl_b64 s[24:25], s[20:21], 4
	s_delay_alu instid0(VALU_DEP_2)
	v_add_co_ci_u32_e32 v18, vcc_lo, s22, v15, vcc_lo
	s_lshl_b64 s[22:23], s[20:21], 5
	s_add_u32 s33, s8, s24
	s_addc_u32 s34, s9, s25
	s_lshl_b64 s[30:31], s[20:21], 3
	v_add_co_u32 v19, vcc_lo, s33, v4
	s_add_u32 s33, s8, s30
	v_add_co_ci_u32_e32 v20, vcc_lo, s34, v15, vcc_lo
	s_addc_u32 s34, s9, s31
	v_add_co_u32 v21, vcc_lo, s33, v4
	v_add_co_ci_u32_e32 v22, vcc_lo, s34, v15, vcc_lo
	v_add_co_u32 v23, vcc_lo, s8, v4
	s_add_u32 s3, s10, s3
	v_add_co_ci_u32_e32 v24, vcc_lo, s9, v15, vcc_lo
	s_addc_u32 s8, s11, s15
	v_add_co_u32 v25, vcc_lo, s3, v13
	s_add_u32 s3, s10, s24
	v_add_co_ci_u32_e32 v26, vcc_lo, s8, v14, vcc_lo
	s_addc_u32 s8, s11, s25
	;; [unrolled: 4-line block ×3, first 2 shown]
	v_add_co_u32 v30, vcc_lo, s3, v13
	v_add_co_ci_u32_e32 v31, vcc_lo, s8, v14, vcc_lo
	v_add_co_u32 v32, vcc_lo, s10, v13
	v_add_co_ci_u32_e32 v33, vcc_lo, s11, v14, vcc_lo
	v_mov_b32_e32 v14, v8
	v_dual_mov_b32 v4, 0 :: v_dual_mov_b32 v13, v7
	s_mul_hi_i32 s15, s20, 3
	s_mul_i32 s24, s20, 3
	s_lshl_b64 s[8:9], s[20:21], 1
	s_mov_b32 s25, 0
                                        ; implicit-def: $sgpr30
	s_branch .LBB85_21
.LBB85_18:                              ;   in Loop: Header=BB85_21 Depth=1
	s_or_b32 exec_lo, exec_lo, s34
	s_delay_alu instid0(SALU_CYCLE_1)
	s_or_not1_b32 s3, s3, exec_lo
.LBB85_19:                              ;   in Loop: Header=BB85_21 Depth=1
	s_or_b32 exec_lo, exec_lo, s33
	s_delay_alu instid0(SALU_CYCLE_1) | instskip(SKIP_1) | instid1(SALU_CYCLE_1)
	s_and_not1_b32 s30, s30, exec_lo
	s_and_b32 s3, s3, exec_lo
	s_or_b32 s30, s30, s3
.LBB85_20:                              ;   in Loop: Header=BB85_21 Depth=1
	s_or_b32 exec_lo, exec_lo, s31
	s_delay_alu instid0(SALU_CYCLE_1) | instskip(NEXT) | instid1(SALU_CYCLE_1)
	s_and_b32 s3, exec_lo, s30
	s_or_b32 s25, s3, s25
	s_delay_alu instid0(SALU_CYCLE_1)
	s_and_not1_b32 exec_lo, exec_lo, s25
	s_cbranch_execz .LBB85_25
.LBB85_21:                              ; =>This Inner Loop Header: Depth=1
	v_add_co_u32 v15, vcc_lo, v23, v11
	v_add_co_ci_u32_e32 v16, vcc_lo, v24, v12, vcc_lo
	v_add_co_u32 v34, vcc_lo, v32, v11
	v_add_co_ci_u32_e32 v35, vcc_lo, v33, v12, vcc_lo
	s_or_b32 s30, s30, exec_lo
	global_load_b64 v[15:16], v[15:16], off
	global_load_b64 v[34:35], v[34:35], off
	s_mov_b32 s31, exec_lo
	s_waitcnt vmcnt(1)
	v_lshlrev_b32_e32 v37, 16, v15
	v_and_b32_e32 v36, 0xffff0000, v15
	v_alignbit_b32 v15, v16, v15, 16
	s_waitcnt vmcnt(0)
	v_lshlrev_b32_e32 v39, 16, v34
	s_waitcnt lgkmcnt(0)
	v_mul_f32_e32 v37, v28, v37
	v_mul_f32_e32 v36, v28, v36
	s_delay_alu instid0(VALU_DEP_2) | instskip(NEXT) | instid1(VALU_DEP_2)
	v_bfe_u32 v40, v37, 16, 1
	v_bfe_u32 v41, v36, 16, 1
	v_cmp_o_f32_e32 vcc_lo, v37, v37
	s_delay_alu instid0(VALU_DEP_3) | instskip(NEXT) | instid1(VALU_DEP_3)
	v_add3_u32 v40, v37, v40, 0x7fff
	v_add3_u32 v41, v36, v41, 0x7fff
	s_delay_alu instid0(VALU_DEP_2) | instskip(NEXT) | instid1(VALU_DEP_2)
	v_and_b32_e32 v40, 0xffff0000, v40
	v_and_b32_e32 v41, 0xffff0000, v41
	s_delay_alu instid0(VALU_DEP_2) | instskip(SKIP_2) | instid1(VALU_DEP_2)
	v_cndmask_b32_e32 v37, 0x7fc00000, v40, vcc_lo
	v_and_b32_e32 v16, 0xffff0000, v16
	v_cmp_o_f32_e32 vcc_lo, v36, v36
	v_dual_mul_f32 v37, v37, v39 :: v_dual_mul_f32 v16, v28, v16
	v_cndmask_b32_e32 v36, 0x7fc00000, v41, vcc_lo
	v_and_b32_e32 v15, 0xffff0000, v15
	v_and_b32_e32 v38, 0xffff0000, v34
	v_alignbit_b32 v34, v35, v34, 16
	v_bfe_u32 v42, v16, 16, 1
	v_cmp_o_f32_e32 vcc_lo, v16, v16
	v_mul_f32_e32 v15, v28, v15
	v_mul_f32_e32 v36, v36, v38
	v_bfe_u32 v38, v37, 16, 1
	v_add3_u32 v42, v16, v42, 0x7fff
	s_delay_alu instid0(VALU_DEP_4) | instskip(NEXT) | instid1(VALU_DEP_2)
	v_bfe_u32 v43, v15, 16, 1
	v_and_b32_e32 v42, 0xffff0000, v42
	s_delay_alu instid0(VALU_DEP_2) | instskip(NEXT) | instid1(VALU_DEP_2)
	v_add3_u32 v43, v15, v43, 0x7fff
	v_cndmask_b32_e32 v16, 0x7fc00000, v42, vcc_lo
	v_cmp_o_f32_e32 vcc_lo, v15, v15
	s_delay_alu instid0(VALU_DEP_3) | instskip(SKIP_1) | instid1(VALU_DEP_2)
	v_and_b32_e32 v40, 0xffff0000, v43
	v_and_b32_e32 v34, 0xffff0000, v34
	v_cndmask_b32_e32 v15, 0x7fc00000, v40, vcc_lo
	v_and_b32_e32 v35, 0xffff0000, v35
	v_cmp_o_f32_e32 vcc_lo, v37, v37
	s_delay_alu instid0(VALU_DEP_2) | instskip(SKIP_2) | instid1(VALU_DEP_3)
	v_dual_mul_f32 v34, v15, v34 :: v_dual_mul_f32 v35, v16, v35
	v_bfe_u32 v16, v36, 16, 1
	v_add3_u32 v15, v37, v38, 0x7fff
	v_bfe_u32 v39, v34, 16, 1
	s_delay_alu instid0(VALU_DEP_4) | instskip(NEXT) | instid1(VALU_DEP_4)
	v_bfe_u32 v38, v35, 16, 1
	v_add3_u32 v16, v36, v16, 0x7fff
	s_delay_alu instid0(VALU_DEP_4) | instskip(NEXT) | instid1(VALU_DEP_4)
	v_and_b32_e32 v15, 0xffff0000, v15
	v_add3_u32 v39, v34, v39, 0x7fff
	s_delay_alu instid0(VALU_DEP_4) | instskip(NEXT) | instid1(VALU_DEP_4)
	v_add3_u32 v38, v35, v38, 0x7fff
	v_and_b32_e32 v16, 0xffff0000, v16
	s_delay_alu instid0(VALU_DEP_4)
	v_cndmask_b32_e64 v37, 0x7fc00000, |v15|, vcc_lo
	v_cmp_o_f32_e32 vcc_lo, v36, v36
	v_and_b32_e32 v39, 0xffff0000, v39
	v_and_b32_e32 v38, 0xffff0000, v38
	v_cndmask_b32_e64 v36, 0x7fc00000, |v16|, vcc_lo
	v_add_co_u32 v15, vcc_lo, v13, s20
	v_add_co_ci_u32_e32 v16, vcc_lo, s21, v14, vcc_lo
	v_cmp_o_f32_e32 vcc_lo, v34, v34
	s_delay_alu instid0(VALU_DEP_4) | instskip(SKIP_3) | instid1(VALU_DEP_1)
	v_max3_f32 v4, v4, v37, v36
	v_cndmask_b32_e64 v34, 0x7fc00000, |v39|, vcc_lo
	v_cmp_o_f32_e32 vcc_lo, v35, v35
	v_cndmask_b32_e64 v35, 0x7fc00000, |v38|, vcc_lo
	v_max3_f32 v4, v4, v34, v35
	v_cmpx_lt_i64_e64 v[15:16], v[9:10]
	s_cbranch_execz .LBB85_20
; %bb.22:                               ;   in Loop: Header=BB85_21 Depth=1
	v_add_co_u32 v34, vcc_lo, v21, v11
	v_add_co_ci_u32_e32 v35, vcc_lo, v22, v12, vcc_lo
	v_add_co_u32 v36, vcc_lo, v30, v11
	v_add_co_ci_u32_e32 v37, vcc_lo, v31, v12, vcc_lo
	s_mov_b32 s3, -1
	global_load_b64 v[34:35], v[34:35], off
	global_load_b64 v[36:37], v[36:37], off
	s_mov_b32 s33, exec_lo
	s_waitcnt vmcnt(1)
	v_lshlrev_b32_e32 v39, 16, v34
	v_and_b32_e32 v38, 0xffff0000, v34
	v_alignbit_b32 v34, v35, v34, 16
	s_delay_alu instid0(VALU_DEP_3) | instskip(NEXT) | instid1(VALU_DEP_3)
	v_mul_f32_e32 v39, v28, v39
	v_dual_mul_f32 v38, v28, v38 :: v_dual_and_b32 v35, 0xffff0000, v35
	s_waitcnt vmcnt(0)
	v_and_b32_e32 v40, 0xffff0000, v36
	s_delay_alu instid0(VALU_DEP_3) | instskip(NEXT) | instid1(VALU_DEP_3)
	v_bfe_u32 v42, v39, 16, 1
	v_mul_f32_e32 v35, v28, v35
	v_cmp_o_f32_e32 vcc_lo, v39, v39
	v_bfe_u32 v43, v38, 16, 1
	s_delay_alu instid0(VALU_DEP_4) | instskip(NEXT) | instid1(VALU_DEP_4)
	v_add3_u32 v42, v39, v42, 0x7fff
	v_bfe_u32 v44, v35, 16, 1
	s_delay_alu instid0(VALU_DEP_3) | instskip(NEXT) | instid1(VALU_DEP_3)
	v_add3_u32 v43, v38, v43, 0x7fff
	v_and_b32_e32 v42, 0xffff0000, v42
	s_delay_alu instid0(VALU_DEP_3) | instskip(NEXT) | instid1(VALU_DEP_3)
	v_add3_u32 v44, v35, v44, 0x7fff
	v_and_b32_e32 v43, 0xffff0000, v43
	s_delay_alu instid0(VALU_DEP_3)
	v_cndmask_b32_e32 v39, 0x7fc00000, v42, vcc_lo
	v_and_b32_e32 v34, 0xffff0000, v34
	v_lshlrev_b32_e32 v41, 16, v36
	v_cmp_o_f32_e32 vcc_lo, v38, v38
	v_and_b32_e32 v44, 0xffff0000, v44
	v_alignbit_b32 v36, v37, v36, 16
	s_delay_alu instid0(VALU_DEP_4) | instskip(SKIP_3) | instid1(VALU_DEP_4)
	v_dual_mul_f32 v34, v28, v34 :: v_dual_mul_f32 v39, v39, v41
	v_cndmask_b32_e32 v38, 0x7fc00000, v43, vcc_lo
	v_cmp_o_f32_e32 vcc_lo, v35, v35
	v_and_b32_e32 v37, 0xffff0000, v37
	v_bfe_u32 v45, v34, 16, 1
	s_delay_alu instid0(VALU_DEP_4) | instskip(SKIP_2) | instid1(VALU_DEP_4)
	v_mul_f32_e32 v38, v38, v40
	v_cndmask_b32_e32 v35, 0x7fc00000, v44, vcc_lo
	v_cmp_o_f32_e32 vcc_lo, v34, v34
	v_add3_u32 v45, v34, v45, 0x7fff
	v_and_b32_e32 v36, 0xffff0000, v36
	v_bfe_u32 v40, v39, 16, 1
	v_mul_f32_e32 v37, v35, v37
	v_bfe_u32 v35, v38, 16, 1
	v_and_b32_e32 v42, 0xffff0000, v45
	s_delay_alu instid0(VALU_DEP_2) | instskip(NEXT) | instid1(VALU_DEP_2)
	v_add3_u32 v35, v38, v35, 0x7fff
	v_cndmask_b32_e32 v34, 0x7fc00000, v42, vcc_lo
	v_cmp_o_f32_e32 vcc_lo, v39, v39
	s_delay_alu instid0(VALU_DEP_2) | instskip(SKIP_2) | instid1(VALU_DEP_3)
	v_dual_mul_f32 v36, v34, v36 :: v_dual_and_b32 v35, 0xffff0000, v35
	v_add3_u32 v34, v39, v40, 0x7fff
	v_bfe_u32 v40, v37, 16, 1
	v_bfe_u32 v41, v36, 16, 1
	s_delay_alu instid0(VALU_DEP_3) | instskip(NEXT) | instid1(VALU_DEP_3)
	v_and_b32_e32 v34, 0xffff0000, v34
	v_add3_u32 v40, v37, v40, 0x7fff
	s_delay_alu instid0(VALU_DEP_3) | instskip(NEXT) | instid1(VALU_DEP_3)
	v_add3_u32 v41, v36, v41, 0x7fff
	v_cndmask_b32_e64 v39, 0x7fc00000, |v34|, vcc_lo
	v_cmp_o_f32_e32 vcc_lo, v38, v38
	s_delay_alu instid0(VALU_DEP_4) | instskip(NEXT) | instid1(VALU_DEP_4)
	v_and_b32_e32 v40, 0xffff0000, v40
	v_and_b32_e32 v41, 0xffff0000, v41
	v_cndmask_b32_e64 v38, 0x7fc00000, |v35|, vcc_lo
	v_add_co_u32 v34, vcc_lo, s8, v13
	v_add_co_ci_u32_e32 v35, vcc_lo, s9, v14, vcc_lo
	v_cmp_o_f32_e32 vcc_lo, v36, v36
	s_delay_alu instid0(VALU_DEP_4) | instskip(SKIP_3) | instid1(VALU_DEP_1)
	v_max3_f32 v4, v4, v39, v38
	v_cndmask_b32_e64 v36, 0x7fc00000, |v41|, vcc_lo
	v_cmp_o_f32_e32 vcc_lo, v37, v37
	v_cndmask_b32_e64 v37, 0x7fc00000, |v40|, vcc_lo
	v_max3_f32 v4, v4, v36, v37
	v_cmpx_lt_i64_e64 v[34:35], v[9:10]
	s_cbranch_execz .LBB85_19
; %bb.23:                               ;   in Loop: Header=BB85_21 Depth=1
	v_add_co_u32 v34, vcc_lo, v19, v11
	v_add_co_ci_u32_e32 v35, vcc_lo, v20, v12, vcc_lo
	v_add_co_u32 v36, vcc_lo, v27, v11
	v_add_co_ci_u32_e32 v37, vcc_lo, v29, v12, vcc_lo
	global_load_b64 v[34:35], v[34:35], off
	global_load_b64 v[36:37], v[36:37], off
	s_waitcnt vmcnt(1)
	v_lshlrev_b32_e32 v39, 16, v34
	v_and_b32_e32 v38, 0xffff0000, v34
	v_alignbit_b32 v34, v35, v34, 16
	s_delay_alu instid0(VALU_DEP_3) | instskip(NEXT) | instid1(VALU_DEP_3)
	v_mul_f32_e32 v39, v28, v39
	v_dual_mul_f32 v38, v28, v38 :: v_dual_and_b32 v35, 0xffff0000, v35
	s_waitcnt vmcnt(0)
	v_and_b32_e32 v40, 0xffff0000, v36
	s_delay_alu instid0(VALU_DEP_3) | instskip(NEXT) | instid1(VALU_DEP_3)
	v_bfe_u32 v42, v39, 16, 1
	v_mul_f32_e32 v35, v28, v35
	v_cmp_o_f32_e32 vcc_lo, v39, v39
	v_bfe_u32 v43, v38, 16, 1
	s_delay_alu instid0(VALU_DEP_4) | instskip(NEXT) | instid1(VALU_DEP_4)
	v_add3_u32 v42, v39, v42, 0x7fff
	v_bfe_u32 v44, v35, 16, 1
	s_delay_alu instid0(VALU_DEP_3) | instskip(NEXT) | instid1(VALU_DEP_3)
	v_add3_u32 v43, v38, v43, 0x7fff
	v_and_b32_e32 v42, 0xffff0000, v42
	s_delay_alu instid0(VALU_DEP_3) | instskip(NEXT) | instid1(VALU_DEP_3)
	v_add3_u32 v44, v35, v44, 0x7fff
	v_and_b32_e32 v43, 0xffff0000, v43
	s_delay_alu instid0(VALU_DEP_3)
	v_cndmask_b32_e32 v39, 0x7fc00000, v42, vcc_lo
	v_and_b32_e32 v34, 0xffff0000, v34
	v_lshlrev_b32_e32 v41, 16, v36
	v_cmp_o_f32_e32 vcc_lo, v38, v38
	v_and_b32_e32 v44, 0xffff0000, v44
	v_alignbit_b32 v36, v37, v36, 16
	s_delay_alu instid0(VALU_DEP_4) | instskip(SKIP_3) | instid1(VALU_DEP_4)
	v_dual_mul_f32 v34, v28, v34 :: v_dual_mul_f32 v39, v39, v41
	v_cndmask_b32_e32 v38, 0x7fc00000, v43, vcc_lo
	v_cmp_o_f32_e32 vcc_lo, v35, v35
	v_and_b32_e32 v37, 0xffff0000, v37
	v_bfe_u32 v45, v34, 16, 1
	s_delay_alu instid0(VALU_DEP_4) | instskip(SKIP_2) | instid1(VALU_DEP_4)
	v_mul_f32_e32 v38, v38, v40
	v_cndmask_b32_e32 v35, 0x7fc00000, v44, vcc_lo
	v_cmp_o_f32_e32 vcc_lo, v34, v34
	v_add3_u32 v45, v34, v45, 0x7fff
	v_and_b32_e32 v36, 0xffff0000, v36
	v_bfe_u32 v40, v39, 16, 1
	v_mul_f32_e32 v35, v35, v37
	v_bfe_u32 v37, v38, 16, 1
	v_and_b32_e32 v42, 0xffff0000, v45
	s_delay_alu instid0(VALU_DEP_2) | instskip(NEXT) | instid1(VALU_DEP_2)
	v_add3_u32 v37, v38, v37, 0x7fff
	v_cndmask_b32_e32 v34, 0x7fc00000, v42, vcc_lo
	v_cmp_o_f32_e32 vcc_lo, v39, v39
	s_delay_alu instid0(VALU_DEP_2) | instskip(SKIP_2) | instid1(VALU_DEP_3)
	v_dual_mul_f32 v34, v34, v36 :: v_dual_and_b32 v37, 0xffff0000, v37
	v_add3_u32 v36, v39, v40, 0x7fff
	v_bfe_u32 v40, v35, 16, 1
	v_bfe_u32 v41, v34, 16, 1
	s_delay_alu instid0(VALU_DEP_3) | instskip(NEXT) | instid1(VALU_DEP_3)
	v_and_b32_e32 v36, 0xffff0000, v36
	v_add3_u32 v40, v35, v40, 0x7fff
	s_delay_alu instid0(VALU_DEP_3) | instskip(NEXT) | instid1(VALU_DEP_3)
	v_add3_u32 v41, v34, v41, 0x7fff
	v_cndmask_b32_e64 v36, 0x7fc00000, |v36|, vcc_lo
	v_cmp_o_f32_e32 vcc_lo, v38, v38
	s_delay_alu instid0(VALU_DEP_4) | instskip(NEXT) | instid1(VALU_DEP_4)
	v_and_b32_e32 v39, 0xffff0000, v40
	v_and_b32_e32 v38, 0xffff0000, v41
	v_cndmask_b32_e64 v37, 0x7fc00000, |v37|, vcc_lo
	v_add_co_u32 v13, vcc_lo, s24, v13
	v_add_co_ci_u32_e32 v14, vcc_lo, s15, v14, vcc_lo
	v_cmp_o_f32_e32 vcc_lo, v34, v34
	s_delay_alu instid0(VALU_DEP_4) | instskip(SKIP_4) | instid1(VALU_DEP_2)
	v_max3_f32 v4, v4, v36, v37
	v_cndmask_b32_e64 v34, 0x7fc00000, |v38|, vcc_lo
	v_cmp_o_f32_e32 vcc_lo, v35, v35
	v_cndmask_b32_e64 v35, 0x7fc00000, |v39|, vcc_lo
	v_cmp_lt_i64_e32 vcc_lo, v[13:14], v[9:10]
                                        ; implicit-def: $vgpr13_vgpr14
	v_max3_f32 v4, v4, v34, v35
	s_and_saveexec_b32 s34, vcc_lo
	s_delay_alu instid0(SALU_CYCLE_1)
	s_xor_b32 s34, exec_lo, s34
	s_cbranch_execz .LBB85_18
; %bb.24:                               ;   in Loop: Header=BB85_21 Depth=1
	v_add_co_u32 v13, vcc_lo, v17, v11
	v_add_co_ci_u32_e32 v14, vcc_lo, v18, v12, vcc_lo
	v_add_co_u32 v34, vcc_lo, v25, v11
	v_add_co_ci_u32_e32 v35, vcc_lo, v26, v12, vcc_lo
	v_add_co_u32 v17, vcc_lo, v17, s22
	global_load_b64 v[13:14], v[13:14], off
	global_load_b64 v[34:35], v[34:35], off
	v_add_co_ci_u32_e32 v18, vcc_lo, s23, v18, vcc_lo
	v_add_co_u32 v19, vcc_lo, v19, s22
	v_add_co_ci_u32_e32 v20, vcc_lo, s23, v20, vcc_lo
	v_add_co_u32 v21, vcc_lo, v21, s22
	;; [unrolled: 2-line block ×5, first 2 shown]
	v_add_co_ci_u32_e32 v29, vcc_lo, s23, v29, vcc_lo
	s_add_u32 s3, s20, s20
	s_addc_u32 s35, s21, s21
	s_add_u32 s3, s3, s20
	s_addc_u32 s35, s35, s21
	s_waitcnt vmcnt(1)
	v_lshlrev_b32_e32 v37, 16, v13
	s_waitcnt vmcnt(0)
	v_and_b32_e32 v38, 0xffff0000, v34
	v_lshlrev_b32_e32 v39, 16, v34
	v_alignbit_b32 v34, v35, v34, 16
	v_mul_f32_e32 v37, v28, v37
	s_delay_alu instid0(VALU_DEP_1) | instskip(SKIP_1) | instid1(VALU_DEP_2)
	v_bfe_u32 v40, v37, 16, 1
	v_cmp_o_f32_e32 vcc_lo, v37, v37
	v_add3_u32 v40, v37, v40, 0x7fff
	s_delay_alu instid0(VALU_DEP_1) | instskip(NEXT) | instid1(VALU_DEP_1)
	v_and_b32_e32 v40, 0xffff0000, v40
	v_cndmask_b32_e32 v37, 0x7fc00000, v40, vcc_lo
	v_and_b32_e32 v36, 0xffff0000, v13
	v_alignbit_b32 v13, v14, v13, 16
	s_delay_alu instid0(VALU_DEP_2) | instskip(NEXT) | instid1(VALU_DEP_2)
	v_dual_mul_f32 v37, v37, v39 :: v_dual_mul_f32 v36, v28, v36
	v_and_b32_e32 v13, 0xffff0000, v13
	v_and_b32_e32 v14, 0xffff0000, v14
	s_delay_alu instid0(VALU_DEP_3) | instskip(NEXT) | instid1(VALU_DEP_3)
	v_bfe_u32 v41, v36, 16, 1
	v_mul_f32_e32 v13, v28, v13
	s_delay_alu instid0(VALU_DEP_3) | instskip(SKIP_1) | instid1(VALU_DEP_4)
	v_mul_f32_e32 v14, v28, v14
	v_cmp_o_f32_e32 vcc_lo, v36, v36
	v_add3_u32 v41, v36, v41, 0x7fff
	s_delay_alu instid0(VALU_DEP_4) | instskip(NEXT) | instid1(VALU_DEP_4)
	v_bfe_u32 v43, v13, 16, 1
	v_bfe_u32 v42, v14, 16, 1
	s_delay_alu instid0(VALU_DEP_3) | instskip(NEXT) | instid1(VALU_DEP_3)
	v_and_b32_e32 v41, 0xffff0000, v41
	v_add3_u32 v43, v13, v43, 0x7fff
	s_delay_alu instid0(VALU_DEP_3) | instskip(NEXT) | instid1(VALU_DEP_3)
	v_add3_u32 v42, v14, v42, 0x7fff
	v_cndmask_b32_e32 v36, 0x7fc00000, v41, vcc_lo
	v_cmp_o_f32_e32 vcc_lo, v14, v14
	s_delay_alu instid0(VALU_DEP_3) | instskip(SKIP_3) | instid1(VALU_DEP_4)
	v_and_b32_e32 v42, 0xffff0000, v42
	v_and_b32_e32 v35, 0xffff0000, v35
	;; [unrolled: 1-line block ×3, first 2 shown]
	v_mul_f32_e32 v36, v36, v38
	v_cndmask_b32_e32 v14, 0x7fc00000, v42, vcc_lo
	v_and_b32_e32 v34, 0xffff0000, v34
	v_cmp_o_f32_e32 vcc_lo, v13, v13
	s_delay_alu instid0(VALU_DEP_4) | instskip(NEXT) | instid1(VALU_DEP_4)
	v_bfe_u32 v38, v36, 16, 1
	v_mul_f32_e32 v35, v14, v35
	v_bfe_u32 v14, v37, 16, 1
	v_cndmask_b32_e32 v13, 0x7fc00000, v40, vcc_lo
	s_delay_alu instid0(VALU_DEP_4) | instskip(SKIP_1) | instid1(VALU_DEP_4)
	v_add3_u32 v38, v36, v38, 0x7fff
	v_cmp_o_f32_e32 vcc_lo, v37, v37
	v_add3_u32 v14, v37, v14, 0x7fff
	s_delay_alu instid0(VALU_DEP_4) | instskip(SKIP_2) | instid1(VALU_DEP_4)
	v_mul_f32_e32 v34, v13, v34
	v_bfe_u32 v13, v35, 16, 1
	v_and_b32_e32 v38, 0xffff0000, v38
	v_and_b32_e32 v14, 0xffff0000, v14
	s_delay_alu instid0(VALU_DEP_4) | instskip(NEXT) | instid1(VALU_DEP_4)
	v_bfe_u32 v39, v34, 16, 1
	v_add3_u32 v13, v35, v13, 0x7fff
	s_delay_alu instid0(VALU_DEP_3) | instskip(SKIP_1) | instid1(VALU_DEP_3)
	v_cndmask_b32_e64 v37, 0x7fc00000, |v14|, vcc_lo
	v_cmp_o_f32_e32 vcc_lo, v36, v36
	v_and_b32_e32 v40, 0xffff0000, v13
	v_add3_u32 v39, v34, v39, 0x7fff
	v_cndmask_b32_e64 v36, 0x7fc00000, |v38|, vcc_lo
	v_add_co_u32 v13, vcc_lo, s3, v15
	v_add_co_ci_u32_e32 v14, vcc_lo, s35, v16, vcc_lo
	v_cmp_o_f32_e32 vcc_lo, v35, v35
	v_and_b32_e32 v15, 0xffff0000, v39
	v_max3_f32 v4, v4, v37, v36
	v_add_co_u32 v32, s3, v32, s22
	v_cndmask_b32_e64 v16, 0x7fc00000, |v40|, vcc_lo
	v_cmp_o_f32_e32 vcc_lo, v34, v34
	v_add_co_ci_u32_e64 v33, s3, s23, v33, s3
	v_cndmask_b32_e64 v15, 0x7fc00000, |v15|, vcc_lo
	v_add_co_u32 v30, vcc_lo, v30, s22
	v_add_co_ci_u32_e32 v31, vcc_lo, s23, v31, vcc_lo
	v_cmp_ge_i64_e32 vcc_lo, v[13:14], v[9:10]
	s_delay_alu instid0(VALU_DEP_4)
	v_max3_f32 v4, v4, v15, v16
	s_or_not1_b32 s3, vcc_lo, exec_lo
	s_branch .LBB85_18
.LBB85_25:
	s_or_b32 exec_lo, exec_lo, s25
.LBB85_26:
	s_delay_alu instid0(SALU_CYCLE_1)
	s_or_b32 exec_lo, exec_lo, s13
	s_lshr_b32 s15, s28, 5
	v_lshlrev_b32_e32 v29, 2, v0
	v_cvt_f32_u32_e32 v9, s15
	s_sub_i32 s8, 0, s15
	s_add_i32 s9, s12, s15
	s_delay_alu instid0(SALU_CYCLE_1) | instskip(NEXT) | instid1(VALU_DEP_1)
	s_add_i32 s9, s9, -1
	v_rcp_iflag_f32_e32 v9, v9
	s_abs_i32 s13, s9
	s_ashr_i32 s9, s9, 31
	ds_store_b32 v29, v4
	s_waitcnt lgkmcnt(0)
	s_barrier
	buffer_gl0_inv
	v_mul_f32_e32 v9, 0x4f7ffffe, v9
	s_delay_alu instid0(VALU_DEP_1) | instskip(NEXT) | instid1(VALU_DEP_1)
	v_cvt_u32_f32_e32 v9, v9
	v_readfirstlane_b32 s3, v9
	s_delay_alu instid0(VALU_DEP_1) | instskip(NEXT) | instid1(SALU_CYCLE_1)
	s_mul_i32 s8, s8, s3
	s_mul_hi_u32 s8, s3, s8
	s_delay_alu instid0(SALU_CYCLE_1) | instskip(NEXT) | instid1(SALU_CYCLE_1)
	s_add_i32 s3, s3, s8
	s_mul_hi_u32 s3, s13, s3
	s_delay_alu instid0(SALU_CYCLE_1) | instskip(NEXT) | instid1(SALU_CYCLE_1)
	s_mul_i32 s8, s3, s15
	s_sub_i32 s8, s13, s8
	s_add_i32 s13, s3, 1
	s_sub_i32 s22, s8, s15
	s_cmp_ge_u32 s8, s15
	s_cselect_b32 s3, s13, s3
	s_cselect_b32 s8, s22, s8
	s_add_i32 s13, s3, 1
	s_cmp_ge_u32 s8, s15
	s_cselect_b32 s3, s13, s3
	s_delay_alu instid0(SALU_CYCLE_1) | instskip(NEXT) | instid1(SALU_CYCLE_1)
	s_xor_b32 s3, s3, s9
	s_sub_i32 s8, s3, s9
	s_delay_alu instid0(SALU_CYCLE_1) | instskip(NEXT) | instid1(SALU_CYCLE_1)
	s_ashr_i32 s9, s8, 31
	v_cmp_lt_i64_e64 s3, s[8:9], 1
	s_delay_alu instid0(VALU_DEP_1)
	s_and_b32 vcc_lo, exec_lo, s3
	s_cbranch_vccnz .LBB85_46
; %bb.27:
	v_lshrrev_b32_e32 v9, 5, v0
	v_and_b32_e32 v4, 31, v0
	s_ashr_i32 s13, s12, 31
	s_mov_b64 s[22:23], 0
	s_mov_b64 s[24:25], src_shared_base
	v_mul_lo_u32 v19, s20, v9
	v_add_co_u32 v11, s3, v4, 16
	s_delay_alu instid0(VALU_DEP_1) | instskip(SKIP_1) | instid1(VALU_DEP_1)
	v_add_co_ci_u32_e64 v12, null, 0, 0, s3
	v_add_co_u32 v13, s3, v4, 8
	v_add_co_ci_u32_e64 v14, null, 0, 0, s3
	v_add_co_u32 v15, s3, v4, 4
	v_dual_mov_b32 v10, 0 :: v_dual_lshlrev_b32 v21, 2, v19
	v_lshlrev_b32_e32 v22, 2, v4
	v_add_co_ci_u32_e64 v16, null, 0, 0, s3
	v_add_co_u32 v17, s3, v4, 2
	s_delay_alu instid0(VALU_DEP_1) | instskip(SKIP_1) | instid1(VALU_DEP_1)
	v_add_co_ci_u32_e64 v18, null, 0, 0, s3
	v_add_co_u32 v19, s3, v4, 1
	v_add_co_ci_u32_e64 v20, null, 0, 0, s3
	v_add3_u32 v30, v21, v22, 0x80
	s_mul_i32 s3, s20, s15
	s_delay_alu instid0(SALU_CYCLE_1)
	s_lshl_b32 s30, s3, 2
	s_branch .LBB85_30
.LBB85_28:                              ;   in Loop: Header=BB85_30 Depth=1
	s_or_b32 exec_lo, exec_lo, s3
	v_mov_b32_e32 v22, s25
	flat_load_b32 v21, v[21:22] glc dlc
	s_waitcnt vmcnt(0)
.LBB85_29:                              ;   in Loop: Header=BB85_30 Depth=1
	s_or_b32 exec_lo, exec_lo, s24
	s_add_u32 s22, s22, 1
	v_add_nc_u32_e32 v30, s30, v30
	s_addc_u32 s23, s23, 0
	s_delay_alu instid0(SALU_CYCLE_1)
	s_cmp_eq_u64 s[22:23], s[8:9]
	s_cbranch_scc1 .LBB85_46
.LBB85_30:                              ; =>This Loop Header: Depth=1
                                        ;     Child Loop BB85_33 Depth 2
	s_waitcnt lgkmcnt(0)
	v_mad_u64_u32 v[21:22], null, s22, s15, v[9:10]
	s_mov_b32 s24, exec_lo
	s_delay_alu instid0(VALU_DEP_1) | instskip(NEXT) | instid1(VALU_DEP_1)
	v_mad_u64_u32 v[23:24], null, s23, s15, v[22:23]
	v_mov_b32_e32 v22, v23
	s_delay_alu instid0(VALU_DEP_1)
	v_cmpx_gt_i64_e64 s[12:13], v[21:22]
	s_cbranch_execz .LBB85_29
; %bb.31:                               ;   in Loop: Header=BB85_30 Depth=1
	v_mul_lo_u32 v24, v22, s20
	v_mul_lo_u32 v25, v21, s21
	v_mad_u64_u32 v[22:23], null, v21, s20, 0
	s_delay_alu instid0(VALU_DEP_1) | instskip(NEXT) | instid1(VALU_DEP_2)
	v_add3_u32 v23, v23, v25, v24
	v_add_co_u32 v24, vcc_lo, v22, s20
	v_add_co_u32 v31, s3, v22, v4
	s_delay_alu instid0(VALU_DEP_3) | instskip(SKIP_2) | instid1(VALU_DEP_2)
	v_add_co_ci_u32_e32 v25, vcc_lo, s21, v23, vcc_lo
	v_add_co_ci_u32_e64 v21, s3, 0, v23, s3
	s_mov_b32 s3, exec_lo
	v_cmp_gt_i64_e32 vcc_lo, s[18:19], v[24:25]
	v_cndmask_b32_e32 v25, s19, v25, vcc_lo
	v_cndmask_b32_e32 v24, s18, v24, vcc_lo
	v_add_co_u32 v26, vcc_lo, v31, 32
	v_add_co_ci_u32_e32 v27, vcc_lo, 0, v21, vcc_lo
	v_lshlrev_b32_e32 v21, 2, v31
	s_delay_alu instid0(VALU_DEP_2)
	v_cmpx_lt_i64_e64 v[26:27], v[24:25]
	s_cbranch_execz .LBB85_34
; %bb.32:                               ;   in Loop: Header=BB85_30 Depth=1
	ds_load_b32 v33, v21
	v_mov_b32_e32 v32, v30
	s_mov_b32 s31, 0
.LBB85_33:                              ;   Parent Loop BB85_30 Depth=1
                                        ; =>  This Inner Loop Header: Depth=2
	ds_load_b32 v34, v32
	v_add_co_u32 v26, vcc_lo, v26, 32
	v_add_co_ci_u32_e32 v27, vcc_lo, 0, v27, vcc_lo
	s_waitcnt lgkmcnt(1)
	v_dual_max_f32 v33, v33, v33 :: v_dual_add_nc_u32 v32, 0x80, v32
	s_delay_alu instid0(VALU_DEP_2) | instskip(SKIP_3) | instid1(VALU_DEP_1)
	v_cmp_ge_i64_e32 vcc_lo, v[26:27], v[24:25]
	s_or_b32 s31, vcc_lo, s31
	s_waitcnt lgkmcnt(0)
	v_max_f32_e32 v34, v34, v34
	v_max_f32_e32 v33, v33, v34
	ds_store_b32 v21, v33
	s_and_not1_b32 exec_lo, exec_lo, s31
	s_cbranch_execnz .LBB85_33
.LBB85_34:                              ;   in Loop: Header=BB85_30 Depth=1
	s_or_b32 exec_lo, exec_lo, s3
	v_sub_co_u32 v22, vcc_lo, v24, v22
	v_sub_co_ci_u32_e32 v23, vcc_lo, v25, v23, vcc_lo
	s_mov_b32 s3, exec_lo
	s_delay_alu instid0(VALU_DEP_1) | instskip(SKIP_1) | instid1(VALU_DEP_1)
	v_cmp_gt_i64_e32 vcc_lo, 32, v[22:23]
	v_dual_cndmask_b32 v24, 0, v23 :: v_dual_cndmask_b32 v23, 32, v22
	v_cmpx_lt_i64_e64 v[11:12], v[23:24]
	s_cbranch_execz .LBB85_36
; %bb.35:                               ;   in Loop: Header=BB85_30 Depth=1
	v_dual_mov_b32 v22, s25 :: v_dual_add_nc_u32 v25, 64, v21
	v_mov_b32_e32 v26, s25
	flat_load_b32 v27, v[21:22] glc dlc
	s_waitcnt vmcnt(0)
	flat_load_b32 v25, v[25:26] glc dlc
	s_waitcnt vmcnt(0) lgkmcnt(0)
	v_dual_max_f32 v26, v27, v27 :: v_dual_max_f32 v25, v25, v25
	s_delay_alu instid0(VALU_DEP_1)
	v_max_f32_e32 v25, v26, v25
	flat_store_b32 v[21:22], v25 dlc
	s_waitcnt_vscnt null, 0x0
.LBB85_36:                              ;   in Loop: Header=BB85_30 Depth=1
	s_or_b32 exec_lo, exec_lo, s3
	s_delay_alu instid0(SALU_CYCLE_1)
	s_mov_b32 s3, exec_lo
	v_cmpx_lt_i64_e64 v[13:14], v[23:24]
	s_cbranch_execz .LBB85_38
; %bb.37:                               ;   in Loop: Header=BB85_30 Depth=1
	v_dual_mov_b32 v22, s25 :: v_dual_add_nc_u32 v25, 32, v21
	v_mov_b32_e32 v26, s25
	flat_load_b32 v27, v[21:22] glc dlc
	s_waitcnt vmcnt(0)
	flat_load_b32 v25, v[25:26] glc dlc
	s_waitcnt vmcnt(0) lgkmcnt(0)
	v_dual_max_f32 v26, v27, v27 :: v_dual_max_f32 v25, v25, v25
	s_delay_alu instid0(VALU_DEP_1)
	v_max_f32_e32 v25, v26, v25
	flat_store_b32 v[21:22], v25 dlc
	s_waitcnt_vscnt null, 0x0
.LBB85_38:                              ;   in Loop: Header=BB85_30 Depth=1
	s_or_b32 exec_lo, exec_lo, s3
	s_delay_alu instid0(SALU_CYCLE_1)
	s_mov_b32 s3, exec_lo
	v_cmpx_ge_i64_e64 v[15:16], v[23:24]
	s_xor_b32 s3, exec_lo, s3
; %bb.39:                               ;   in Loop: Header=BB85_30 Depth=1
                                        ; implicit-def: $vgpr21
; %bb.40:                               ;   in Loop: Header=BB85_30 Depth=1
	s_delay_alu instid0(SALU_CYCLE_1)
	s_and_not1_saveexec_b32 s3, s3
	s_cbranch_execz .LBB85_42
; %bb.41:                               ;   in Loop: Header=BB85_30 Depth=1
	v_dual_mov_b32 v22, s25 :: v_dual_add_nc_u32 v25, 16, v21
	v_mov_b32_e32 v26, s25
	flat_load_b32 v27, v[21:22] glc dlc
	s_waitcnt vmcnt(0)
	flat_load_b32 v25, v[25:26] glc dlc
	s_waitcnt vmcnt(0) lgkmcnt(0)
	v_dual_max_f32 v26, v27, v27 :: v_dual_max_f32 v25, v25, v25
	s_delay_alu instid0(VALU_DEP_1)
	v_max_f32_e32 v25, v26, v25
	flat_store_b32 v[21:22], v25 dlc
	s_waitcnt_vscnt null, 0x0
.LBB85_42:                              ;   in Loop: Header=BB85_30 Depth=1
	s_or_b32 exec_lo, exec_lo, s3
	v_lshlrev_b32_e32 v21, 2, v31
	s_mov_b32 s3, exec_lo
	v_cmpx_lt_i64_e64 v[17:18], v[23:24]
	s_cbranch_execz .LBB85_44
; %bb.43:                               ;   in Loop: Header=BB85_30 Depth=1
	s_delay_alu instid0(VALU_DEP_2)
	v_dual_mov_b32 v22, s25 :: v_dual_add_nc_u32 v25, 8, v21
	v_mov_b32_e32 v26, s25
	flat_load_b32 v27, v[21:22] glc dlc
	s_waitcnt vmcnt(0)
	flat_load_b32 v25, v[25:26] glc dlc
	s_waitcnt vmcnt(0) lgkmcnt(0)
	v_dual_max_f32 v26, v27, v27 :: v_dual_max_f32 v25, v25, v25
	s_delay_alu instid0(VALU_DEP_1)
	v_max_f32_e32 v25, v26, v25
	flat_store_b32 v[21:22], v25 dlc
	s_waitcnt_vscnt null, 0x0
.LBB85_44:                              ;   in Loop: Header=BB85_30 Depth=1
	s_or_b32 exec_lo, exec_lo, s3
	s_delay_alu instid0(SALU_CYCLE_1)
	s_mov_b32 s3, exec_lo
	v_cmpx_lt_i64_e64 v[19:20], v[23:24]
	s_cbranch_execz .LBB85_28
; %bb.45:                               ;   in Loop: Header=BB85_30 Depth=1
	v_dual_mov_b32 v22, s25 :: v_dual_add_nc_u32 v23, 4, v21
	v_mov_b32_e32 v24, s25
	flat_load_b32 v25, v[21:22] glc dlc
	s_waitcnt vmcnt(0)
	flat_load_b32 v23, v[23:24] glc dlc
	s_waitcnt vmcnt(0) lgkmcnt(0)
	v_dual_max_f32 v24, v25, v25 :: v_dual_max_f32 v23, v23, v23
	s_delay_alu instid0(VALU_DEP_1)
	v_max_f32_e32 v23, v24, v23
	flat_store_b32 v[21:22], v23 dlc
	s_waitcnt_vscnt null, 0x0
	s_branch .LBB85_28
.LBB85_46:
	s_load_b64 s[8:9], s[0:1], 0x40
	v_cmp_lt_i64_e32 vcc_lo, v[7:8], v[5:6]
	v_cmp_eq_u32_e64 s3, 0, v3
	s_waitcnt lgkmcnt(0)
	s_barrier
	buffer_gl0_inv
	s_and_b32 s12, s3, vcc_lo
	s_delay_alu instid0(SALU_CYCLE_1)
	s_and_saveexec_b32 s3, s12
	s_cbranch_execz .LBB85_53
; %bb.47:
	s_load_b64 s[0:1], s[0:1], 0x20
	ds_load_b32 v5, v29
	s_waitcnt lgkmcnt(0)
	s_cmp_eq_u64 s[0:1], 0
	s_cbranch_scc1 .LBB85_49
; %bb.48:
	s_load_b32 s0, s[0:1], 0x0
	v_max_f32_e32 v3, v5, v5
	s_waitcnt lgkmcnt(0)
	v_max_f32_e64 v4, s0, s0
	s_delay_alu instid0(VALU_DEP_1)
	v_min_f32_e32 v5, v3, v4
.LBB85_49:
	s_add_u32 s0, s8, s29
	s_addc_u32 s1, s9, 0
	s_add_u32 s12, s0, -1
	s_addc_u32 s13, s1, -1
	s_delay_alu instid0(SALU_CYCLE_1) | instskip(SKIP_1) | instid1(SALU_CYCLE_1)
	s_or_b64 s[20:21], s[12:13], s[8:9]
	s_mov_b32 s20, 0
	s_cmp_lg_u64 s[20:21], 0
	s_cbranch_scc0 .LBB85_194
; %bb.50:
	s_ashr_i32 s0, s9, 31
	s_delay_alu instid0(SALU_CYCLE_1) | instskip(SKIP_2) | instid1(SALU_CYCLE_1)
	s_add_u32 s22, s8, s0
	s_mov_b32 s1, s0
	s_addc_u32 s23, s9, s0
	s_xor_b64 s[0:1], s[22:23], s[0:1]
	s_delay_alu instid0(SALU_CYCLE_1) | instskip(SKIP_3) | instid1(VALU_DEP_1)
	v_cvt_f32_u32_e32 v3, s0
	v_cvt_f32_u32_e32 v4, s1
	s_sub_u32 s22, 0, s0
	s_subb_u32 s23, 0, s1
	v_fmamk_f32 v3, v4, 0x4f800000, v3
	s_delay_alu instid0(VALU_DEP_1) | instskip(SKIP_2) | instid1(VALU_DEP_1)
	v_rcp_f32_e32 v3, v3
	s_waitcnt_depctr 0xfff
	v_mul_f32_e32 v3, 0x5f7ffffc, v3
	v_mul_f32_e32 v4, 0x2f800000, v3
	s_delay_alu instid0(VALU_DEP_1) | instskip(NEXT) | instid1(VALU_DEP_1)
	v_trunc_f32_e32 v4, v4
	v_fmamk_f32 v3, v4, 0xcf800000, v3
	v_cvt_u32_f32_e32 v4, v4
	s_delay_alu instid0(VALU_DEP_2) | instskip(NEXT) | instid1(VALU_DEP_2)
	v_cvt_u32_f32_e32 v3, v3
	v_readfirstlane_b32 s15, v4
	s_delay_alu instid0(VALU_DEP_2) | instskip(NEXT) | instid1(VALU_DEP_2)
	v_readfirstlane_b32 s21, v3
	s_mul_i32 s24, s22, s15
	s_delay_alu instid0(VALU_DEP_1)
	s_mul_hi_u32 s30, s22, s21
	s_mul_i32 s25, s23, s21
	s_add_i32 s24, s30, s24
	s_mul_i32 s31, s22, s21
	s_add_i32 s24, s24, s25
	s_mul_hi_u32 s30, s21, s31
	s_mul_hi_u32 s33, s15, s31
	s_mul_i32 s25, s15, s31
	s_mul_hi_u32 s31, s21, s24
	s_mul_i32 s21, s21, s24
	s_mul_hi_u32 s34, s15, s24
	s_add_u32 s21, s30, s21
	s_addc_u32 s30, 0, s31
	s_add_u32 s21, s21, s25
	s_mul_i32 s24, s15, s24
	s_addc_u32 s21, s30, s33
	s_addc_u32 s25, s34, 0
	s_add_u32 s21, s21, s24
	s_addc_u32 s24, 0, s25
	v_add_co_u32 v3, s21, v3, s21
	s_delay_alu instid0(VALU_DEP_1) | instskip(SKIP_1) | instid1(VALU_DEP_1)
	s_cmp_lg_u32 s21, 0
	s_addc_u32 s15, s15, s24
	v_readfirstlane_b32 s21, v3
	s_mul_i32 s24, s22, s15
	s_delay_alu instid0(VALU_DEP_1)
	s_mul_hi_u32 s25, s22, s21
	s_mul_i32 s23, s23, s21
	s_add_i32 s24, s25, s24
	s_mul_i32 s22, s22, s21
	s_add_i32 s24, s24, s23
	s_mul_hi_u32 s25, s15, s22
	s_mul_i32 s30, s15, s22
	s_mul_hi_u32 s22, s21, s22
	s_mul_hi_u32 s31, s21, s24
	s_mul_i32 s21, s21, s24
	s_mul_hi_u32 s23, s15, s24
	s_add_u32 s21, s22, s21
	s_addc_u32 s22, 0, s31
	s_add_u32 s21, s21, s30
	s_mul_i32 s24, s15, s24
	s_addc_u32 s21, s22, s25
	s_addc_u32 s22, s23, 0
	s_add_u32 s21, s21, s24
	s_addc_u32 s22, 0, s22
	v_add_co_u32 v3, s21, v3, s21
	s_delay_alu instid0(VALU_DEP_1) | instskip(SKIP_2) | instid1(VALU_DEP_1)
	s_cmp_lg_u32 s21, 0
	s_addc_u32 s15, s15, s22
	s_ashr_i32 s22, s13, 31
	v_readfirstlane_b32 s21, v3
	s_add_u32 s24, s12, s22
	s_mov_b32 s23, s22
	s_addc_u32 s25, s13, s22
	s_delay_alu instid0(SALU_CYCLE_1) | instskip(NEXT) | instid1(SALU_CYCLE_1)
	s_xor_b64 s[24:25], s[24:25], s[22:23]
	s_mul_i32 s30, s24, s15
	s_mul_hi_u32 s31, s24, s21
	s_mul_hi_u32 s23, s24, s15
	;; [unrolled: 1-line block ×3, first 2 shown]
	s_mul_i32 s21, s25, s21
	s_add_u32 s30, s31, s30
	s_addc_u32 s23, 0, s23
	s_mul_hi_u32 s33, s25, s15
	s_add_u32 s21, s30, s21
	s_mul_i32 s15, s25, s15
	s_addc_u32 s21, s23, s34
	s_addc_u32 s23, s33, 0
	s_add_u32 s15, s21, s15
	s_addc_u32 s21, 0, s23
	s_mul_hi_u32 s23, s0, s15
	s_mul_i32 s21, s0, s21
	s_mul_i32 s30, s1, s15
	;; [unrolled: 1-line block ×3, first 2 shown]
	s_add_i32 s21, s23, s21
	v_sub_co_u32 v3, s15, s24, s15
	s_add_i32 s21, s21, s30
	s_delay_alu instid0(SALU_CYCLE_1) | instskip(SKIP_1) | instid1(VALU_DEP_1)
	s_sub_i32 s23, s25, s21
	s_cmp_lg_u32 s15, 0
	v_sub_co_u32 v4, s24, v3, s0
	s_subb_u32 s23, s23, s1
	s_cmp_lg_u32 s24, 0
	s_subb_u32 s30, s23, 0
	s_delay_alu instid0(VALU_DEP_1)
	v_cmp_le_u32_e32 vcc_lo, s0, v4
	s_cmp_ge_u32 s30, s1
	s_cselect_b32 s31, -1, 0
	s_cmp_eq_u32 s30, s1
	v_cndmask_b32_e64 v6, 0, -1, vcc_lo
	s_cselect_b32 vcc_lo, -1, 0
	s_cmp_lg_u32 s24, 0
	v_sub_co_u32 v7, s24, v4, s0
	s_subb_u32 s23, s23, s1
	s_cmp_lg_u32 s24, 0
	v_cndmask_b32_e32 v6, s31, v6, vcc_lo
	s_subb_u32 s23, s23, 0
	s_cmp_lg_u32 s15, 0
	v_cmp_le_u32_e32 vcc_lo, s0, v3
	s_subb_u32 s15, s25, s21
	s_delay_alu instid0(SALU_CYCLE_1)
	s_cmp_ge_u32 s15, s1
	v_cndmask_b32_e64 v8, 0, -1, vcc_lo
	s_cselect_b32 s21, -1, 0
	s_cmp_eq_u32 s15, s1
	v_cmp_ne_u32_e32 vcc_lo, 0, v6
	v_mov_b32_e32 v6, s23
	s_cselect_b32 s0, -1, 0
	s_delay_alu instid0(SALU_CYCLE_1) | instskip(SKIP_1) | instid1(VALU_DEP_3)
	v_cndmask_b32_e64 v8, s21, v8, s0
	v_cndmask_b32_e32 v4, v4, v7, vcc_lo
	v_cndmask_b32_e32 v6, s30, v6, vcc_lo
	s_delay_alu instid0(VALU_DEP_3) | instskip(NEXT) | instid1(VALU_DEP_3)
	v_cmp_ne_u32_e32 vcc_lo, 0, v8
	v_cndmask_b32_e32 v3, v3, v4, vcc_lo
	s_delay_alu instid0(VALU_DEP_3) | instskip(NEXT) | instid1(VALU_DEP_2)
	v_cndmask_b32_e32 v6, s15, v6, vcc_lo
	v_xor_b32_e32 v3, s22, v3
	s_delay_alu instid0(VALU_DEP_2) | instskip(NEXT) | instid1(VALU_DEP_2)
	v_xor_b32_e32 v4, s22, v6
	v_sub_co_u32 v3, vcc_lo, v3, s22
	s_delay_alu instid0(VALU_DEP_2)
	v_subrev_co_ci_u32_e32 v4, vcc_lo, s22, v4, vcc_lo
	s_and_not1_b32 vcc_lo, exec_lo, s20
	s_cbranch_vccnz .LBB85_52
.LBB85_51:
	v_cvt_f32_u32_e32 v3, s8
	s_sub_i32 s0, 0, s8
	s_delay_alu instid0(VALU_DEP_1) | instskip(SKIP_2) | instid1(VALU_DEP_1)
	v_rcp_iflag_f32_e32 v3, v3
	s_waitcnt_depctr 0xfff
	v_mul_f32_e32 v3, 0x4f7ffffe, v3
	v_cvt_u32_f32_e32 v3, v3
	s_delay_alu instid0(VALU_DEP_1) | instskip(NEXT) | instid1(VALU_DEP_1)
	v_mul_lo_u32 v4, s0, v3
	v_mul_hi_u32 v4, v3, v4
	s_delay_alu instid0(VALU_DEP_1) | instskip(NEXT) | instid1(VALU_DEP_1)
	v_add_nc_u32_e32 v3, v3, v4
	v_mul_hi_u32 v3, s12, v3
	s_delay_alu instid0(VALU_DEP_1) | instskip(NEXT) | instid1(VALU_DEP_1)
	v_mul_lo_u32 v3, v3, s8
	v_sub_nc_u32_e32 v3, s12, v3
	s_delay_alu instid0(VALU_DEP_1) | instskip(SKIP_1) | instid1(VALU_DEP_2)
	v_subrev_nc_u32_e32 v4, s8, v3
	v_cmp_le_u32_e32 vcc_lo, s8, v3
	v_cndmask_b32_e32 v3, v3, v4, vcc_lo
	s_delay_alu instid0(VALU_DEP_1) | instskip(SKIP_1) | instid1(VALU_DEP_2)
	v_subrev_nc_u32_e32 v4, s8, v3
	v_cmp_le_u32_e32 vcc_lo, s8, v3
	v_dual_cndmask_b32 v3, v3, v4 :: v_dual_mov_b32 v4, 0
.LBB85_52:
	v_div_scale_f32 v6, null, 0x43600000, 0x43600000, v5
	v_div_scale_f32 v9, vcc_lo, v5, 0x43600000, v5
	s_delay_alu instid0(VALU_DEP_3) | instskip(NEXT) | instid1(VALU_DEP_3)
	v_sub_co_u32 v10, s0, s12, v3
	v_rcp_f32_e32 v7, v6
	v_sub_co_ci_u32_e64 v3, s0, s13, v4, s0
	s_lshl_b64 s[0:1], s[16:17], 2
	s_delay_alu instid0(SALU_CYCLE_1) | instskip(NEXT) | instid1(VALU_DEP_1)
	s_add_u32 s0, s0, s6
	v_mul_lo_u32 v11, v3, v1
	s_addc_u32 s1, s1, s7
	s_waitcnt_depctr 0xfff
	v_fma_f32 v8, -v6, v7, 1.0
	s_delay_alu instid0(VALU_DEP_1) | instskip(NEXT) | instid1(VALU_DEP_1)
	v_fmac_f32_e32 v7, v8, v7
	v_mul_f32_e32 v8, v9, v7
	s_delay_alu instid0(VALU_DEP_1) | instskip(NEXT) | instid1(VALU_DEP_1)
	v_fma_f32 v4, -v6, v8, v9
	v_fmac_f32_e32 v8, v4, v7
	v_mul_lo_u32 v4, v10, v2
	v_mad_u64_u32 v[2:3], null, v10, v1, 0
	s_delay_alu instid0(VALU_DEP_3) | instskip(NEXT) | instid1(VALU_DEP_2)
	v_fma_f32 v1, -v6, v8, v9
	v_add3_u32 v3, v3, v4, v11
	s_delay_alu instid0(VALU_DEP_2) | instskip(NEXT) | instid1(VALU_DEP_1)
	v_div_fmas_f32 v1, v1, v7, v8
	v_div_fixup_f32 v4, v1, 0x43600000, v5
	s_delay_alu instid0(VALU_DEP_3) | instskip(NEXT) | instid1(VALU_DEP_2)
	v_lshlrev_b64 v[1:2], 2, v[2:3]
	v_max_f32_e32 v3, 0x37124925, v4
	s_delay_alu instid0(VALU_DEP_2) | instskip(NEXT) | instid1(VALU_DEP_3)
	v_add_co_u32 v1, vcc_lo, s0, v1
	v_add_co_ci_u32_e32 v2, vcc_lo, s1, v2, vcc_lo
	global_store_b32 v[1:2], v3, off
.LBB85_53:
	s_or_b32 exec_lo, exec_lo, s3
	s_waitcnt_vscnt null, 0x0
	s_barrier
	buffer_gl0_inv
	s_and_saveexec_b32 s0, s2
	s_cbranch_execz .LBB85_193
; %bb.54:
	s_add_u32 s0, s8, s29
	s_addc_u32 s1, s9, 0
	s_add_u32 s2, s0, -1
	s_addc_u32 s3, s1, -1
	s_delay_alu instid0(SALU_CYCLE_1) | instskip(SKIP_1) | instid1(SALU_CYCLE_1)
	s_or_b64 s[12:13], s[2:3], s[8:9]
	s_mov_b32 s12, 0
	s_cmp_lg_u64 s[12:13], 0
	s_cbranch_scc0 .LBB85_195
; %bb.55:
	s_ashr_i32 s0, s9, 31
	s_delay_alu instid0(SALU_CYCLE_1) | instskip(SKIP_2) | instid1(SALU_CYCLE_1)
	s_add_u32 s20, s8, s0
	s_mov_b32 s1, s0
	s_addc_u32 s21, s9, s0
	s_xor_b64 s[0:1], s[20:21], s[0:1]
	s_delay_alu instid0(SALU_CYCLE_1) | instskip(SKIP_3) | instid1(VALU_DEP_1)
	v_cvt_f32_u32_e32 v1, s0
	v_cvt_f32_u32_e32 v2, s1
	s_sub_u32 s15, 0, s0
	s_subb_u32 s20, 0, s1
	v_fmamk_f32 v1, v2, 0x4f800000, v1
	s_delay_alu instid0(VALU_DEP_1) | instskip(SKIP_2) | instid1(VALU_DEP_1)
	v_rcp_f32_e32 v1, v1
	s_waitcnt_depctr 0xfff
	v_mul_f32_e32 v1, 0x5f7ffffc, v1
	v_mul_f32_e32 v2, 0x2f800000, v1
	s_delay_alu instid0(VALU_DEP_1) | instskip(NEXT) | instid1(VALU_DEP_1)
	v_trunc_f32_e32 v2, v2
	v_fmamk_f32 v1, v2, 0xcf800000, v1
	v_cvt_u32_f32_e32 v2, v2
	s_delay_alu instid0(VALU_DEP_2) | instskip(NEXT) | instid1(VALU_DEP_2)
	v_cvt_u32_f32_e32 v1, v1
	v_readfirstlane_b32 s9, v2
	s_delay_alu instid0(VALU_DEP_2) | instskip(NEXT) | instid1(VALU_DEP_2)
	v_readfirstlane_b32 s13, v1
	s_mul_i32 s21, s15, s9
	s_delay_alu instid0(VALU_DEP_1)
	s_mul_hi_u32 s23, s15, s13
	s_mul_i32 s22, s20, s13
	s_add_i32 s21, s23, s21
	s_mul_i32 s24, s15, s13
	s_add_i32 s21, s21, s22
	s_mul_hi_u32 s23, s13, s24
	s_mul_hi_u32 s25, s9, s24
	s_mul_i32 s22, s9, s24
	s_mul_hi_u32 s24, s13, s21
	s_mul_i32 s13, s13, s21
	s_mul_hi_u32 s29, s9, s21
	s_add_u32 s13, s23, s13
	s_addc_u32 s23, 0, s24
	s_add_u32 s13, s13, s22
	s_mul_i32 s21, s9, s21
	s_addc_u32 s13, s23, s25
	s_addc_u32 s22, s29, 0
	s_add_u32 s13, s13, s21
	s_addc_u32 s21, 0, s22
	v_add_co_u32 v1, s13, v1, s13
	s_delay_alu instid0(VALU_DEP_1) | instskip(SKIP_1) | instid1(VALU_DEP_1)
	s_cmp_lg_u32 s13, 0
	s_addc_u32 s9, s9, s21
	v_readfirstlane_b32 s13, v1
	s_mul_i32 s21, s15, s9
	s_delay_alu instid0(VALU_DEP_1)
	s_mul_hi_u32 s22, s15, s13
	s_mul_i32 s20, s20, s13
	s_add_i32 s21, s22, s21
	s_mul_i32 s15, s15, s13
	s_add_i32 s21, s21, s20
	s_mul_hi_u32 s22, s9, s15
	s_mul_i32 s23, s9, s15
	s_mul_hi_u32 s15, s13, s15
	s_mul_hi_u32 s24, s13, s21
	s_mul_i32 s13, s13, s21
	s_mul_hi_u32 s20, s9, s21
	s_add_u32 s13, s15, s13
	s_addc_u32 s15, 0, s24
	s_add_u32 s13, s13, s23
	s_mul_i32 s21, s9, s21
	s_addc_u32 s13, s15, s22
	s_addc_u32 s15, s20, 0
	s_add_u32 s13, s13, s21
	s_addc_u32 s15, 0, s15
	v_add_co_u32 v1, s13, v1, s13
	s_delay_alu instid0(VALU_DEP_1) | instskip(SKIP_2) | instid1(VALU_DEP_1)
	s_cmp_lg_u32 s13, 0
	s_addc_u32 s9, s9, s15
	s_ashr_i32 s20, s3, 31
	v_readfirstlane_b32 s13, v1
	s_add_u32 s22, s2, s20
	s_mov_b32 s21, s20
	s_addc_u32 s23, s3, s20
	s_delay_alu instid0(SALU_CYCLE_1) | instskip(NEXT) | instid1(SALU_CYCLE_1)
	s_xor_b64 s[22:23], s[22:23], s[20:21]
	s_mul_i32 s21, s22, s9
	s_mul_hi_u32 s24, s22, s13
	s_mul_hi_u32 s15, s22, s9
	;; [unrolled: 1-line block ×3, first 2 shown]
	s_mul_i32 s13, s23, s13
	s_add_u32 s21, s24, s21
	s_addc_u32 s15, 0, s15
	s_mul_hi_u32 s25, s23, s9
	s_add_u32 s13, s21, s13
	s_mul_i32 s9, s23, s9
	s_addc_u32 s13, s15, s29
	s_addc_u32 s15, s25, 0
	s_add_u32 s9, s13, s9
	s_addc_u32 s13, 0, s15
	s_mul_hi_u32 s15, s0, s9
	s_mul_i32 s13, s0, s13
	s_mul_i32 s21, s1, s9
	;; [unrolled: 1-line block ×3, first 2 shown]
	s_add_i32 s13, s15, s13
	v_sub_co_u32 v1, s9, s22, s9
	s_add_i32 s13, s13, s21
	s_delay_alu instid0(SALU_CYCLE_1) | instskip(SKIP_1) | instid1(VALU_DEP_1)
	s_sub_i32 s15, s23, s13
	s_cmp_lg_u32 s9, 0
	v_sub_co_u32 v2, s21, v1, s0
	s_subb_u32 s15, s15, s1
	s_cmp_lg_u32 s21, 0
	s_subb_u32 s22, s15, 0
	s_delay_alu instid0(VALU_DEP_1)
	v_cmp_le_u32_e32 vcc_lo, s0, v2
	s_cmp_ge_u32 s22, s1
	s_cselect_b32 s24, -1, 0
	s_cmp_eq_u32 s22, s1
	v_cndmask_b32_e64 v3, 0, -1, vcc_lo
	s_cselect_b32 vcc_lo, -1, 0
	s_cmp_lg_u32 s21, 0
	v_sub_co_u32 v4, s21, v2, s0
	s_subb_u32 s15, s15, s1
	s_cmp_lg_u32 s21, 0
	v_cndmask_b32_e32 v3, s24, v3, vcc_lo
	s_subb_u32 s15, s15, 0
	s_cmp_lg_u32 s9, 0
	v_cmp_le_u32_e32 vcc_lo, s0, v1
	s_subb_u32 s9, s23, s13
	s_delay_alu instid0(SALU_CYCLE_1)
	s_cmp_ge_u32 s9, s1
	v_cndmask_b32_e64 v5, 0, -1, vcc_lo
	s_cselect_b32 s13, -1, 0
	s_cmp_eq_u32 s9, s1
	v_cmp_ne_u32_e32 vcc_lo, 0, v3
	v_mov_b32_e32 v3, s15
	s_cselect_b32 s0, -1, 0
	s_delay_alu instid0(SALU_CYCLE_1) | instskip(SKIP_1) | instid1(VALU_DEP_3)
	v_cndmask_b32_e64 v5, s13, v5, s0
	v_cndmask_b32_e32 v2, v2, v4, vcc_lo
	v_cndmask_b32_e32 v3, s22, v3, vcc_lo
	s_delay_alu instid0(VALU_DEP_3) | instskip(NEXT) | instid1(VALU_DEP_3)
	v_cmp_ne_u32_e32 vcc_lo, 0, v5
	v_cndmask_b32_e32 v1, v1, v2, vcc_lo
	s_delay_alu instid0(VALU_DEP_3) | instskip(NEXT) | instid1(VALU_DEP_2)
	v_cndmask_b32_e32 v3, s9, v3, vcc_lo
	v_xor_b32_e32 v1, s20, v1
	s_delay_alu instid0(VALU_DEP_2) | instskip(NEXT) | instid1(VALU_DEP_2)
	v_xor_b32_e32 v2, s20, v3
	v_sub_co_u32 v1, vcc_lo, v1, s20
	s_delay_alu instid0(VALU_DEP_2)
	v_subrev_co_ci_u32_e32 v2, vcc_lo, s20, v2, vcc_lo
	s_and_not1_b32 vcc_lo, exec_lo, s12
	s_cbranch_vccnz .LBB85_57
.LBB85_56:
	v_cvt_f32_u32_e32 v1, s8
	s_sub_i32 s0, 0, s8
	s_delay_alu instid0(VALU_DEP_1) | instskip(SKIP_2) | instid1(VALU_DEP_1)
	v_rcp_iflag_f32_e32 v1, v1
	s_waitcnt_depctr 0xfff
	v_mul_f32_e32 v1, 0x4f7ffffe, v1
	v_cvt_u32_f32_e32 v1, v1
	s_delay_alu instid0(VALU_DEP_1) | instskip(NEXT) | instid1(VALU_DEP_1)
	v_mul_lo_u32 v2, s0, v1
	v_mul_hi_u32 v2, v1, v2
	s_delay_alu instid0(VALU_DEP_1) | instskip(NEXT) | instid1(VALU_DEP_1)
	v_add_nc_u32_e32 v1, v1, v2
	v_mul_hi_u32 v1, s2, v1
	s_delay_alu instid0(VALU_DEP_1) | instskip(NEXT) | instid1(VALU_DEP_1)
	v_mul_lo_u32 v1, v1, s8
	v_sub_nc_u32_e32 v1, s2, v1
	s_delay_alu instid0(VALU_DEP_1) | instskip(SKIP_1) | instid1(VALU_DEP_2)
	v_subrev_nc_u32_e32 v2, s8, v1
	v_cmp_le_u32_e32 vcc_lo, s8, v1
	v_cndmask_b32_e32 v1, v1, v2, vcc_lo
	s_delay_alu instid0(VALU_DEP_1) | instskip(SKIP_1) | instid1(VALU_DEP_2)
	v_subrev_nc_u32_e32 v2, s8, v1
	v_cmp_le_u32_e32 vcc_lo, s8, v1
	v_dual_cndmask_b32 v1, v1, v2 :: v_dual_mov_b32 v2, 0
.LBB85_57:
	s_mul_i32 s0, s19, s16
	s_mul_hi_u32 s1, s18, s16
	s_mul_i32 s8, s18, s16
	s_add_i32 s1, s1, s0
	v_sub_co_u32 v9, vcc_lo, s2, v1
	s_add_u32 s0, s4, s8
	s_addc_u32 s1, s5, s1
	s_lshl_b64 s[4:5], s[16:17], 2
	v_sub_co_ci_u32_e32 v10, vcc_lo, s3, v2, vcc_lo
	v_mov_b32_e32 v1, 0
	s_add_u32 s4, s6, s4
	s_addc_u32 s5, s7, s5
	s_mul_i32 s2, s28, 3
	s_lshl_b32 s3, s28, 1
	s_mov_b32 s6, 0
	s_mov_b32 s7, 0x43600000
	s_branch .LBB85_63
.LBB85_58:                              ;   in Loop: Header=BB85_63 Depth=1
	s_or_b32 exec_lo, exec_lo, s16
.LBB85_59:                              ;   in Loop: Header=BB85_63 Depth=1
	s_delay_alu instid0(SALU_CYCLE_1)
	s_or_b32 exec_lo, exec_lo, s13
	v_lshlrev_b32_e32 v6, 16, v5
	v_lshlrev_b64 v[4:5], 2, v[0:1]
	v_lshlrev_b32_e32 v8, 8, v11
	s_add_i32 s13, s28, s28
	v_and_b32_e32 v7, 0xff, v7
	v_add3_u32 v0, s13, s28, v2
	v_perm_b32 v6, v3, v6, 0x4020c0c
	v_and_b32_e32 v8, 0xff00, v8
	v_add_co_u32 v2, vcc_lo, s0, v4
	v_add_co_ci_u32_e32 v3, vcc_lo, s1, v5, vcc_lo
	v_cmp_le_u32_e32 vcc_lo, s14, v0
	s_delay_alu instid0(VALU_DEP_4)
	v_or3_b32 v4, v6, v8, v7
	s_or_not1_b32 s13, vcc_lo, exec_lo
	global_store_b32 v[2:3], v4, off
.LBB85_60:                              ;   in Loop: Header=BB85_63 Depth=1
	s_or_b32 exec_lo, exec_lo, s12
	s_delay_alu instid0(SALU_CYCLE_1)
	s_or_not1_b32 s12, s13, exec_lo
.LBB85_61:                              ;   in Loop: Header=BB85_63 Depth=1
	s_or_b32 exec_lo, exec_lo, s9
	s_delay_alu instid0(SALU_CYCLE_1)
	s_or_not1_b32 s9, s12, exec_lo
.LBB85_62:                              ;   in Loop: Header=BB85_63 Depth=1
	s_or_b32 exec_lo, exec_lo, s8
	s_delay_alu instid0(SALU_CYCLE_1) | instskip(NEXT) | instid1(SALU_CYCLE_1)
	s_and_b32 s8, exec_lo, s9
	s_or_b32 s6, s8, s6
	s_delay_alu instid0(SALU_CYCLE_1)
	s_and_not1_b32 exec_lo, exec_lo, s6
	s_cbranch_execz .LBB85_193
.LBB85_63:                              ; =>This Inner Loop Header: Depth=1
	v_lshlrev_b64 v[4:5], 3, v[0:1]
	v_bfe_u32 v8, v0, 4, 26
	s_mov_b32 s8, exec_lo
	s_delay_alu instid0(VALU_DEP_1) | instskip(NEXT) | instid1(VALU_DEP_3)
	v_mad_u64_u32 v[6:7], null, v9, v8, 0
	v_add_co_u32 v2, vcc_lo, s26, v4
	s_delay_alu instid0(VALU_DEP_4)
	v_add_co_ci_u32_e32 v3, vcc_lo, s27, v5, vcc_lo
	v_add_co_u32 v4, vcc_lo, s10, v4
	v_add_co_ci_u32_e32 v5, vcc_lo, s11, v5, vcc_lo
	global_load_b64 v[2:3], v[2:3], off
	v_mad_u64_u32 v[11:12], null, v10, v8, v[7:8]
	global_load_b64 v[4:5], v[4:5], off
	v_mov_b32_e32 v7, v11
	s_delay_alu instid0(VALU_DEP_1) | instskip(NEXT) | instid1(VALU_DEP_1)
	v_lshlrev_b64 v[6:7], 2, v[6:7]
	v_add_co_u32 v6, vcc_lo, s4, v6
	s_delay_alu instid0(VALU_DEP_2)
	v_add_co_ci_u32_e32 v7, vcc_lo, s5, v7, vcc_lo
	global_load_b32 v6, v[6:7], off
	s_waitcnt vmcnt(2)
	v_lshlrev_b32_e32 v7, 16, v2
	s_waitcnt vmcnt(1)
	v_lshlrev_b32_e32 v11, 16, v4
	s_delay_alu instid0(VALU_DEP_2) | instskip(NEXT) | instid1(VALU_DEP_1)
	v_mul_f32_e32 v7, v28, v7
	v_bfe_u32 v8, v7, 16, 1
	v_cmp_o_f32_e32 vcc_lo, v7, v7
	s_delay_alu instid0(VALU_DEP_2) | instskip(NEXT) | instid1(VALU_DEP_1)
	v_add3_u32 v8, v7, v8, 0x7fff
	v_and_b32_e32 v8, 0xffff0000, v8
	s_delay_alu instid0(VALU_DEP_1) | instskip(NEXT) | instid1(VALU_DEP_1)
	v_cndmask_b32_e32 v7, 0x7fc00000, v8, vcc_lo
	v_mul_f32_e32 v7, v7, v11
	s_delay_alu instid0(VALU_DEP_1) | instskip(SKIP_1) | instid1(VALU_DEP_2)
	v_bfe_u32 v8, v7, 16, 1
	v_cmp_o_f32_e32 vcc_lo, v7, v7
	v_add3_u32 v8, v7, v8, 0x7fff
	s_delay_alu instid0(VALU_DEP_1) | instskip(NEXT) | instid1(VALU_DEP_1)
	v_and_b32_e32 v8, 0xffff0000, v8
	v_cndmask_b32_e32 v7, 0x7fc00000, v8, vcc_lo
	s_waitcnt vmcnt(0)
	s_delay_alu instid0(VALU_DEP_1) | instskip(SKIP_1) | instid1(VALU_DEP_2)
	v_div_scale_f32 v8, null, v6, v6, v7
	v_div_scale_f32 v13, vcc_lo, v7, v6, v7
	v_rcp_f32_e32 v11, v8
	s_waitcnt_depctr 0xfff
	v_fma_f32 v12, -v8, v11, 1.0
	s_delay_alu instid0(VALU_DEP_1) | instskip(NEXT) | instid1(VALU_DEP_1)
	v_fmac_f32_e32 v11, v12, v11
	v_mul_f32_e32 v12, v13, v11
	s_delay_alu instid0(VALU_DEP_1) | instskip(NEXT) | instid1(VALU_DEP_1)
	v_fma_f32 v14, -v8, v12, v13
	v_fmac_f32_e32 v12, v14, v11
	s_delay_alu instid0(VALU_DEP_1) | instskip(NEXT) | instid1(VALU_DEP_1)
	v_fma_f32 v8, -v8, v12, v13
	v_div_fmas_f32 v8, v8, v11, v12
	s_delay_alu instid0(VALU_DEP_1) | instskip(SKIP_1) | instid1(VALU_DEP_2)
	v_div_fixup_f32 v7, v8, v6, v7
	v_mov_b32_e32 v8, 0x80
	v_minmax_f32 v11, v7, s7, 0xc3600000
	v_mov_b32_e32 v7, 0x80
	s_delay_alu instid0(VALU_DEP_2) | instskip(NEXT) | instid1(VALU_DEP_1)
	v_and_b32_e32 v12, 0x7fffffff, v11
	v_cmpx_gt_u32_e32 0x43800000, v12
	s_cbranch_execz .LBB85_69
; %bb.64:                               ;   in Loop: Header=BB85_63 Depth=1
	v_cmp_lt_u32_e32 vcc_lo, 0x3bffffff, v12
	s_mov_b32 s9, 0
                                        ; implicit-def: $vgpr12
	s_and_saveexec_b32 s12, vcc_lo
	s_delay_alu instid0(SALU_CYCLE_1)
	s_xor_b32 s12, exec_lo, s12
	s_cbranch_execnz .LBB85_160
; %bb.65:                               ;   in Loop: Header=BB85_63 Depth=1
	s_or_saveexec_b32 s12, s12
                                        ; implicit-def: $sgpr13
	s_delay_alu instid0(SALU_CYCLE_1)
	s_xor_b32 exec_lo, exec_lo, s12
	s_cbranch_execnz .LBB85_161
.LBB85_66:                              ;   in Loop: Header=BB85_63 Depth=1
	s_or_b32 exec_lo, exec_lo, s12
	v_mov_b32_e32 v8, s13
	s_and_saveexec_b32 s12, s9
.LBB85_67:                              ;   in Loop: Header=BB85_63 Depth=1
	v_lshrrev_b32_e32 v8, 24, v11
	s_delay_alu instid0(VALU_DEP_1)
	v_and_or_b32 v8, 0x80, v8, v12
.LBB85_68:                              ;   in Loop: Header=BB85_63 Depth=1
	s_or_b32 exec_lo, exec_lo, s12
.LBB85_69:                              ;   in Loop: Header=BB85_63 Depth=1
	s_delay_alu instid0(SALU_CYCLE_1) | instskip(SKIP_3) | instid1(VALU_DEP_2)
	s_or_b32 exec_lo, exec_lo, s8
	v_and_b32_e32 v11, 0xffff0000, v2
	v_and_b32_e32 v13, 0xffff0000, v4
	s_mov_b32 s8, exec_lo
	v_mul_f32_e32 v11, v28, v11
	s_delay_alu instid0(VALU_DEP_1) | instskip(NEXT) | instid1(VALU_DEP_1)
	v_bfe_u32 v12, v11, 16, 1
	v_add3_u32 v12, v11, v12, 0x7fff
	s_delay_alu instid0(VALU_DEP_1) | instskip(SKIP_1) | instid1(VALU_DEP_2)
	v_and_b32_e32 v12, 0xffff0000, v12
	v_cmp_o_f32_e32 vcc_lo, v11, v11
	v_cndmask_b32_e32 v11, 0x7fc00000, v12, vcc_lo
	s_delay_alu instid0(VALU_DEP_1) | instskip(NEXT) | instid1(VALU_DEP_1)
	v_mul_f32_e32 v11, v11, v13
	v_bfe_u32 v12, v11, 16, 1
	s_delay_alu instid0(VALU_DEP_1) | instskip(NEXT) | instid1(VALU_DEP_1)
	v_add3_u32 v12, v11, v12, 0x7fff
	v_and_b32_e32 v12, 0xffff0000, v12
	v_cmp_o_f32_e32 vcc_lo, v11, v11
	s_delay_alu instid0(VALU_DEP_2) | instskip(NEXT) | instid1(VALU_DEP_1)
	v_cndmask_b32_e32 v11, 0x7fc00000, v12, vcc_lo
	v_div_scale_f32 v12, null, v6, v6, v11
	s_delay_alu instid0(VALU_DEP_1) | instskip(SKIP_2) | instid1(VALU_DEP_1)
	v_rcp_f32_e32 v13, v12
	s_waitcnt_depctr 0xfff
	v_fma_f32 v14, -v12, v13, 1.0
	v_fmac_f32_e32 v13, v14, v13
	v_div_scale_f32 v14, vcc_lo, v11, v6, v11
	s_delay_alu instid0(VALU_DEP_1) | instskip(NEXT) | instid1(VALU_DEP_1)
	v_mul_f32_e32 v15, v14, v13
	v_fma_f32 v16, -v12, v15, v14
	s_delay_alu instid0(VALU_DEP_1) | instskip(NEXT) | instid1(VALU_DEP_1)
	v_fmac_f32_e32 v15, v16, v13
	v_fma_f32 v12, -v12, v15, v14
	s_delay_alu instid0(VALU_DEP_1) | instskip(NEXT) | instid1(VALU_DEP_1)
	v_div_fmas_f32 v12, v12, v13, v15
	v_div_fixup_f32 v11, v12, v6, v11
	s_delay_alu instid0(VALU_DEP_1) | instskip(NEXT) | instid1(VALU_DEP_1)
	v_minmax_f32 v11, v11, s7, 0xc3600000
	v_and_b32_e32 v12, 0x7fffffff, v11
	s_delay_alu instid0(VALU_DEP_1)
	v_cmpx_gt_u32_e32 0x43800000, v12
	s_cbranch_execz .LBB85_75
; %bb.70:                               ;   in Loop: Header=BB85_63 Depth=1
	v_cmp_lt_u32_e32 vcc_lo, 0x3bffffff, v12
	s_mov_b32 s9, 0
                                        ; implicit-def: $vgpr12
	s_and_saveexec_b32 s12, vcc_lo
	s_delay_alu instid0(SALU_CYCLE_1)
	s_xor_b32 s12, exec_lo, s12
	s_cbranch_execnz .LBB85_162
; %bb.71:                               ;   in Loop: Header=BB85_63 Depth=1
	s_or_saveexec_b32 s12, s12
                                        ; implicit-def: $sgpr13
	s_delay_alu instid0(SALU_CYCLE_1)
	s_xor_b32 exec_lo, exec_lo, s12
	s_cbranch_execnz .LBB85_163
.LBB85_72:                              ;   in Loop: Header=BB85_63 Depth=1
	s_or_b32 exec_lo, exec_lo, s12
	v_mov_b32_e32 v7, s13
	s_and_saveexec_b32 s12, s9
.LBB85_73:                              ;   in Loop: Header=BB85_63 Depth=1
	v_lshrrev_b32_e32 v7, 24, v11
	s_delay_alu instid0(VALU_DEP_1)
	v_and_or_b32 v7, 0x80, v7, v12
.LBB85_74:                              ;   in Loop: Header=BB85_63 Depth=1
	s_or_b32 exec_lo, exec_lo, s12
.LBB85_75:                              ;   in Loop: Header=BB85_63 Depth=1
	s_delay_alu instid0(SALU_CYCLE_1) | instskip(SKIP_3) | instid1(VALU_DEP_2)
	s_or_b32 exec_lo, exec_lo, s8
	v_alignbit_b32 v2, v3, v2, 16
	v_alignbit_b32 v4, v5, v4, 16
	s_mov_b32 s8, exec_lo
	v_and_b32_e32 v2, 0xffff0000, v2
	s_delay_alu instid0(VALU_DEP_2) | instskip(NEXT) | instid1(VALU_DEP_2)
	v_and_b32_e32 v4, 0xffff0000, v4
	v_mul_f32_e32 v2, v28, v2
	s_delay_alu instid0(VALU_DEP_1) | instskip(NEXT) | instid1(VALU_DEP_1)
	v_bfe_u32 v11, v2, 16, 1
	v_add3_u32 v11, v2, v11, 0x7fff
	s_delay_alu instid0(VALU_DEP_1) | instskip(SKIP_1) | instid1(VALU_DEP_2)
	v_and_b32_e32 v11, 0xffff0000, v11
	v_cmp_o_f32_e32 vcc_lo, v2, v2
	v_cndmask_b32_e32 v2, 0x7fc00000, v11, vcc_lo
	s_delay_alu instid0(VALU_DEP_1) | instskip(NEXT) | instid1(VALU_DEP_1)
	v_mul_f32_e32 v2, v2, v4
	v_bfe_u32 v4, v2, 16, 1
	v_cmp_o_f32_e32 vcc_lo, v2, v2
	s_delay_alu instid0(VALU_DEP_2) | instskip(NEXT) | instid1(VALU_DEP_1)
	v_add3_u32 v4, v2, v4, 0x7fff
	v_and_b32_e32 v4, 0xffff0000, v4
	s_delay_alu instid0(VALU_DEP_1) | instskip(NEXT) | instid1(VALU_DEP_1)
	v_cndmask_b32_e32 v2, 0x7fc00000, v4, vcc_lo
	v_div_scale_f32 v4, null, v6, v6, v2
	v_div_scale_f32 v13, vcc_lo, v2, v6, v2
	s_delay_alu instid0(VALU_DEP_2) | instskip(SKIP_2) | instid1(VALU_DEP_1)
	v_rcp_f32_e32 v11, v4
	s_waitcnt_depctr 0xfff
	v_fma_f32 v12, -v4, v11, 1.0
	v_fmac_f32_e32 v11, v12, v11
	s_delay_alu instid0(VALU_DEP_1) | instskip(NEXT) | instid1(VALU_DEP_1)
	v_mul_f32_e32 v12, v13, v11
	v_fma_f32 v14, -v4, v12, v13
	s_delay_alu instid0(VALU_DEP_1) | instskip(NEXT) | instid1(VALU_DEP_1)
	v_fmac_f32_e32 v12, v14, v11
	v_fma_f32 v4, -v4, v12, v13
	s_delay_alu instid0(VALU_DEP_1) | instskip(NEXT) | instid1(VALU_DEP_1)
	v_div_fmas_f32 v4, v4, v11, v12
	v_div_fixup_f32 v2, v4, v6, v2
	v_mov_b32_e32 v4, 0x80
	s_delay_alu instid0(VALU_DEP_2) | instskip(SKIP_1) | instid1(VALU_DEP_2)
	v_minmax_f32 v11, v2, s7, 0xc3600000
	v_mov_b32_e32 v2, 0x80
	v_and_b32_e32 v12, 0x7fffffff, v11
	s_delay_alu instid0(VALU_DEP_1)
	v_cmpx_gt_u32_e32 0x43800000, v12
	s_cbranch_execz .LBB85_81
; %bb.76:                               ;   in Loop: Header=BB85_63 Depth=1
	v_cmp_lt_u32_e32 vcc_lo, 0x3bffffff, v12
	s_mov_b32 s9, 0
                                        ; implicit-def: $vgpr12
	s_and_saveexec_b32 s12, vcc_lo
	s_delay_alu instid0(SALU_CYCLE_1)
	s_xor_b32 s12, exec_lo, s12
	s_cbranch_execnz .LBB85_164
; %bb.77:                               ;   in Loop: Header=BB85_63 Depth=1
	s_or_saveexec_b32 s12, s12
                                        ; implicit-def: $sgpr13
	s_delay_alu instid0(SALU_CYCLE_1)
	s_xor_b32 exec_lo, exec_lo, s12
	s_cbranch_execnz .LBB85_165
.LBB85_78:                              ;   in Loop: Header=BB85_63 Depth=1
	s_or_b32 exec_lo, exec_lo, s12
	v_mov_b32_e32 v4, s13
	s_and_saveexec_b32 s12, s9
.LBB85_79:                              ;   in Loop: Header=BB85_63 Depth=1
	v_lshrrev_b32_e32 v4, 24, v11
	s_delay_alu instid0(VALU_DEP_1)
	v_and_or_b32 v4, 0x80, v4, v12
.LBB85_80:                              ;   in Loop: Header=BB85_63 Depth=1
	s_or_b32 exec_lo, exec_lo, s12
.LBB85_81:                              ;   in Loop: Header=BB85_63 Depth=1
	s_delay_alu instid0(SALU_CYCLE_1) | instskip(SKIP_3) | instid1(VALU_DEP_2)
	s_or_b32 exec_lo, exec_lo, s8
	v_and_b32_e32 v3, 0xffff0000, v3
	v_and_b32_e32 v5, 0xffff0000, v5
	s_mov_b32 s8, exec_lo
	v_mul_f32_e32 v3, v28, v3
	s_delay_alu instid0(VALU_DEP_1) | instskip(SKIP_1) | instid1(VALU_DEP_2)
	v_bfe_u32 v11, v3, 16, 1
	v_cmp_o_f32_e32 vcc_lo, v3, v3
	v_add3_u32 v11, v3, v11, 0x7fff
	s_delay_alu instid0(VALU_DEP_1) | instskip(NEXT) | instid1(VALU_DEP_1)
	v_and_b32_e32 v11, 0xffff0000, v11
	v_cndmask_b32_e32 v3, 0x7fc00000, v11, vcc_lo
	s_delay_alu instid0(VALU_DEP_1) | instskip(NEXT) | instid1(VALU_DEP_1)
	v_mul_f32_e32 v3, v3, v5
	v_bfe_u32 v5, v3, 16, 1
	v_cmp_o_f32_e32 vcc_lo, v3, v3
	s_delay_alu instid0(VALU_DEP_2) | instskip(NEXT) | instid1(VALU_DEP_1)
	v_add3_u32 v5, v3, v5, 0x7fff
	v_and_b32_e32 v5, 0xffff0000, v5
	s_delay_alu instid0(VALU_DEP_1) | instskip(NEXT) | instid1(VALU_DEP_1)
	v_cndmask_b32_e32 v3, 0x7fc00000, v5, vcc_lo
	v_div_scale_f32 v5, null, v6, v6, v3
	s_delay_alu instid0(VALU_DEP_1) | instskip(SKIP_2) | instid1(VALU_DEP_1)
	v_rcp_f32_e32 v11, v5
	s_waitcnt_depctr 0xfff
	v_fma_f32 v12, -v5, v11, 1.0
	v_fmac_f32_e32 v11, v12, v11
	v_div_scale_f32 v12, vcc_lo, v3, v6, v3
	s_delay_alu instid0(VALU_DEP_1) | instskip(NEXT) | instid1(VALU_DEP_1)
	v_mul_f32_e32 v13, v12, v11
	v_fma_f32 v14, -v5, v13, v12
	s_delay_alu instid0(VALU_DEP_1) | instskip(NEXT) | instid1(VALU_DEP_1)
	v_fmac_f32_e32 v13, v14, v11
	v_fma_f32 v5, -v5, v13, v12
	s_delay_alu instid0(VALU_DEP_1) | instskip(NEXT) | instid1(VALU_DEP_1)
	v_div_fmas_f32 v5, v5, v11, v13
	v_div_fixup_f32 v3, v5, v6, v3
	s_delay_alu instid0(VALU_DEP_1) | instskip(NEXT) | instid1(VALU_DEP_1)
	v_minmax_f32 v3, v3, s7, 0xc3600000
	v_and_b32_e32 v5, 0x7fffffff, v3
	s_delay_alu instid0(VALU_DEP_1)
	v_cmpx_gt_u32_e32 0x43800000, v5
	s_cbranch_execz .LBB85_87
; %bb.82:                               ;   in Loop: Header=BB85_63 Depth=1
	v_cmp_lt_u32_e32 vcc_lo, 0x3bffffff, v5
	s_mov_b32 s9, 0
                                        ; implicit-def: $vgpr5
	s_and_saveexec_b32 s12, vcc_lo
	s_delay_alu instid0(SALU_CYCLE_1)
	s_xor_b32 s12, exec_lo, s12
	s_cbranch_execnz .LBB85_166
; %bb.83:                               ;   in Loop: Header=BB85_63 Depth=1
	s_or_saveexec_b32 s12, s12
                                        ; implicit-def: $sgpr13
	s_delay_alu instid0(SALU_CYCLE_1)
	s_xor_b32 exec_lo, exec_lo, s12
	s_cbranch_execnz .LBB85_167
.LBB85_84:                              ;   in Loop: Header=BB85_63 Depth=1
	s_or_b32 exec_lo, exec_lo, s12
	v_mov_b32_e32 v2, s13
	s_and_saveexec_b32 s12, s9
.LBB85_85:                              ;   in Loop: Header=BB85_63 Depth=1
	v_lshrrev_b32_e32 v2, 24, v3
	s_delay_alu instid0(VALU_DEP_1)
	v_and_or_b32 v2, 0x80, v2, v5
.LBB85_86:                              ;   in Loop: Header=BB85_63 Depth=1
	s_or_b32 exec_lo, exec_lo, s12
.LBB85_87:                              ;   in Loop: Header=BB85_63 Depth=1
	s_delay_alu instid0(SALU_CYCLE_1)
	s_or_b32 exec_lo, exec_lo, s8
	v_lshlrev_b32_e32 v5, 16, v4
	v_lshlrev_b32_e32 v6, 8, v7
	v_lshlrev_b64 v[3:4], 2, v[0:1]
	v_and_b32_e32 v7, 0xff, v8
	s_mov_b32 s9, -1
	v_perm_b32 v5, v2, v5, 0x4020c0c
	v_and_b32_e32 v6, 0xff00, v6
	v_add_nc_u32_e32 v2, s28, v0
	v_add_co_u32 v3, vcc_lo, s0, v3
	v_add_co_ci_u32_e32 v4, vcc_lo, s1, v4, vcc_lo
	s_delay_alu instid0(VALU_DEP_4)
	v_or3_b32 v5, v5, v6, v7
	s_mov_b32 s8, exec_lo
	global_store_b32 v[3:4], v5, off
	v_cmpx_gt_u32_e64 s14, v2
	s_cbranch_execz .LBB85_62
; %bb.88:                               ;   in Loop: Header=BB85_63 Depth=1
	v_bfe_u32 v14, v2, 4, 26
	s_mov_b32 s9, exec_lo
	s_delay_alu instid0(VALU_DEP_1) | instskip(NEXT) | instid1(VALU_DEP_1)
	v_mad_u64_u32 v[11:12], null, v9, v14, 0
	v_dual_mov_b32 v3, v1 :: v_dual_mov_b32 v8, v12
	s_delay_alu instid0(VALU_DEP_1) | instskip(NEXT) | instid1(VALU_DEP_2)
	v_lshlrev_b64 v[6:7], 3, v[2:3]
	v_mad_u64_u32 v[12:13], null, v10, v14, v[8:9]
	s_delay_alu instid0(VALU_DEP_2) | instskip(NEXT) | instid1(VALU_DEP_3)
	v_add_co_u32 v4, vcc_lo, s26, v6
	v_add_co_ci_u32_e32 v5, vcc_lo, s27, v7, vcc_lo
	v_add_co_u32 v6, vcc_lo, s10, v6
	v_add_co_ci_u32_e32 v7, vcc_lo, s11, v7, vcc_lo
	global_load_b64 v[4:5], v[4:5], off
	v_lshlrev_b64 v[11:12], 2, v[11:12]
	global_load_b64 v[6:7], v[6:7], off
	v_add_co_u32 v11, vcc_lo, s4, v11
	v_add_co_ci_u32_e32 v12, vcc_lo, s5, v12, vcc_lo
	global_load_b32 v8, v[11:12], off
	s_waitcnt vmcnt(2)
	v_lshlrev_b32_e32 v11, 16, v4
	s_waitcnt vmcnt(1)
	v_lshlrev_b32_e32 v13, 16, v6
	s_delay_alu instid0(VALU_DEP_2) | instskip(NEXT) | instid1(VALU_DEP_1)
	v_mul_f32_e32 v11, v28, v11
	v_bfe_u32 v12, v11, 16, 1
	s_delay_alu instid0(VALU_DEP_1) | instskip(NEXT) | instid1(VALU_DEP_1)
	v_add3_u32 v12, v11, v12, 0x7fff
	v_and_b32_e32 v12, 0xffff0000, v12
	v_cmp_o_f32_e32 vcc_lo, v11, v11
	s_delay_alu instid0(VALU_DEP_2) | instskip(NEXT) | instid1(VALU_DEP_1)
	v_cndmask_b32_e32 v11, 0x7fc00000, v12, vcc_lo
	v_mul_f32_e32 v11, v11, v13
	s_delay_alu instid0(VALU_DEP_1) | instskip(NEXT) | instid1(VALU_DEP_1)
	v_bfe_u32 v12, v11, 16, 1
	v_add3_u32 v12, v11, v12, 0x7fff
	s_delay_alu instid0(VALU_DEP_1) | instskip(SKIP_1) | instid1(VALU_DEP_2)
	v_and_b32_e32 v12, 0xffff0000, v12
	v_cmp_o_f32_e32 vcc_lo, v11, v11
	v_cndmask_b32_e32 v11, 0x7fc00000, v12, vcc_lo
	s_waitcnt vmcnt(0)
	s_delay_alu instid0(VALU_DEP_1) | instskip(SKIP_1) | instid1(VALU_DEP_2)
	v_div_scale_f32 v12, null, v8, v8, v11
	v_div_scale_f32 v15, vcc_lo, v11, v8, v11
	v_rcp_f32_e32 v13, v12
	s_waitcnt_depctr 0xfff
	v_fma_f32 v14, -v12, v13, 1.0
	s_delay_alu instid0(VALU_DEP_1) | instskip(NEXT) | instid1(VALU_DEP_1)
	v_fmac_f32_e32 v13, v14, v13
	v_mul_f32_e32 v14, v15, v13
	s_delay_alu instid0(VALU_DEP_1) | instskip(NEXT) | instid1(VALU_DEP_1)
	v_fma_f32 v16, -v12, v14, v15
	v_fmac_f32_e32 v14, v16, v13
	s_delay_alu instid0(VALU_DEP_1) | instskip(NEXT) | instid1(VALU_DEP_1)
	v_fma_f32 v12, -v12, v14, v15
	v_div_fmas_f32 v12, v12, v13, v14
	s_delay_alu instid0(VALU_DEP_1) | instskip(SKIP_1) | instid1(VALU_DEP_2)
	v_div_fixup_f32 v11, v12, v8, v11
	v_mov_b32_e32 v12, 0x80
	v_minmax_f32 v13, v11, s7, 0xc3600000
	v_mov_b32_e32 v11, 0x80
	s_delay_alu instid0(VALU_DEP_2) | instskip(NEXT) | instid1(VALU_DEP_1)
	v_and_b32_e32 v14, 0x7fffffff, v13
	v_cmpx_gt_u32_e32 0x43800000, v14
	s_cbranch_execz .LBB85_94
; %bb.89:                               ;   in Loop: Header=BB85_63 Depth=1
	v_cmp_lt_u32_e32 vcc_lo, 0x3bffffff, v14
	s_mov_b32 s12, 0
                                        ; implicit-def: $vgpr14
	s_and_saveexec_b32 s13, vcc_lo
	s_delay_alu instid0(SALU_CYCLE_1)
	s_xor_b32 s13, exec_lo, s13
	s_cbranch_execnz .LBB85_168
; %bb.90:                               ;   in Loop: Header=BB85_63 Depth=1
	s_or_saveexec_b32 s13, s13
                                        ; implicit-def: $sgpr15
	s_delay_alu instid0(SALU_CYCLE_1)
	s_xor_b32 exec_lo, exec_lo, s13
	s_cbranch_execnz .LBB85_169
.LBB85_91:                              ;   in Loop: Header=BB85_63 Depth=1
	s_or_b32 exec_lo, exec_lo, s13
	v_mov_b32_e32 v11, s15
	s_and_saveexec_b32 s13, s12
.LBB85_92:                              ;   in Loop: Header=BB85_63 Depth=1
	v_lshrrev_b32_e32 v11, 24, v13
	s_delay_alu instid0(VALU_DEP_1)
	v_and_or_b32 v11, 0x80, v11, v14
.LBB85_93:                              ;   in Loop: Header=BB85_63 Depth=1
	s_or_b32 exec_lo, exec_lo, s13
.LBB85_94:                              ;   in Loop: Header=BB85_63 Depth=1
	s_delay_alu instid0(SALU_CYCLE_1) | instskip(SKIP_3) | instid1(VALU_DEP_2)
	s_or_b32 exec_lo, exec_lo, s9
	v_and_b32_e32 v13, 0xffff0000, v4
	v_and_b32_e32 v15, 0xffff0000, v6
	s_mov_b32 s9, exec_lo
	v_mul_f32_e32 v13, v28, v13
	s_delay_alu instid0(VALU_DEP_1) | instskip(NEXT) | instid1(VALU_DEP_1)
	v_bfe_u32 v14, v13, 16, 1
	v_add3_u32 v14, v13, v14, 0x7fff
	s_delay_alu instid0(VALU_DEP_1) | instskip(SKIP_1) | instid1(VALU_DEP_2)
	v_and_b32_e32 v14, 0xffff0000, v14
	v_cmp_o_f32_e32 vcc_lo, v13, v13
	v_cndmask_b32_e32 v13, 0x7fc00000, v14, vcc_lo
	s_delay_alu instid0(VALU_DEP_1) | instskip(NEXT) | instid1(VALU_DEP_1)
	v_mul_f32_e32 v13, v13, v15
	v_bfe_u32 v14, v13, 16, 1
	s_delay_alu instid0(VALU_DEP_1) | instskip(NEXT) | instid1(VALU_DEP_1)
	v_add3_u32 v14, v13, v14, 0x7fff
	v_and_b32_e32 v14, 0xffff0000, v14
	v_cmp_o_f32_e32 vcc_lo, v13, v13
	s_delay_alu instid0(VALU_DEP_2) | instskip(NEXT) | instid1(VALU_DEP_1)
	v_cndmask_b32_e32 v13, 0x7fc00000, v14, vcc_lo
	v_div_scale_f32 v14, null, v8, v8, v13
	s_delay_alu instid0(VALU_DEP_1) | instskip(SKIP_2) | instid1(VALU_DEP_1)
	v_rcp_f32_e32 v15, v14
	s_waitcnt_depctr 0xfff
	v_fma_f32 v16, -v14, v15, 1.0
	v_fmac_f32_e32 v15, v16, v15
	v_div_scale_f32 v16, vcc_lo, v13, v8, v13
	s_delay_alu instid0(VALU_DEP_1) | instskip(NEXT) | instid1(VALU_DEP_1)
	v_mul_f32_e32 v17, v16, v15
	v_fma_f32 v18, -v14, v17, v16
	s_delay_alu instid0(VALU_DEP_1) | instskip(NEXT) | instid1(VALU_DEP_1)
	v_fmac_f32_e32 v17, v18, v15
	v_fma_f32 v14, -v14, v17, v16
	s_delay_alu instid0(VALU_DEP_1) | instskip(NEXT) | instid1(VALU_DEP_1)
	v_div_fmas_f32 v14, v14, v15, v17
	v_div_fixup_f32 v13, v14, v8, v13
	s_delay_alu instid0(VALU_DEP_1) | instskip(NEXT) | instid1(VALU_DEP_1)
	v_minmax_f32 v13, v13, s7, 0xc3600000
	v_and_b32_e32 v14, 0x7fffffff, v13
	s_delay_alu instid0(VALU_DEP_1)
	v_cmpx_gt_u32_e32 0x43800000, v14
	s_cbranch_execz .LBB85_100
; %bb.95:                               ;   in Loop: Header=BB85_63 Depth=1
	v_cmp_lt_u32_e32 vcc_lo, 0x3bffffff, v14
	s_mov_b32 s12, 0
                                        ; implicit-def: $vgpr14
	s_and_saveexec_b32 s13, vcc_lo
	s_delay_alu instid0(SALU_CYCLE_1)
	s_xor_b32 s13, exec_lo, s13
	s_cbranch_execnz .LBB85_170
; %bb.96:                               ;   in Loop: Header=BB85_63 Depth=1
	s_or_saveexec_b32 s13, s13
                                        ; implicit-def: $sgpr15
	s_delay_alu instid0(SALU_CYCLE_1)
	s_xor_b32 exec_lo, exec_lo, s13
	s_cbranch_execnz .LBB85_171
.LBB85_97:                              ;   in Loop: Header=BB85_63 Depth=1
	s_or_b32 exec_lo, exec_lo, s13
	v_mov_b32_e32 v12, s15
	s_and_saveexec_b32 s13, s12
.LBB85_98:                              ;   in Loop: Header=BB85_63 Depth=1
	v_lshrrev_b32_e32 v12, 24, v13
	s_delay_alu instid0(VALU_DEP_1)
	v_and_or_b32 v12, 0x80, v12, v14
.LBB85_99:                              ;   in Loop: Header=BB85_63 Depth=1
	s_or_b32 exec_lo, exec_lo, s13
.LBB85_100:                             ;   in Loop: Header=BB85_63 Depth=1
	s_delay_alu instid0(SALU_CYCLE_1) | instskip(SKIP_3) | instid1(VALU_DEP_2)
	s_or_b32 exec_lo, exec_lo, s9
	v_alignbit_b32 v4, v5, v4, 16
	v_alignbit_b32 v6, v7, v6, 16
	s_mov_b32 s9, exec_lo
	v_and_b32_e32 v4, 0xffff0000, v4
	s_delay_alu instid0(VALU_DEP_2) | instskip(NEXT) | instid1(VALU_DEP_2)
	v_and_b32_e32 v6, 0xffff0000, v6
	v_mul_f32_e32 v4, v28, v4
	s_delay_alu instid0(VALU_DEP_1) | instskip(NEXT) | instid1(VALU_DEP_1)
	v_bfe_u32 v13, v4, 16, 1
	v_add3_u32 v13, v4, v13, 0x7fff
	s_delay_alu instid0(VALU_DEP_1) | instskip(SKIP_1) | instid1(VALU_DEP_2)
	v_and_b32_e32 v13, 0xffff0000, v13
	v_cmp_o_f32_e32 vcc_lo, v4, v4
	v_cndmask_b32_e32 v4, 0x7fc00000, v13, vcc_lo
	s_delay_alu instid0(VALU_DEP_1) | instskip(NEXT) | instid1(VALU_DEP_1)
	v_mul_f32_e32 v4, v4, v6
	v_bfe_u32 v6, v4, 16, 1
	v_cmp_o_f32_e32 vcc_lo, v4, v4
	s_delay_alu instid0(VALU_DEP_2) | instskip(NEXT) | instid1(VALU_DEP_1)
	v_add3_u32 v6, v4, v6, 0x7fff
	v_and_b32_e32 v6, 0xffff0000, v6
	s_delay_alu instid0(VALU_DEP_1) | instskip(NEXT) | instid1(VALU_DEP_1)
	v_cndmask_b32_e32 v4, 0x7fc00000, v6, vcc_lo
	v_div_scale_f32 v6, null, v8, v8, v4
	v_div_scale_f32 v15, vcc_lo, v4, v8, v4
	s_delay_alu instid0(VALU_DEP_2) | instskip(SKIP_2) | instid1(VALU_DEP_1)
	v_rcp_f32_e32 v13, v6
	s_waitcnt_depctr 0xfff
	v_fma_f32 v14, -v6, v13, 1.0
	v_fmac_f32_e32 v13, v14, v13
	s_delay_alu instid0(VALU_DEP_1) | instskip(NEXT) | instid1(VALU_DEP_1)
	v_mul_f32_e32 v14, v15, v13
	v_fma_f32 v16, -v6, v14, v15
	s_delay_alu instid0(VALU_DEP_1) | instskip(NEXT) | instid1(VALU_DEP_1)
	v_fmac_f32_e32 v14, v16, v13
	v_fma_f32 v6, -v6, v14, v15
	s_delay_alu instid0(VALU_DEP_1) | instskip(NEXT) | instid1(VALU_DEP_1)
	v_div_fmas_f32 v6, v6, v13, v14
	v_div_fixup_f32 v4, v6, v8, v4
	v_mov_b32_e32 v6, 0x80
	s_delay_alu instid0(VALU_DEP_2) | instskip(SKIP_1) | instid1(VALU_DEP_2)
	v_minmax_f32 v13, v4, s7, 0xc3600000
	v_mov_b32_e32 v4, 0x80
	v_and_b32_e32 v14, 0x7fffffff, v13
	s_delay_alu instid0(VALU_DEP_1)
	v_cmpx_gt_u32_e32 0x43800000, v14
	s_cbranch_execz .LBB85_106
; %bb.101:                              ;   in Loop: Header=BB85_63 Depth=1
	v_cmp_lt_u32_e32 vcc_lo, 0x3bffffff, v14
	s_mov_b32 s12, 0
                                        ; implicit-def: $vgpr14
	s_and_saveexec_b32 s13, vcc_lo
	s_delay_alu instid0(SALU_CYCLE_1)
	s_xor_b32 s13, exec_lo, s13
	s_cbranch_execnz .LBB85_172
; %bb.102:                              ;   in Loop: Header=BB85_63 Depth=1
	s_or_saveexec_b32 s13, s13
                                        ; implicit-def: $sgpr15
	s_delay_alu instid0(SALU_CYCLE_1)
	s_xor_b32 exec_lo, exec_lo, s13
	s_cbranch_execnz .LBB85_173
.LBB85_103:                             ;   in Loop: Header=BB85_63 Depth=1
	s_or_b32 exec_lo, exec_lo, s13
	v_mov_b32_e32 v6, s15
	s_and_saveexec_b32 s13, s12
.LBB85_104:                             ;   in Loop: Header=BB85_63 Depth=1
	v_lshrrev_b32_e32 v6, 24, v13
	s_delay_alu instid0(VALU_DEP_1)
	v_and_or_b32 v6, 0x80, v6, v14
.LBB85_105:                             ;   in Loop: Header=BB85_63 Depth=1
	s_or_b32 exec_lo, exec_lo, s13
.LBB85_106:                             ;   in Loop: Header=BB85_63 Depth=1
	s_delay_alu instid0(SALU_CYCLE_1) | instskip(SKIP_3) | instid1(VALU_DEP_2)
	s_or_b32 exec_lo, exec_lo, s9
	v_and_b32_e32 v5, 0xffff0000, v5
	v_and_b32_e32 v7, 0xffff0000, v7
	s_mov_b32 s9, exec_lo
	v_mul_f32_e32 v5, v28, v5
	s_delay_alu instid0(VALU_DEP_1) | instskip(SKIP_1) | instid1(VALU_DEP_2)
	v_bfe_u32 v13, v5, 16, 1
	v_cmp_o_f32_e32 vcc_lo, v5, v5
	v_add3_u32 v13, v5, v13, 0x7fff
	s_delay_alu instid0(VALU_DEP_1) | instskip(NEXT) | instid1(VALU_DEP_1)
	v_and_b32_e32 v13, 0xffff0000, v13
	v_cndmask_b32_e32 v5, 0x7fc00000, v13, vcc_lo
	s_delay_alu instid0(VALU_DEP_1) | instskip(NEXT) | instid1(VALU_DEP_1)
	v_mul_f32_e32 v5, v5, v7
	v_bfe_u32 v7, v5, 16, 1
	v_cmp_o_f32_e32 vcc_lo, v5, v5
	s_delay_alu instid0(VALU_DEP_2) | instskip(NEXT) | instid1(VALU_DEP_1)
	v_add3_u32 v7, v5, v7, 0x7fff
	v_and_b32_e32 v7, 0xffff0000, v7
	s_delay_alu instid0(VALU_DEP_1) | instskip(NEXT) | instid1(VALU_DEP_1)
	v_cndmask_b32_e32 v5, 0x7fc00000, v7, vcc_lo
	v_div_scale_f32 v7, null, v8, v8, v5
	s_delay_alu instid0(VALU_DEP_1) | instskip(SKIP_2) | instid1(VALU_DEP_1)
	v_rcp_f32_e32 v13, v7
	s_waitcnt_depctr 0xfff
	v_fma_f32 v14, -v7, v13, 1.0
	v_fmac_f32_e32 v13, v14, v13
	v_div_scale_f32 v14, vcc_lo, v5, v8, v5
	s_delay_alu instid0(VALU_DEP_1) | instskip(NEXT) | instid1(VALU_DEP_1)
	v_mul_f32_e32 v15, v14, v13
	v_fma_f32 v16, -v7, v15, v14
	s_delay_alu instid0(VALU_DEP_1) | instskip(NEXT) | instid1(VALU_DEP_1)
	v_fmac_f32_e32 v15, v16, v13
	v_fma_f32 v7, -v7, v15, v14
	s_delay_alu instid0(VALU_DEP_1) | instskip(NEXT) | instid1(VALU_DEP_1)
	v_div_fmas_f32 v7, v7, v13, v15
	v_div_fixup_f32 v5, v7, v8, v5
	s_delay_alu instid0(VALU_DEP_1) | instskip(NEXT) | instid1(VALU_DEP_1)
	v_minmax_f32 v5, v5, s7, 0xc3600000
	v_and_b32_e32 v7, 0x7fffffff, v5
	s_delay_alu instid0(VALU_DEP_1)
	v_cmpx_gt_u32_e32 0x43800000, v7
	s_cbranch_execz .LBB85_112
; %bb.107:                              ;   in Loop: Header=BB85_63 Depth=1
	v_cmp_lt_u32_e32 vcc_lo, 0x3bffffff, v7
	s_mov_b32 s12, 0
                                        ; implicit-def: $vgpr7
	s_and_saveexec_b32 s13, vcc_lo
	s_delay_alu instid0(SALU_CYCLE_1)
	s_xor_b32 s13, exec_lo, s13
	s_cbranch_execnz .LBB85_174
; %bb.108:                              ;   in Loop: Header=BB85_63 Depth=1
	s_or_saveexec_b32 s13, s13
                                        ; implicit-def: $sgpr15
	s_delay_alu instid0(SALU_CYCLE_1)
	s_xor_b32 exec_lo, exec_lo, s13
	s_cbranch_execnz .LBB85_175
.LBB85_109:                             ;   in Loop: Header=BB85_63 Depth=1
	s_or_b32 exec_lo, exec_lo, s13
	v_mov_b32_e32 v4, s15
	s_and_saveexec_b32 s13, s12
.LBB85_110:                             ;   in Loop: Header=BB85_63 Depth=1
	v_lshrrev_b32_e32 v4, 24, v5
	s_delay_alu instid0(VALU_DEP_1)
	v_and_or_b32 v4, 0x80, v4, v7
.LBB85_111:                             ;   in Loop: Header=BB85_63 Depth=1
	s_or_b32 exec_lo, exec_lo, s13
.LBB85_112:                             ;   in Loop: Header=BB85_63 Depth=1
	s_delay_alu instid0(SALU_CYCLE_1)
	s_or_b32 exec_lo, exec_lo, s9
	v_lshlrev_b32_e32 v7, 16, v6
	v_lshlrev_b32_e32 v8, 8, v12
	v_lshlrev_b64 v[5:6], 2, v[2:3]
	v_and_b32_e32 v11, 0xff, v11
	v_add_nc_u32_e32 v3, s3, v0
	v_perm_b32 v7, v4, v7, 0x4020c0c
	v_and_b32_e32 v8, 0xff00, v8
	s_mov_b32 s12, -1
	v_add_co_u32 v4, vcc_lo, s0, v5
	v_add_co_ci_u32_e32 v5, vcc_lo, s1, v6, vcc_lo
	s_delay_alu instid0(VALU_DEP_3)
	v_or3_b32 v6, v7, v8, v11
	s_mov_b32 s9, exec_lo
	global_store_b32 v[4:5], v6, off
	v_cmpx_gt_u32_e64 s14, v3
	s_cbranch_execz .LBB85_61
; %bb.113:                              ;   in Loop: Header=BB85_63 Depth=1
	v_mov_b32_e32 v4, v1
	v_bfe_u32 v15, v3, 4, 26
	s_mov_b32 s12, exec_lo
	s_delay_alu instid0(VALU_DEP_2) | instskip(NEXT) | instid1(VALU_DEP_2)
	v_lshlrev_b64 v[7:8], 3, v[3:4]
	v_mad_u64_u32 v[11:12], null, v9, v15, 0
	s_delay_alu instid0(VALU_DEP_2) | instskip(NEXT) | instid1(VALU_DEP_3)
	v_add_co_u32 v5, vcc_lo, s26, v7
	v_add_co_ci_u32_e32 v6, vcc_lo, s27, v8, vcc_lo
	v_add_co_u32 v7, vcc_lo, s10, v7
	v_add_co_ci_u32_e32 v8, vcc_lo, s11, v8, vcc_lo
	global_load_b64 v[5:6], v[5:6], off
	v_mad_u64_u32 v[13:14], null, v10, v15, v[12:13]
	global_load_b64 v[7:8], v[7:8], off
	v_mov_b32_e32 v12, v13
	s_delay_alu instid0(VALU_DEP_1) | instskip(NEXT) | instid1(VALU_DEP_1)
	v_lshlrev_b64 v[11:12], 2, v[11:12]
	v_add_co_u32 v11, vcc_lo, s4, v11
	s_delay_alu instid0(VALU_DEP_2)
	v_add_co_ci_u32_e32 v12, vcc_lo, s5, v12, vcc_lo
	global_load_b32 v11, v[11:12], off
	s_waitcnt vmcnt(2)
	v_lshlrev_b32_e32 v12, 16, v5
	s_waitcnt vmcnt(1)
	v_lshlrev_b32_e32 v14, 16, v7
	s_delay_alu instid0(VALU_DEP_2) | instskip(NEXT) | instid1(VALU_DEP_1)
	v_mul_f32_e32 v12, v28, v12
	v_bfe_u32 v13, v12, 16, 1
	v_cmp_o_f32_e32 vcc_lo, v12, v12
	s_delay_alu instid0(VALU_DEP_2) | instskip(NEXT) | instid1(VALU_DEP_1)
	v_add3_u32 v13, v12, v13, 0x7fff
	v_and_b32_e32 v13, 0xffff0000, v13
	s_delay_alu instid0(VALU_DEP_1) | instskip(NEXT) | instid1(VALU_DEP_1)
	v_cndmask_b32_e32 v12, 0x7fc00000, v13, vcc_lo
	v_mul_f32_e32 v12, v12, v14
	s_delay_alu instid0(VALU_DEP_1) | instskip(SKIP_1) | instid1(VALU_DEP_2)
	v_bfe_u32 v13, v12, 16, 1
	v_cmp_o_f32_e32 vcc_lo, v12, v12
	v_add3_u32 v13, v12, v13, 0x7fff
	s_delay_alu instid0(VALU_DEP_1) | instskip(NEXT) | instid1(VALU_DEP_1)
	v_and_b32_e32 v13, 0xffff0000, v13
	v_cndmask_b32_e32 v12, 0x7fc00000, v13, vcc_lo
	s_waitcnt vmcnt(0)
	s_delay_alu instid0(VALU_DEP_1) | instskip(SKIP_1) | instid1(VALU_DEP_2)
	v_div_scale_f32 v13, null, v11, v11, v12
	v_div_scale_f32 v16, vcc_lo, v12, v11, v12
	v_rcp_f32_e32 v14, v13
	s_waitcnt_depctr 0xfff
	v_fma_f32 v15, -v13, v14, 1.0
	s_delay_alu instid0(VALU_DEP_1) | instskip(NEXT) | instid1(VALU_DEP_1)
	v_fmac_f32_e32 v14, v15, v14
	v_mul_f32_e32 v15, v16, v14
	s_delay_alu instid0(VALU_DEP_1) | instskip(NEXT) | instid1(VALU_DEP_1)
	v_fma_f32 v17, -v13, v15, v16
	v_fmac_f32_e32 v15, v17, v14
	s_delay_alu instid0(VALU_DEP_1) | instskip(NEXT) | instid1(VALU_DEP_1)
	v_fma_f32 v13, -v13, v15, v16
	v_div_fmas_f32 v13, v13, v14, v15
	s_delay_alu instid0(VALU_DEP_1) | instskip(SKIP_1) | instid1(VALU_DEP_2)
	v_div_fixup_f32 v12, v13, v11, v12
	v_mov_b32_e32 v13, 0x80
	v_minmax_f32 v14, v12, s7, 0xc3600000
	v_mov_b32_e32 v12, 0x80
	s_delay_alu instid0(VALU_DEP_2) | instskip(NEXT) | instid1(VALU_DEP_1)
	v_and_b32_e32 v15, 0x7fffffff, v14
	v_cmpx_gt_u32_e32 0x43800000, v15
	s_cbranch_execz .LBB85_119
; %bb.114:                              ;   in Loop: Header=BB85_63 Depth=1
	v_cmp_lt_u32_e32 vcc_lo, 0x3bffffff, v15
	s_mov_b32 s13, 0
                                        ; implicit-def: $vgpr15
	s_and_saveexec_b32 s15, vcc_lo
	s_delay_alu instid0(SALU_CYCLE_1)
	s_xor_b32 s15, exec_lo, s15
	s_cbranch_execnz .LBB85_176
; %bb.115:                              ;   in Loop: Header=BB85_63 Depth=1
	s_or_saveexec_b32 s15, s15
                                        ; implicit-def: $sgpr16
	s_delay_alu instid0(SALU_CYCLE_1)
	s_xor_b32 exec_lo, exec_lo, s15
	s_cbranch_execnz .LBB85_177
.LBB85_116:                             ;   in Loop: Header=BB85_63 Depth=1
	s_or_b32 exec_lo, exec_lo, s15
	v_mov_b32_e32 v12, s16
	s_and_saveexec_b32 s15, s13
.LBB85_117:                             ;   in Loop: Header=BB85_63 Depth=1
	v_lshrrev_b32_e32 v12, 24, v14
	s_delay_alu instid0(VALU_DEP_1)
	v_and_or_b32 v12, 0x80, v12, v15
.LBB85_118:                             ;   in Loop: Header=BB85_63 Depth=1
	s_or_b32 exec_lo, exec_lo, s15
.LBB85_119:                             ;   in Loop: Header=BB85_63 Depth=1
	s_delay_alu instid0(SALU_CYCLE_1) | instskip(SKIP_3) | instid1(VALU_DEP_2)
	s_or_b32 exec_lo, exec_lo, s12
	v_and_b32_e32 v14, 0xffff0000, v5
	v_and_b32_e32 v16, 0xffff0000, v7
	s_mov_b32 s12, exec_lo
	v_mul_f32_e32 v14, v28, v14
	s_delay_alu instid0(VALU_DEP_1) | instskip(NEXT) | instid1(VALU_DEP_1)
	v_bfe_u32 v15, v14, 16, 1
	v_add3_u32 v15, v14, v15, 0x7fff
	s_delay_alu instid0(VALU_DEP_1) | instskip(SKIP_1) | instid1(VALU_DEP_2)
	v_and_b32_e32 v15, 0xffff0000, v15
	v_cmp_o_f32_e32 vcc_lo, v14, v14
	v_cndmask_b32_e32 v14, 0x7fc00000, v15, vcc_lo
	s_delay_alu instid0(VALU_DEP_1) | instskip(NEXT) | instid1(VALU_DEP_1)
	v_mul_f32_e32 v14, v14, v16
	v_bfe_u32 v15, v14, 16, 1
	s_delay_alu instid0(VALU_DEP_1) | instskip(NEXT) | instid1(VALU_DEP_1)
	v_add3_u32 v15, v14, v15, 0x7fff
	v_and_b32_e32 v15, 0xffff0000, v15
	v_cmp_o_f32_e32 vcc_lo, v14, v14
	s_delay_alu instid0(VALU_DEP_2) | instskip(NEXT) | instid1(VALU_DEP_1)
	v_cndmask_b32_e32 v14, 0x7fc00000, v15, vcc_lo
	v_div_scale_f32 v15, null, v11, v11, v14
	s_delay_alu instid0(VALU_DEP_1) | instskip(SKIP_2) | instid1(VALU_DEP_1)
	v_rcp_f32_e32 v16, v15
	s_waitcnt_depctr 0xfff
	v_fma_f32 v17, -v15, v16, 1.0
	v_fmac_f32_e32 v16, v17, v16
	v_div_scale_f32 v17, vcc_lo, v14, v11, v14
	s_delay_alu instid0(VALU_DEP_1) | instskip(NEXT) | instid1(VALU_DEP_1)
	v_mul_f32_e32 v18, v17, v16
	v_fma_f32 v19, -v15, v18, v17
	s_delay_alu instid0(VALU_DEP_1) | instskip(NEXT) | instid1(VALU_DEP_1)
	v_fmac_f32_e32 v18, v19, v16
	v_fma_f32 v15, -v15, v18, v17
	s_delay_alu instid0(VALU_DEP_1) | instskip(NEXT) | instid1(VALU_DEP_1)
	v_div_fmas_f32 v15, v15, v16, v18
	v_div_fixup_f32 v14, v15, v11, v14
	s_delay_alu instid0(VALU_DEP_1) | instskip(NEXT) | instid1(VALU_DEP_1)
	v_minmax_f32 v14, v14, s7, 0xc3600000
	v_and_b32_e32 v15, 0x7fffffff, v14
	s_delay_alu instid0(VALU_DEP_1)
	v_cmpx_gt_u32_e32 0x43800000, v15
	s_cbranch_execz .LBB85_125
; %bb.120:                              ;   in Loop: Header=BB85_63 Depth=1
	v_cmp_lt_u32_e32 vcc_lo, 0x3bffffff, v15
	s_mov_b32 s13, 0
                                        ; implicit-def: $vgpr15
	s_and_saveexec_b32 s15, vcc_lo
	s_delay_alu instid0(SALU_CYCLE_1)
	s_xor_b32 s15, exec_lo, s15
	s_cbranch_execnz .LBB85_178
; %bb.121:                              ;   in Loop: Header=BB85_63 Depth=1
	s_or_saveexec_b32 s15, s15
                                        ; implicit-def: $sgpr16
	s_delay_alu instid0(SALU_CYCLE_1)
	s_xor_b32 exec_lo, exec_lo, s15
	s_cbranch_execnz .LBB85_179
.LBB85_122:                             ;   in Loop: Header=BB85_63 Depth=1
	s_or_b32 exec_lo, exec_lo, s15
	v_mov_b32_e32 v13, s16
	s_and_saveexec_b32 s15, s13
.LBB85_123:                             ;   in Loop: Header=BB85_63 Depth=1
	v_lshrrev_b32_e32 v13, 24, v14
	s_delay_alu instid0(VALU_DEP_1)
	v_and_or_b32 v13, 0x80, v13, v15
.LBB85_124:                             ;   in Loop: Header=BB85_63 Depth=1
	s_or_b32 exec_lo, exec_lo, s15
.LBB85_125:                             ;   in Loop: Header=BB85_63 Depth=1
	s_delay_alu instid0(SALU_CYCLE_1) | instskip(SKIP_3) | instid1(VALU_DEP_2)
	s_or_b32 exec_lo, exec_lo, s12
	v_alignbit_b32 v5, v6, v5, 16
	v_alignbit_b32 v7, v8, v7, 16
	s_mov_b32 s12, exec_lo
	v_and_b32_e32 v5, 0xffff0000, v5
	s_delay_alu instid0(VALU_DEP_2) | instskip(NEXT) | instid1(VALU_DEP_2)
	v_and_b32_e32 v7, 0xffff0000, v7
	v_mul_f32_e32 v5, v28, v5
	s_delay_alu instid0(VALU_DEP_1) | instskip(NEXT) | instid1(VALU_DEP_1)
	v_bfe_u32 v14, v5, 16, 1
	v_add3_u32 v14, v5, v14, 0x7fff
	s_delay_alu instid0(VALU_DEP_1) | instskip(SKIP_1) | instid1(VALU_DEP_2)
	v_and_b32_e32 v14, 0xffff0000, v14
	v_cmp_o_f32_e32 vcc_lo, v5, v5
	v_cndmask_b32_e32 v5, 0x7fc00000, v14, vcc_lo
	s_delay_alu instid0(VALU_DEP_1) | instskip(NEXT) | instid1(VALU_DEP_1)
	v_mul_f32_e32 v5, v5, v7
	v_bfe_u32 v7, v5, 16, 1
	v_cmp_o_f32_e32 vcc_lo, v5, v5
	s_delay_alu instid0(VALU_DEP_2) | instskip(NEXT) | instid1(VALU_DEP_1)
	v_add3_u32 v7, v5, v7, 0x7fff
	v_and_b32_e32 v7, 0xffff0000, v7
	s_delay_alu instid0(VALU_DEP_1) | instskip(NEXT) | instid1(VALU_DEP_1)
	v_cndmask_b32_e32 v5, 0x7fc00000, v7, vcc_lo
	v_div_scale_f32 v7, null, v11, v11, v5
	v_div_scale_f32 v16, vcc_lo, v5, v11, v5
	s_delay_alu instid0(VALU_DEP_2) | instskip(SKIP_2) | instid1(VALU_DEP_1)
	v_rcp_f32_e32 v14, v7
	s_waitcnt_depctr 0xfff
	v_fma_f32 v15, -v7, v14, 1.0
	v_fmac_f32_e32 v14, v15, v14
	s_delay_alu instid0(VALU_DEP_1) | instskip(NEXT) | instid1(VALU_DEP_1)
	v_mul_f32_e32 v15, v16, v14
	v_fma_f32 v17, -v7, v15, v16
	s_delay_alu instid0(VALU_DEP_1) | instskip(NEXT) | instid1(VALU_DEP_1)
	v_fmac_f32_e32 v15, v17, v14
	v_fma_f32 v7, -v7, v15, v16
	s_delay_alu instid0(VALU_DEP_1) | instskip(NEXT) | instid1(VALU_DEP_1)
	v_div_fmas_f32 v7, v7, v14, v15
	v_div_fixup_f32 v5, v7, v11, v5
	v_mov_b32_e32 v7, 0x80
	s_delay_alu instid0(VALU_DEP_2) | instskip(SKIP_1) | instid1(VALU_DEP_2)
	v_minmax_f32 v14, v5, s7, 0xc3600000
	v_mov_b32_e32 v5, 0x80
	v_and_b32_e32 v15, 0x7fffffff, v14
	s_delay_alu instid0(VALU_DEP_1)
	v_cmpx_gt_u32_e32 0x43800000, v15
	s_cbranch_execz .LBB85_131
; %bb.126:                              ;   in Loop: Header=BB85_63 Depth=1
	v_cmp_lt_u32_e32 vcc_lo, 0x3bffffff, v15
	s_mov_b32 s13, 0
                                        ; implicit-def: $vgpr15
	s_and_saveexec_b32 s15, vcc_lo
	s_delay_alu instid0(SALU_CYCLE_1)
	s_xor_b32 s15, exec_lo, s15
	s_cbranch_execnz .LBB85_180
; %bb.127:                              ;   in Loop: Header=BB85_63 Depth=1
	s_or_saveexec_b32 s15, s15
                                        ; implicit-def: $sgpr16
	s_delay_alu instid0(SALU_CYCLE_1)
	s_xor_b32 exec_lo, exec_lo, s15
	s_cbranch_execnz .LBB85_181
.LBB85_128:                             ;   in Loop: Header=BB85_63 Depth=1
	s_or_b32 exec_lo, exec_lo, s15
	v_mov_b32_e32 v7, s16
	s_and_saveexec_b32 s15, s13
.LBB85_129:                             ;   in Loop: Header=BB85_63 Depth=1
	v_lshrrev_b32_e32 v7, 24, v14
	s_delay_alu instid0(VALU_DEP_1)
	v_and_or_b32 v7, 0x80, v7, v15
.LBB85_130:                             ;   in Loop: Header=BB85_63 Depth=1
	s_or_b32 exec_lo, exec_lo, s15
.LBB85_131:                             ;   in Loop: Header=BB85_63 Depth=1
	s_delay_alu instid0(SALU_CYCLE_1) | instskip(SKIP_3) | instid1(VALU_DEP_2)
	s_or_b32 exec_lo, exec_lo, s12
	v_and_b32_e32 v6, 0xffff0000, v6
	v_and_b32_e32 v8, 0xffff0000, v8
	s_mov_b32 s12, exec_lo
	v_mul_f32_e32 v6, v28, v6
	s_delay_alu instid0(VALU_DEP_1) | instskip(SKIP_1) | instid1(VALU_DEP_2)
	v_bfe_u32 v14, v6, 16, 1
	v_cmp_o_f32_e32 vcc_lo, v6, v6
	v_add3_u32 v14, v6, v14, 0x7fff
	s_delay_alu instid0(VALU_DEP_1) | instskip(NEXT) | instid1(VALU_DEP_1)
	v_and_b32_e32 v14, 0xffff0000, v14
	v_cndmask_b32_e32 v6, 0x7fc00000, v14, vcc_lo
	s_delay_alu instid0(VALU_DEP_1) | instskip(NEXT) | instid1(VALU_DEP_1)
	v_mul_f32_e32 v6, v6, v8
	v_bfe_u32 v8, v6, 16, 1
	v_cmp_o_f32_e32 vcc_lo, v6, v6
	s_delay_alu instid0(VALU_DEP_2) | instskip(NEXT) | instid1(VALU_DEP_1)
	v_add3_u32 v8, v6, v8, 0x7fff
	v_and_b32_e32 v8, 0xffff0000, v8
	s_delay_alu instid0(VALU_DEP_1) | instskip(NEXT) | instid1(VALU_DEP_1)
	v_cndmask_b32_e32 v6, 0x7fc00000, v8, vcc_lo
	v_div_scale_f32 v8, null, v11, v11, v6
	s_delay_alu instid0(VALU_DEP_1) | instskip(SKIP_2) | instid1(VALU_DEP_1)
	v_rcp_f32_e32 v14, v8
	s_waitcnt_depctr 0xfff
	v_fma_f32 v15, -v8, v14, 1.0
	v_fmac_f32_e32 v14, v15, v14
	v_div_scale_f32 v15, vcc_lo, v6, v11, v6
	s_delay_alu instid0(VALU_DEP_1) | instskip(NEXT) | instid1(VALU_DEP_1)
	v_mul_f32_e32 v16, v15, v14
	v_fma_f32 v17, -v8, v16, v15
	s_delay_alu instid0(VALU_DEP_1) | instskip(NEXT) | instid1(VALU_DEP_1)
	v_fmac_f32_e32 v16, v17, v14
	v_fma_f32 v8, -v8, v16, v15
	s_delay_alu instid0(VALU_DEP_1) | instskip(NEXT) | instid1(VALU_DEP_1)
	v_div_fmas_f32 v8, v8, v14, v16
	v_div_fixup_f32 v6, v8, v11, v6
	s_delay_alu instid0(VALU_DEP_1) | instskip(NEXT) | instid1(VALU_DEP_1)
	v_minmax_f32 v6, v6, s7, 0xc3600000
	v_and_b32_e32 v8, 0x7fffffff, v6
	s_delay_alu instid0(VALU_DEP_1)
	v_cmpx_gt_u32_e32 0x43800000, v8
	s_cbranch_execz .LBB85_137
; %bb.132:                              ;   in Loop: Header=BB85_63 Depth=1
	v_cmp_lt_u32_e32 vcc_lo, 0x3bffffff, v8
	s_mov_b32 s13, 0
                                        ; implicit-def: $vgpr8
	s_and_saveexec_b32 s15, vcc_lo
	s_delay_alu instid0(SALU_CYCLE_1)
	s_xor_b32 s15, exec_lo, s15
	s_cbranch_execnz .LBB85_182
; %bb.133:                              ;   in Loop: Header=BB85_63 Depth=1
	s_or_saveexec_b32 s15, s15
                                        ; implicit-def: $sgpr16
	s_delay_alu instid0(SALU_CYCLE_1)
	s_xor_b32 exec_lo, exec_lo, s15
	s_cbranch_execnz .LBB85_183
.LBB85_134:                             ;   in Loop: Header=BB85_63 Depth=1
	s_or_b32 exec_lo, exec_lo, s15
	v_mov_b32_e32 v5, s16
	s_and_saveexec_b32 s15, s13
.LBB85_135:                             ;   in Loop: Header=BB85_63 Depth=1
	v_lshrrev_b32_e32 v5, 24, v6
	s_delay_alu instid0(VALU_DEP_1)
	v_and_or_b32 v5, 0x80, v5, v8
.LBB85_136:                             ;   in Loop: Header=BB85_63 Depth=1
	s_or_b32 exec_lo, exec_lo, s15
.LBB85_137:                             ;   in Loop: Header=BB85_63 Depth=1
	s_delay_alu instid0(SALU_CYCLE_1)
	s_or_b32 exec_lo, exec_lo, s12
	v_lshlrev_b32_e32 v6, 16, v7
	v_lshlrev_b32_e32 v7, 8, v13
	v_lshlrev_b64 v[3:4], 2, v[3:4]
	v_and_b32_e32 v8, 0xff, v12
	v_add_nc_u32_e32 v0, s2, v0
	v_perm_b32 v5, v5, v6, 0x4020c0c
	v_and_b32_e32 v6, 0xff00, v7
	s_mov_b32 s13, -1
	v_add_co_u32 v3, vcc_lo, s0, v3
	v_add_co_ci_u32_e32 v4, vcc_lo, s1, v4, vcc_lo
	s_delay_alu instid0(VALU_DEP_3)
	v_or3_b32 v5, v5, v6, v8
	s_mov_b32 s12, exec_lo
	global_store_b32 v[3:4], v5, off
	v_cmpx_gt_u32_e64 s14, v0
	s_cbranch_execz .LBB85_60
; %bb.138:                              ;   in Loop: Header=BB85_63 Depth=1
	v_lshlrev_b64 v[5:6], 3, v[0:1]
	v_bfe_u32 v13, v0, 4, 26
	s_mov_b32 s13, exec_lo
	s_delay_alu instid0(VALU_DEP_1) | instskip(NEXT) | instid1(VALU_DEP_3)
	v_mad_u64_u32 v[7:8], null, v9, v13, 0
	v_add_co_u32 v3, vcc_lo, s26, v5
	s_delay_alu instid0(VALU_DEP_4)
	v_add_co_ci_u32_e32 v4, vcc_lo, s27, v6, vcc_lo
	v_add_co_u32 v5, vcc_lo, s10, v5
	v_add_co_ci_u32_e32 v6, vcc_lo, s11, v6, vcc_lo
	global_load_b64 v[3:4], v[3:4], off
	v_mad_u64_u32 v[11:12], null, v10, v13, v[8:9]
	global_load_b64 v[5:6], v[5:6], off
	v_mov_b32_e32 v8, v11
	s_delay_alu instid0(VALU_DEP_1) | instskip(NEXT) | instid1(VALU_DEP_1)
	v_lshlrev_b64 v[7:8], 2, v[7:8]
	v_add_co_u32 v7, vcc_lo, s4, v7
	s_delay_alu instid0(VALU_DEP_2) | instskip(SKIP_4) | instid1(VALU_DEP_1)
	v_add_co_ci_u32_e32 v8, vcc_lo, s5, v8, vcc_lo
	global_load_b32 v8, v[7:8], off
	s_waitcnt vmcnt(2)
	v_lshlrev_b32_e32 v7, 16, v3
	s_waitcnt vmcnt(1)
	v_dual_mul_f32 v7, v28, v7 :: v_dual_lshlrev_b32 v12, 16, v5
	s_delay_alu instid0(VALU_DEP_1) | instskip(SKIP_1) | instid1(VALU_DEP_2)
	v_bfe_u32 v11, v7, 16, 1
	v_cmp_o_f32_e32 vcc_lo, v7, v7
	v_add3_u32 v11, v7, v11, 0x7fff
	s_delay_alu instid0(VALU_DEP_1) | instskip(NEXT) | instid1(VALU_DEP_1)
	v_and_b32_e32 v11, 0xffff0000, v11
	v_cndmask_b32_e32 v7, 0x7fc00000, v11, vcc_lo
	s_delay_alu instid0(VALU_DEP_1) | instskip(NEXT) | instid1(VALU_DEP_1)
	v_mul_f32_e32 v7, v7, v12
	v_bfe_u32 v11, v7, 16, 1
	v_cmp_o_f32_e32 vcc_lo, v7, v7
	s_delay_alu instid0(VALU_DEP_2) | instskip(NEXT) | instid1(VALU_DEP_1)
	v_add3_u32 v11, v7, v11, 0x7fff
	v_and_b32_e32 v11, 0xffff0000, v11
	s_delay_alu instid0(VALU_DEP_1) | instskip(SKIP_1) | instid1(VALU_DEP_1)
	v_cndmask_b32_e32 v7, 0x7fc00000, v11, vcc_lo
	s_waitcnt vmcnt(0)
	v_div_scale_f32 v11, null, v8, v8, v7
	v_div_scale_f32 v14, vcc_lo, v7, v8, v7
	s_delay_alu instid0(VALU_DEP_2) | instskip(SKIP_2) | instid1(VALU_DEP_1)
	v_rcp_f32_e32 v12, v11
	s_waitcnt_depctr 0xfff
	v_fma_f32 v13, -v11, v12, 1.0
	v_fmac_f32_e32 v12, v13, v12
	s_delay_alu instid0(VALU_DEP_1) | instskip(NEXT) | instid1(VALU_DEP_1)
	v_mul_f32_e32 v13, v14, v12
	v_fma_f32 v15, -v11, v13, v14
	s_delay_alu instid0(VALU_DEP_1) | instskip(NEXT) | instid1(VALU_DEP_1)
	v_fmac_f32_e32 v13, v15, v12
	v_fma_f32 v11, -v11, v13, v14
	s_delay_alu instid0(VALU_DEP_1) | instskip(NEXT) | instid1(VALU_DEP_1)
	v_div_fmas_f32 v11, v11, v12, v13
	v_div_fixup_f32 v7, v11, v8, v7
	v_mov_b32_e32 v11, 0x80
	s_delay_alu instid0(VALU_DEP_2) | instskip(SKIP_1) | instid1(VALU_DEP_2)
	v_minmax_f32 v12, v7, s7, 0xc3600000
	v_mov_b32_e32 v7, 0x80
	v_and_b32_e32 v13, 0x7fffffff, v12
	s_delay_alu instid0(VALU_DEP_1)
	v_cmpx_gt_u32_e32 0x43800000, v13
	s_cbranch_execz .LBB85_144
; %bb.139:                              ;   in Loop: Header=BB85_63 Depth=1
	v_cmp_lt_u32_e32 vcc_lo, 0x3bffffff, v13
	s_mov_b32 s15, 0
                                        ; implicit-def: $vgpr13
	s_and_saveexec_b32 s16, vcc_lo
	s_delay_alu instid0(SALU_CYCLE_1)
	s_xor_b32 s16, exec_lo, s16
	s_cbranch_execnz .LBB85_184
; %bb.140:                              ;   in Loop: Header=BB85_63 Depth=1
	s_or_saveexec_b32 s16, s16
                                        ; implicit-def: $sgpr17
	s_delay_alu instid0(SALU_CYCLE_1)
	s_xor_b32 exec_lo, exec_lo, s16
	s_cbranch_execnz .LBB85_185
.LBB85_141:                             ;   in Loop: Header=BB85_63 Depth=1
	s_or_b32 exec_lo, exec_lo, s16
	v_mov_b32_e32 v7, s17
	s_and_saveexec_b32 s16, s15
.LBB85_142:                             ;   in Loop: Header=BB85_63 Depth=1
	v_lshrrev_b32_e32 v7, 24, v12
	s_delay_alu instid0(VALU_DEP_1)
	v_and_or_b32 v7, 0x80, v7, v13
.LBB85_143:                             ;   in Loop: Header=BB85_63 Depth=1
	s_or_b32 exec_lo, exec_lo, s16
.LBB85_144:                             ;   in Loop: Header=BB85_63 Depth=1
	s_delay_alu instid0(SALU_CYCLE_1) | instskip(SKIP_3) | instid1(VALU_DEP_2)
	s_or_b32 exec_lo, exec_lo, s13
	v_and_b32_e32 v12, 0xffff0000, v3
	v_and_b32_e32 v14, 0xffff0000, v5
	s_mov_b32 s13, exec_lo
	v_mul_f32_e32 v12, v28, v12
	s_delay_alu instid0(VALU_DEP_1) | instskip(NEXT) | instid1(VALU_DEP_1)
	v_bfe_u32 v13, v12, 16, 1
	v_add3_u32 v13, v12, v13, 0x7fff
	s_delay_alu instid0(VALU_DEP_1) | instskip(SKIP_1) | instid1(VALU_DEP_2)
	v_and_b32_e32 v13, 0xffff0000, v13
	v_cmp_o_f32_e32 vcc_lo, v12, v12
	v_cndmask_b32_e32 v12, 0x7fc00000, v13, vcc_lo
	s_delay_alu instid0(VALU_DEP_1) | instskip(NEXT) | instid1(VALU_DEP_1)
	v_mul_f32_e32 v12, v12, v14
	v_bfe_u32 v13, v12, 16, 1
	s_delay_alu instid0(VALU_DEP_1) | instskip(NEXT) | instid1(VALU_DEP_1)
	v_add3_u32 v13, v12, v13, 0x7fff
	v_and_b32_e32 v13, 0xffff0000, v13
	v_cmp_o_f32_e32 vcc_lo, v12, v12
	s_delay_alu instid0(VALU_DEP_2) | instskip(NEXT) | instid1(VALU_DEP_1)
	v_cndmask_b32_e32 v12, 0x7fc00000, v13, vcc_lo
	v_div_scale_f32 v13, null, v8, v8, v12
	s_delay_alu instid0(VALU_DEP_1) | instskip(SKIP_2) | instid1(VALU_DEP_1)
	v_rcp_f32_e32 v14, v13
	s_waitcnt_depctr 0xfff
	v_fma_f32 v15, -v13, v14, 1.0
	v_fmac_f32_e32 v14, v15, v14
	v_div_scale_f32 v15, vcc_lo, v12, v8, v12
	s_delay_alu instid0(VALU_DEP_1) | instskip(NEXT) | instid1(VALU_DEP_1)
	v_mul_f32_e32 v16, v15, v14
	v_fma_f32 v17, -v13, v16, v15
	s_delay_alu instid0(VALU_DEP_1) | instskip(NEXT) | instid1(VALU_DEP_1)
	v_fmac_f32_e32 v16, v17, v14
	v_fma_f32 v13, -v13, v16, v15
	s_delay_alu instid0(VALU_DEP_1) | instskip(NEXT) | instid1(VALU_DEP_1)
	v_div_fmas_f32 v13, v13, v14, v16
	v_div_fixup_f32 v12, v13, v8, v12
	s_delay_alu instid0(VALU_DEP_1) | instskip(NEXT) | instid1(VALU_DEP_1)
	v_minmax_f32 v12, v12, s7, 0xc3600000
	v_and_b32_e32 v13, 0x7fffffff, v12
	s_delay_alu instid0(VALU_DEP_1)
	v_cmpx_gt_u32_e32 0x43800000, v13
	s_cbranch_execz .LBB85_150
; %bb.145:                              ;   in Loop: Header=BB85_63 Depth=1
	v_cmp_lt_u32_e32 vcc_lo, 0x3bffffff, v13
	s_mov_b32 s15, 0
                                        ; implicit-def: $vgpr13
	s_and_saveexec_b32 s16, vcc_lo
	s_delay_alu instid0(SALU_CYCLE_1)
	s_xor_b32 s16, exec_lo, s16
	s_cbranch_execnz .LBB85_186
; %bb.146:                              ;   in Loop: Header=BB85_63 Depth=1
	s_or_saveexec_b32 s16, s16
                                        ; implicit-def: $sgpr17
	s_delay_alu instid0(SALU_CYCLE_1)
	s_xor_b32 exec_lo, exec_lo, s16
	s_cbranch_execnz .LBB85_187
.LBB85_147:                             ;   in Loop: Header=BB85_63 Depth=1
	s_or_b32 exec_lo, exec_lo, s16
	v_mov_b32_e32 v11, s17
	s_and_saveexec_b32 s16, s15
.LBB85_148:                             ;   in Loop: Header=BB85_63 Depth=1
	v_lshrrev_b32_e32 v11, 24, v12
	s_delay_alu instid0(VALU_DEP_1)
	v_and_or_b32 v11, 0x80, v11, v13
.LBB85_149:                             ;   in Loop: Header=BB85_63 Depth=1
	s_or_b32 exec_lo, exec_lo, s16
.LBB85_150:                             ;   in Loop: Header=BB85_63 Depth=1
	s_delay_alu instid0(SALU_CYCLE_1) | instskip(SKIP_3) | instid1(VALU_DEP_2)
	s_or_b32 exec_lo, exec_lo, s13
	v_alignbit_b32 v3, v4, v3, 16
	v_alignbit_b32 v5, v6, v5, 16
	s_mov_b32 s13, exec_lo
	v_and_b32_e32 v3, 0xffff0000, v3
	s_delay_alu instid0(VALU_DEP_2) | instskip(NEXT) | instid1(VALU_DEP_2)
	v_and_b32_e32 v5, 0xffff0000, v5
	v_mul_f32_e32 v3, v28, v3
	s_delay_alu instid0(VALU_DEP_1) | instskip(NEXT) | instid1(VALU_DEP_1)
	v_bfe_u32 v12, v3, 16, 1
	v_add3_u32 v12, v3, v12, 0x7fff
	s_delay_alu instid0(VALU_DEP_1) | instskip(SKIP_1) | instid1(VALU_DEP_2)
	v_and_b32_e32 v12, 0xffff0000, v12
	v_cmp_o_f32_e32 vcc_lo, v3, v3
	v_cndmask_b32_e32 v3, 0x7fc00000, v12, vcc_lo
	s_delay_alu instid0(VALU_DEP_1) | instskip(NEXT) | instid1(VALU_DEP_1)
	v_mul_f32_e32 v3, v3, v5
	v_bfe_u32 v5, v3, 16, 1
	v_cmp_o_f32_e32 vcc_lo, v3, v3
	s_delay_alu instid0(VALU_DEP_2) | instskip(NEXT) | instid1(VALU_DEP_1)
	v_add3_u32 v5, v3, v5, 0x7fff
	v_and_b32_e32 v5, 0xffff0000, v5
	s_delay_alu instid0(VALU_DEP_1) | instskip(NEXT) | instid1(VALU_DEP_1)
	v_cndmask_b32_e32 v3, 0x7fc00000, v5, vcc_lo
	v_div_scale_f32 v5, null, v8, v8, v3
	v_div_scale_f32 v14, vcc_lo, v3, v8, v3
	s_delay_alu instid0(VALU_DEP_2) | instskip(SKIP_2) | instid1(VALU_DEP_1)
	v_rcp_f32_e32 v12, v5
	s_waitcnt_depctr 0xfff
	v_fma_f32 v13, -v5, v12, 1.0
	v_fmac_f32_e32 v12, v13, v12
	s_delay_alu instid0(VALU_DEP_1) | instskip(NEXT) | instid1(VALU_DEP_1)
	v_mul_f32_e32 v13, v14, v12
	v_fma_f32 v15, -v5, v13, v14
	s_delay_alu instid0(VALU_DEP_1) | instskip(NEXT) | instid1(VALU_DEP_1)
	v_fmac_f32_e32 v13, v15, v12
	v_fma_f32 v5, -v5, v13, v14
	s_delay_alu instid0(VALU_DEP_1) | instskip(NEXT) | instid1(VALU_DEP_1)
	v_div_fmas_f32 v5, v5, v12, v13
	v_div_fixup_f32 v3, v5, v8, v3
	v_mov_b32_e32 v5, 0x80
	s_delay_alu instid0(VALU_DEP_2) | instskip(SKIP_1) | instid1(VALU_DEP_2)
	v_minmax_f32 v12, v3, s7, 0xc3600000
	v_mov_b32_e32 v3, 0x80
	v_and_b32_e32 v13, 0x7fffffff, v12
	s_delay_alu instid0(VALU_DEP_1)
	v_cmpx_gt_u32_e32 0x43800000, v13
	s_cbranch_execz .LBB85_156
; %bb.151:                              ;   in Loop: Header=BB85_63 Depth=1
	v_cmp_lt_u32_e32 vcc_lo, 0x3bffffff, v13
	s_mov_b32 s15, 0
                                        ; implicit-def: $vgpr13
	s_and_saveexec_b32 s16, vcc_lo
	s_delay_alu instid0(SALU_CYCLE_1)
	s_xor_b32 s16, exec_lo, s16
	s_cbranch_execnz .LBB85_188
; %bb.152:                              ;   in Loop: Header=BB85_63 Depth=1
	s_or_saveexec_b32 s16, s16
                                        ; implicit-def: $sgpr17
	s_delay_alu instid0(SALU_CYCLE_1)
	s_xor_b32 exec_lo, exec_lo, s16
	s_cbranch_execnz .LBB85_189
.LBB85_153:                             ;   in Loop: Header=BB85_63 Depth=1
	s_or_b32 exec_lo, exec_lo, s16
	v_mov_b32_e32 v5, s17
	s_and_saveexec_b32 s16, s15
.LBB85_154:                             ;   in Loop: Header=BB85_63 Depth=1
	v_lshrrev_b32_e32 v5, 24, v12
	s_delay_alu instid0(VALU_DEP_1)
	v_and_or_b32 v5, 0x80, v5, v13
.LBB85_155:                             ;   in Loop: Header=BB85_63 Depth=1
	s_or_b32 exec_lo, exec_lo, s16
.LBB85_156:                             ;   in Loop: Header=BB85_63 Depth=1
	s_delay_alu instid0(SALU_CYCLE_1) | instskip(SKIP_3) | instid1(VALU_DEP_2)
	s_or_b32 exec_lo, exec_lo, s13
	v_and_b32_e32 v4, 0xffff0000, v4
	v_and_b32_e32 v6, 0xffff0000, v6
	s_mov_b32 s13, exec_lo
	v_mul_f32_e32 v4, v28, v4
	s_delay_alu instid0(VALU_DEP_1) | instskip(SKIP_1) | instid1(VALU_DEP_2)
	v_bfe_u32 v12, v4, 16, 1
	v_cmp_o_f32_e32 vcc_lo, v4, v4
	v_add3_u32 v12, v4, v12, 0x7fff
	s_delay_alu instid0(VALU_DEP_1) | instskip(NEXT) | instid1(VALU_DEP_1)
	v_and_b32_e32 v12, 0xffff0000, v12
	v_cndmask_b32_e32 v4, 0x7fc00000, v12, vcc_lo
	s_delay_alu instid0(VALU_DEP_1) | instskip(NEXT) | instid1(VALU_DEP_1)
	v_mul_f32_e32 v4, v4, v6
	v_bfe_u32 v6, v4, 16, 1
	v_cmp_o_f32_e32 vcc_lo, v4, v4
	s_delay_alu instid0(VALU_DEP_2) | instskip(NEXT) | instid1(VALU_DEP_1)
	v_add3_u32 v6, v4, v6, 0x7fff
	v_and_b32_e32 v6, 0xffff0000, v6
	s_delay_alu instid0(VALU_DEP_1) | instskip(NEXT) | instid1(VALU_DEP_1)
	v_cndmask_b32_e32 v4, 0x7fc00000, v6, vcc_lo
	v_div_scale_f32 v6, null, v8, v8, v4
	s_delay_alu instid0(VALU_DEP_1) | instskip(SKIP_2) | instid1(VALU_DEP_1)
	v_rcp_f32_e32 v12, v6
	s_waitcnt_depctr 0xfff
	v_fma_f32 v13, -v6, v12, 1.0
	v_fmac_f32_e32 v12, v13, v12
	v_div_scale_f32 v13, vcc_lo, v4, v8, v4
	s_delay_alu instid0(VALU_DEP_1) | instskip(NEXT) | instid1(VALU_DEP_1)
	v_mul_f32_e32 v14, v13, v12
	v_fma_f32 v15, -v6, v14, v13
	s_delay_alu instid0(VALU_DEP_1) | instskip(NEXT) | instid1(VALU_DEP_1)
	v_fmac_f32_e32 v14, v15, v12
	v_fma_f32 v6, -v6, v14, v13
	s_delay_alu instid0(VALU_DEP_1) | instskip(NEXT) | instid1(VALU_DEP_1)
	v_div_fmas_f32 v6, v6, v12, v14
	v_div_fixup_f32 v4, v6, v8, v4
	s_delay_alu instid0(VALU_DEP_1) | instskip(NEXT) | instid1(VALU_DEP_1)
	v_minmax_f32 v4, v4, s7, 0xc3600000
	v_and_b32_e32 v6, 0x7fffffff, v4
	s_delay_alu instid0(VALU_DEP_1)
	v_cmpx_gt_u32_e32 0x43800000, v6
	s_cbranch_execz .LBB85_59
; %bb.157:                              ;   in Loop: Header=BB85_63 Depth=1
	v_cmp_lt_u32_e32 vcc_lo, 0x3bffffff, v6
	s_mov_b32 s15, 0
                                        ; implicit-def: $vgpr6
	s_and_saveexec_b32 s16, vcc_lo
	s_delay_alu instid0(SALU_CYCLE_1)
	s_xor_b32 s16, exec_lo, s16
	s_cbranch_execnz .LBB85_190
; %bb.158:                              ;   in Loop: Header=BB85_63 Depth=1
	s_or_saveexec_b32 s16, s16
                                        ; implicit-def: $sgpr17
	s_delay_alu instid0(SALU_CYCLE_1)
	s_xor_b32 exec_lo, exec_lo, s16
	s_cbranch_execnz .LBB85_191
.LBB85_159:                             ;   in Loop: Header=BB85_63 Depth=1
	s_or_b32 exec_lo, exec_lo, s16
	v_mov_b32_e32 v3, s17
	s_and_saveexec_b32 s16, s15
	s_cbranch_execz .LBB85_58
	s_branch .LBB85_192
.LBB85_160:                             ;   in Loop: Header=BB85_63 Depth=1
	v_bfe_u32 v8, v11, 20, 1
	s_mov_b32 s9, exec_lo
	s_delay_alu instid0(VALU_DEP_1) | instskip(NEXT) | instid1(VALU_DEP_1)
	v_add3_u32 v8, v11, v8, 0x487ffff
	v_lshrrev_b32_e32 v12, 20, v8
	s_or_saveexec_b32 s12, s12
                                        ; implicit-def: $sgpr13
	s_delay_alu instid0(SALU_CYCLE_1)
	s_xor_b32 exec_lo, exec_lo, s12
	s_cbranch_execz .LBB85_66
.LBB85_161:                             ;   in Loop: Header=BB85_63 Depth=1
	v_add_f32_e64 v8, 0x46000000, |v11|
	s_and_not1_b32 s9, s9, exec_lo
	s_mov_b32 s13, 0
	s_delay_alu instid0(VALU_DEP_1) | instskip(NEXT) | instid1(VALU_DEP_1)
	v_and_b32_e32 v12, 0xff, v8
	v_cmp_ne_u32_e32 vcc_lo, 0, v12
	s_and_b32 s15, vcc_lo, exec_lo
	s_delay_alu instid0(SALU_CYCLE_1)
	s_or_b32 s9, s9, s15
	s_or_b32 exec_lo, exec_lo, s12
	v_mov_b32_e32 v8, s13
	s_and_saveexec_b32 s12, s9
	s_cbranch_execnz .LBB85_67
	s_branch .LBB85_68
.LBB85_162:                             ;   in Loop: Header=BB85_63 Depth=1
	v_bfe_u32 v7, v11, 20, 1
	s_mov_b32 s9, exec_lo
	s_delay_alu instid0(VALU_DEP_1) | instskip(NEXT) | instid1(VALU_DEP_1)
	v_add3_u32 v7, v11, v7, 0x487ffff
	v_lshrrev_b32_e32 v12, 20, v7
	s_or_saveexec_b32 s12, s12
                                        ; implicit-def: $sgpr13
	s_delay_alu instid0(SALU_CYCLE_1)
	s_xor_b32 exec_lo, exec_lo, s12
	s_cbranch_execz .LBB85_72
.LBB85_163:                             ;   in Loop: Header=BB85_63 Depth=1
	v_add_f32_e64 v7, 0x46000000, |v11|
	s_and_not1_b32 s9, s9, exec_lo
	s_mov_b32 s13, 0
	s_delay_alu instid0(VALU_DEP_1) | instskip(NEXT) | instid1(VALU_DEP_1)
	v_and_b32_e32 v12, 0xff, v7
	v_cmp_ne_u32_e32 vcc_lo, 0, v12
	s_and_b32 s15, vcc_lo, exec_lo
	s_delay_alu instid0(SALU_CYCLE_1)
	s_or_b32 s9, s9, s15
	s_or_b32 exec_lo, exec_lo, s12
	v_mov_b32_e32 v7, s13
	s_and_saveexec_b32 s12, s9
	s_cbranch_execnz .LBB85_73
	s_branch .LBB85_74
.LBB85_164:                             ;   in Loop: Header=BB85_63 Depth=1
	v_bfe_u32 v4, v11, 20, 1
	s_mov_b32 s9, exec_lo
	s_delay_alu instid0(VALU_DEP_1) | instskip(NEXT) | instid1(VALU_DEP_1)
	v_add3_u32 v4, v11, v4, 0x487ffff
	v_lshrrev_b32_e32 v12, 20, v4
	s_or_saveexec_b32 s12, s12
                                        ; implicit-def: $sgpr13
	s_delay_alu instid0(SALU_CYCLE_1)
	s_xor_b32 exec_lo, exec_lo, s12
	s_cbranch_execz .LBB85_78
.LBB85_165:                             ;   in Loop: Header=BB85_63 Depth=1
	v_add_f32_e64 v4, 0x46000000, |v11|
	s_and_not1_b32 s9, s9, exec_lo
	s_mov_b32 s13, 0
	s_delay_alu instid0(VALU_DEP_1) | instskip(NEXT) | instid1(VALU_DEP_1)
	v_and_b32_e32 v12, 0xff, v4
	v_cmp_ne_u32_e32 vcc_lo, 0, v12
	s_and_b32 s15, vcc_lo, exec_lo
	s_delay_alu instid0(SALU_CYCLE_1)
	s_or_b32 s9, s9, s15
	s_or_b32 exec_lo, exec_lo, s12
	v_mov_b32_e32 v4, s13
	s_and_saveexec_b32 s12, s9
	s_cbranch_execnz .LBB85_79
	s_branch .LBB85_80
.LBB85_166:                             ;   in Loop: Header=BB85_63 Depth=1
	v_bfe_u32 v2, v3, 20, 1
	s_mov_b32 s9, exec_lo
	s_delay_alu instid0(VALU_DEP_1) | instskip(NEXT) | instid1(VALU_DEP_1)
	v_add3_u32 v2, v3, v2, 0x487ffff
	v_lshrrev_b32_e32 v5, 20, v2
	s_or_saveexec_b32 s12, s12
                                        ; implicit-def: $sgpr13
	s_delay_alu instid0(SALU_CYCLE_1)
	s_xor_b32 exec_lo, exec_lo, s12
	s_cbranch_execz .LBB85_84
.LBB85_167:                             ;   in Loop: Header=BB85_63 Depth=1
	v_add_f32_e64 v2, 0x46000000, |v3|
	s_and_not1_b32 s9, s9, exec_lo
	s_mov_b32 s13, 0
	s_delay_alu instid0(VALU_DEP_1) | instskip(NEXT) | instid1(VALU_DEP_1)
	v_and_b32_e32 v5, 0xff, v2
	v_cmp_ne_u32_e32 vcc_lo, 0, v5
	s_and_b32 s15, vcc_lo, exec_lo
	s_delay_alu instid0(SALU_CYCLE_1)
	s_or_b32 s9, s9, s15
	s_or_b32 exec_lo, exec_lo, s12
	v_mov_b32_e32 v2, s13
	s_and_saveexec_b32 s12, s9
	s_cbranch_execnz .LBB85_85
	s_branch .LBB85_86
.LBB85_168:                             ;   in Loop: Header=BB85_63 Depth=1
	v_bfe_u32 v11, v13, 20, 1
	s_mov_b32 s12, exec_lo
	s_delay_alu instid0(VALU_DEP_1) | instskip(NEXT) | instid1(VALU_DEP_1)
	v_add3_u32 v11, v13, v11, 0x487ffff
	v_lshrrev_b32_e32 v14, 20, v11
	s_or_saveexec_b32 s13, s13
                                        ; implicit-def: $sgpr15
	s_delay_alu instid0(SALU_CYCLE_1)
	s_xor_b32 exec_lo, exec_lo, s13
	s_cbranch_execz .LBB85_91
.LBB85_169:                             ;   in Loop: Header=BB85_63 Depth=1
	v_add_f32_e64 v11, 0x46000000, |v13|
	s_and_not1_b32 s12, s12, exec_lo
	s_mov_b32 s15, 0
	s_delay_alu instid0(VALU_DEP_1) | instskip(NEXT) | instid1(VALU_DEP_1)
	v_and_b32_e32 v14, 0xff, v11
	v_cmp_ne_u32_e32 vcc_lo, 0, v14
	s_and_b32 s16, vcc_lo, exec_lo
	s_delay_alu instid0(SALU_CYCLE_1)
	s_or_b32 s12, s12, s16
	s_or_b32 exec_lo, exec_lo, s13
	v_mov_b32_e32 v11, s15
	s_and_saveexec_b32 s13, s12
	s_cbranch_execnz .LBB85_92
	s_branch .LBB85_93
.LBB85_170:                             ;   in Loop: Header=BB85_63 Depth=1
	v_bfe_u32 v12, v13, 20, 1
	s_mov_b32 s12, exec_lo
	s_delay_alu instid0(VALU_DEP_1) | instskip(NEXT) | instid1(VALU_DEP_1)
	v_add3_u32 v12, v13, v12, 0x487ffff
	v_lshrrev_b32_e32 v14, 20, v12
	s_or_saveexec_b32 s13, s13
                                        ; implicit-def: $sgpr15
	s_delay_alu instid0(SALU_CYCLE_1)
	s_xor_b32 exec_lo, exec_lo, s13
	s_cbranch_execz .LBB85_97
.LBB85_171:                             ;   in Loop: Header=BB85_63 Depth=1
	v_add_f32_e64 v12, 0x46000000, |v13|
	s_and_not1_b32 s12, s12, exec_lo
	s_mov_b32 s15, 0
	s_delay_alu instid0(VALU_DEP_1) | instskip(NEXT) | instid1(VALU_DEP_1)
	v_and_b32_e32 v14, 0xff, v12
	v_cmp_ne_u32_e32 vcc_lo, 0, v14
	s_and_b32 s16, vcc_lo, exec_lo
	s_delay_alu instid0(SALU_CYCLE_1)
	s_or_b32 s12, s12, s16
	s_or_b32 exec_lo, exec_lo, s13
	v_mov_b32_e32 v12, s15
	s_and_saveexec_b32 s13, s12
	s_cbranch_execnz .LBB85_98
	s_branch .LBB85_99
.LBB85_172:                             ;   in Loop: Header=BB85_63 Depth=1
	v_bfe_u32 v6, v13, 20, 1
	s_mov_b32 s12, exec_lo
	s_delay_alu instid0(VALU_DEP_1) | instskip(NEXT) | instid1(VALU_DEP_1)
	v_add3_u32 v6, v13, v6, 0x487ffff
	v_lshrrev_b32_e32 v14, 20, v6
	s_or_saveexec_b32 s13, s13
                                        ; implicit-def: $sgpr15
	s_delay_alu instid0(SALU_CYCLE_1)
	s_xor_b32 exec_lo, exec_lo, s13
	s_cbranch_execz .LBB85_103
.LBB85_173:                             ;   in Loop: Header=BB85_63 Depth=1
	v_add_f32_e64 v6, 0x46000000, |v13|
	s_and_not1_b32 s12, s12, exec_lo
	s_mov_b32 s15, 0
	s_delay_alu instid0(VALU_DEP_1) | instskip(NEXT) | instid1(VALU_DEP_1)
	v_and_b32_e32 v14, 0xff, v6
	v_cmp_ne_u32_e32 vcc_lo, 0, v14
	s_and_b32 s16, vcc_lo, exec_lo
	s_delay_alu instid0(SALU_CYCLE_1)
	s_or_b32 s12, s12, s16
	s_or_b32 exec_lo, exec_lo, s13
	v_mov_b32_e32 v6, s15
	s_and_saveexec_b32 s13, s12
	s_cbranch_execnz .LBB85_104
	s_branch .LBB85_105
.LBB85_174:                             ;   in Loop: Header=BB85_63 Depth=1
	v_bfe_u32 v4, v5, 20, 1
	s_mov_b32 s12, exec_lo
	s_delay_alu instid0(VALU_DEP_1) | instskip(NEXT) | instid1(VALU_DEP_1)
	v_add3_u32 v4, v5, v4, 0x487ffff
	v_lshrrev_b32_e32 v7, 20, v4
	s_or_saveexec_b32 s13, s13
                                        ; implicit-def: $sgpr15
	s_delay_alu instid0(SALU_CYCLE_1)
	s_xor_b32 exec_lo, exec_lo, s13
	s_cbranch_execz .LBB85_109
.LBB85_175:                             ;   in Loop: Header=BB85_63 Depth=1
	v_add_f32_e64 v4, 0x46000000, |v5|
	s_and_not1_b32 s12, s12, exec_lo
	s_mov_b32 s15, 0
	s_delay_alu instid0(VALU_DEP_1) | instskip(NEXT) | instid1(VALU_DEP_1)
	v_and_b32_e32 v7, 0xff, v4
	v_cmp_ne_u32_e32 vcc_lo, 0, v7
	s_and_b32 s16, vcc_lo, exec_lo
	s_delay_alu instid0(SALU_CYCLE_1)
	s_or_b32 s12, s12, s16
	s_or_b32 exec_lo, exec_lo, s13
	v_mov_b32_e32 v4, s15
	s_and_saveexec_b32 s13, s12
	s_cbranch_execnz .LBB85_110
	s_branch .LBB85_111
.LBB85_176:                             ;   in Loop: Header=BB85_63 Depth=1
	v_bfe_u32 v12, v14, 20, 1
	s_mov_b32 s13, exec_lo
	s_delay_alu instid0(VALU_DEP_1) | instskip(NEXT) | instid1(VALU_DEP_1)
	v_add3_u32 v12, v14, v12, 0x487ffff
	v_lshrrev_b32_e32 v15, 20, v12
	s_or_saveexec_b32 s15, s15
                                        ; implicit-def: $sgpr16
	s_delay_alu instid0(SALU_CYCLE_1)
	s_xor_b32 exec_lo, exec_lo, s15
	s_cbranch_execz .LBB85_116
.LBB85_177:                             ;   in Loop: Header=BB85_63 Depth=1
	v_add_f32_e64 v12, 0x46000000, |v14|
	s_and_not1_b32 s13, s13, exec_lo
	s_mov_b32 s16, 0
	s_delay_alu instid0(VALU_DEP_1) | instskip(NEXT) | instid1(VALU_DEP_1)
	v_and_b32_e32 v15, 0xff, v12
	v_cmp_ne_u32_e32 vcc_lo, 0, v15
	s_and_b32 s17, vcc_lo, exec_lo
	s_delay_alu instid0(SALU_CYCLE_1)
	s_or_b32 s13, s13, s17
	s_or_b32 exec_lo, exec_lo, s15
	v_mov_b32_e32 v12, s16
	s_and_saveexec_b32 s15, s13
	s_cbranch_execnz .LBB85_117
	s_branch .LBB85_118
.LBB85_178:                             ;   in Loop: Header=BB85_63 Depth=1
	v_bfe_u32 v13, v14, 20, 1
	s_mov_b32 s13, exec_lo
	s_delay_alu instid0(VALU_DEP_1) | instskip(NEXT) | instid1(VALU_DEP_1)
	v_add3_u32 v13, v14, v13, 0x487ffff
	v_lshrrev_b32_e32 v15, 20, v13
	s_or_saveexec_b32 s15, s15
                                        ; implicit-def: $sgpr16
	s_delay_alu instid0(SALU_CYCLE_1)
	s_xor_b32 exec_lo, exec_lo, s15
	s_cbranch_execz .LBB85_122
.LBB85_179:                             ;   in Loop: Header=BB85_63 Depth=1
	v_add_f32_e64 v13, 0x46000000, |v14|
	s_and_not1_b32 s13, s13, exec_lo
	s_mov_b32 s16, 0
	s_delay_alu instid0(VALU_DEP_1) | instskip(NEXT) | instid1(VALU_DEP_1)
	v_and_b32_e32 v15, 0xff, v13
	v_cmp_ne_u32_e32 vcc_lo, 0, v15
	s_and_b32 s17, vcc_lo, exec_lo
	s_delay_alu instid0(SALU_CYCLE_1)
	s_or_b32 s13, s13, s17
	s_or_b32 exec_lo, exec_lo, s15
	v_mov_b32_e32 v13, s16
	s_and_saveexec_b32 s15, s13
	s_cbranch_execnz .LBB85_123
	s_branch .LBB85_124
.LBB85_180:                             ;   in Loop: Header=BB85_63 Depth=1
	v_bfe_u32 v7, v14, 20, 1
	s_mov_b32 s13, exec_lo
	s_delay_alu instid0(VALU_DEP_1) | instskip(NEXT) | instid1(VALU_DEP_1)
	v_add3_u32 v7, v14, v7, 0x487ffff
	v_lshrrev_b32_e32 v15, 20, v7
	s_or_saveexec_b32 s15, s15
                                        ; implicit-def: $sgpr16
	s_delay_alu instid0(SALU_CYCLE_1)
	s_xor_b32 exec_lo, exec_lo, s15
	s_cbranch_execz .LBB85_128
.LBB85_181:                             ;   in Loop: Header=BB85_63 Depth=1
	v_add_f32_e64 v7, 0x46000000, |v14|
	s_and_not1_b32 s13, s13, exec_lo
	s_mov_b32 s16, 0
	s_delay_alu instid0(VALU_DEP_1) | instskip(NEXT) | instid1(VALU_DEP_1)
	v_and_b32_e32 v15, 0xff, v7
	v_cmp_ne_u32_e32 vcc_lo, 0, v15
	s_and_b32 s17, vcc_lo, exec_lo
	s_delay_alu instid0(SALU_CYCLE_1)
	s_or_b32 s13, s13, s17
	s_or_b32 exec_lo, exec_lo, s15
	v_mov_b32_e32 v7, s16
	s_and_saveexec_b32 s15, s13
	s_cbranch_execnz .LBB85_129
	s_branch .LBB85_130
.LBB85_182:                             ;   in Loop: Header=BB85_63 Depth=1
	v_bfe_u32 v5, v6, 20, 1
	s_mov_b32 s13, exec_lo
	s_delay_alu instid0(VALU_DEP_1) | instskip(NEXT) | instid1(VALU_DEP_1)
	v_add3_u32 v5, v6, v5, 0x487ffff
	v_lshrrev_b32_e32 v8, 20, v5
	s_or_saveexec_b32 s15, s15
                                        ; implicit-def: $sgpr16
	s_delay_alu instid0(SALU_CYCLE_1)
	s_xor_b32 exec_lo, exec_lo, s15
	s_cbranch_execz .LBB85_134
.LBB85_183:                             ;   in Loop: Header=BB85_63 Depth=1
	v_add_f32_e64 v5, 0x46000000, |v6|
	s_and_not1_b32 s13, s13, exec_lo
	s_mov_b32 s16, 0
	s_delay_alu instid0(VALU_DEP_1) | instskip(NEXT) | instid1(VALU_DEP_1)
	v_and_b32_e32 v8, 0xff, v5
	v_cmp_ne_u32_e32 vcc_lo, 0, v8
	s_and_b32 s17, vcc_lo, exec_lo
	s_delay_alu instid0(SALU_CYCLE_1)
	s_or_b32 s13, s13, s17
	s_or_b32 exec_lo, exec_lo, s15
	v_mov_b32_e32 v5, s16
	s_and_saveexec_b32 s15, s13
	s_cbranch_execnz .LBB85_135
	s_branch .LBB85_136
.LBB85_184:                             ;   in Loop: Header=BB85_63 Depth=1
	v_bfe_u32 v7, v12, 20, 1
	s_mov_b32 s15, exec_lo
	s_delay_alu instid0(VALU_DEP_1) | instskip(NEXT) | instid1(VALU_DEP_1)
	v_add3_u32 v7, v12, v7, 0x487ffff
	v_lshrrev_b32_e32 v13, 20, v7
	s_or_saveexec_b32 s16, s16
                                        ; implicit-def: $sgpr17
	s_delay_alu instid0(SALU_CYCLE_1)
	s_xor_b32 exec_lo, exec_lo, s16
	s_cbranch_execz .LBB85_141
.LBB85_185:                             ;   in Loop: Header=BB85_63 Depth=1
	v_add_f32_e64 v7, 0x46000000, |v12|
	s_and_not1_b32 s15, s15, exec_lo
	s_mov_b32 s17, 0
	s_delay_alu instid0(VALU_DEP_1) | instskip(NEXT) | instid1(VALU_DEP_1)
	v_and_b32_e32 v13, 0xff, v7
	v_cmp_ne_u32_e32 vcc_lo, 0, v13
	s_and_b32 s18, vcc_lo, exec_lo
	s_delay_alu instid0(SALU_CYCLE_1)
	s_or_b32 s15, s15, s18
	s_or_b32 exec_lo, exec_lo, s16
	v_mov_b32_e32 v7, s17
	s_and_saveexec_b32 s16, s15
	s_cbranch_execnz .LBB85_142
	s_branch .LBB85_143
.LBB85_186:                             ;   in Loop: Header=BB85_63 Depth=1
	v_bfe_u32 v11, v12, 20, 1
	s_mov_b32 s15, exec_lo
	s_delay_alu instid0(VALU_DEP_1) | instskip(NEXT) | instid1(VALU_DEP_1)
	v_add3_u32 v11, v12, v11, 0x487ffff
	v_lshrrev_b32_e32 v13, 20, v11
	s_or_saveexec_b32 s16, s16
                                        ; implicit-def: $sgpr17
	s_delay_alu instid0(SALU_CYCLE_1)
	s_xor_b32 exec_lo, exec_lo, s16
	s_cbranch_execz .LBB85_147
.LBB85_187:                             ;   in Loop: Header=BB85_63 Depth=1
	v_add_f32_e64 v11, 0x46000000, |v12|
	s_and_not1_b32 s15, s15, exec_lo
	s_mov_b32 s17, 0
	s_delay_alu instid0(VALU_DEP_1) | instskip(NEXT) | instid1(VALU_DEP_1)
	v_and_b32_e32 v13, 0xff, v11
	v_cmp_ne_u32_e32 vcc_lo, 0, v13
	s_and_b32 s18, vcc_lo, exec_lo
	s_delay_alu instid0(SALU_CYCLE_1)
	s_or_b32 s15, s15, s18
	s_or_b32 exec_lo, exec_lo, s16
	v_mov_b32_e32 v11, s17
	s_and_saveexec_b32 s16, s15
	s_cbranch_execnz .LBB85_148
	s_branch .LBB85_149
.LBB85_188:                             ;   in Loop: Header=BB85_63 Depth=1
	v_bfe_u32 v5, v12, 20, 1
	s_mov_b32 s15, exec_lo
	s_delay_alu instid0(VALU_DEP_1) | instskip(NEXT) | instid1(VALU_DEP_1)
	v_add3_u32 v5, v12, v5, 0x487ffff
	v_lshrrev_b32_e32 v13, 20, v5
	s_or_saveexec_b32 s16, s16
                                        ; implicit-def: $sgpr17
	s_delay_alu instid0(SALU_CYCLE_1)
	s_xor_b32 exec_lo, exec_lo, s16
	s_cbranch_execz .LBB85_153
.LBB85_189:                             ;   in Loop: Header=BB85_63 Depth=1
	v_add_f32_e64 v5, 0x46000000, |v12|
	s_and_not1_b32 s15, s15, exec_lo
	s_mov_b32 s17, 0
	s_delay_alu instid0(VALU_DEP_1) | instskip(NEXT) | instid1(VALU_DEP_1)
	v_and_b32_e32 v13, 0xff, v5
	v_cmp_ne_u32_e32 vcc_lo, 0, v13
	s_and_b32 s18, vcc_lo, exec_lo
	s_delay_alu instid0(SALU_CYCLE_1)
	s_or_b32 s15, s15, s18
	s_or_b32 exec_lo, exec_lo, s16
	v_mov_b32_e32 v5, s17
	s_and_saveexec_b32 s16, s15
	s_cbranch_execnz .LBB85_154
	s_branch .LBB85_155
.LBB85_190:                             ;   in Loop: Header=BB85_63 Depth=1
	v_bfe_u32 v3, v4, 20, 1
	s_mov_b32 s15, exec_lo
	s_delay_alu instid0(VALU_DEP_1) | instskip(NEXT) | instid1(VALU_DEP_1)
	v_add3_u32 v3, v4, v3, 0x487ffff
	v_lshrrev_b32_e32 v6, 20, v3
	s_or_saveexec_b32 s16, s16
                                        ; implicit-def: $sgpr17
	s_delay_alu instid0(SALU_CYCLE_1)
	s_xor_b32 exec_lo, exec_lo, s16
	s_cbranch_execz .LBB85_159
.LBB85_191:                             ;   in Loop: Header=BB85_63 Depth=1
	v_add_f32_e64 v3, 0x46000000, |v4|
	s_and_not1_b32 s15, s15, exec_lo
	s_mov_b32 s17, 0
	s_delay_alu instid0(VALU_DEP_1) | instskip(NEXT) | instid1(VALU_DEP_1)
	v_and_b32_e32 v6, 0xff, v3
	v_cmp_ne_u32_e32 vcc_lo, 0, v6
	s_and_b32 s18, vcc_lo, exec_lo
	s_delay_alu instid0(SALU_CYCLE_1)
	s_or_b32 s15, s15, s18
	s_or_b32 exec_lo, exec_lo, s16
	v_mov_b32_e32 v3, s17
	s_and_saveexec_b32 s16, s15
	s_cbranch_execz .LBB85_58
.LBB85_192:                             ;   in Loop: Header=BB85_63 Depth=1
	v_lshrrev_b32_e32 v3, 24, v4
	s_delay_alu instid0(VALU_DEP_1)
	v_and_or_b32 v3, 0x80, v3, v6
	s_branch .LBB85_58
.LBB85_193:
	s_nop 0
	s_sendmsg sendmsg(MSG_DEALLOC_VGPRS)
	s_endpgm
.LBB85_194:
                                        ; implicit-def: $vgpr3_vgpr4
	s_branch .LBB85_51
.LBB85_195:
                                        ; implicit-def: $vgpr1_vgpr2
	s_branch .LBB85_56
	.section	.rodata,"a",@progbits
	.p2align	6, 0x0
	.amdhsa_kernel _ZN4vllm31rms_norm_per_block_quant_kernelIN3c108BFloat16ENS1_15Float8_e4m3fnuzELb0ELb1ELi64EEEvPT0_PfPKT_S9_PKffiiPS7_l
		.amdhsa_group_segment_fixed_size 4228
		.amdhsa_private_segment_fixed_size 0
		.amdhsa_kernarg_size 328
		.amdhsa_user_sgpr_count 15
		.amdhsa_user_sgpr_dispatch_ptr 0
		.amdhsa_user_sgpr_queue_ptr 0
		.amdhsa_user_sgpr_kernarg_segment_ptr 1
		.amdhsa_user_sgpr_dispatch_id 0
		.amdhsa_user_sgpr_private_segment_size 0
		.amdhsa_wavefront_size32 1
		.amdhsa_uses_dynamic_stack 0
		.amdhsa_enable_private_segment 0
		.amdhsa_system_sgpr_workgroup_id_x 1
		.amdhsa_system_sgpr_workgroup_id_y 0
		.amdhsa_system_sgpr_workgroup_id_z 0
		.amdhsa_system_sgpr_workgroup_info 0
		.amdhsa_system_vgpr_workitem_id 0
		.amdhsa_next_free_vgpr 46
		.amdhsa_next_free_sgpr 36
		.amdhsa_reserve_vcc 1
		.amdhsa_float_round_mode_32 0
		.amdhsa_float_round_mode_16_64 0
		.amdhsa_float_denorm_mode_32 3
		.amdhsa_float_denorm_mode_16_64 3
		.amdhsa_dx10_clamp 1
		.amdhsa_ieee_mode 1
		.amdhsa_fp16_overflow 0
		.amdhsa_workgroup_processor_mode 1
		.amdhsa_memory_ordered 1
		.amdhsa_forward_progress 0
		.amdhsa_shared_vgpr_count 0
		.amdhsa_exception_fp_ieee_invalid_op 0
		.amdhsa_exception_fp_denorm_src 0
		.amdhsa_exception_fp_ieee_div_zero 0
		.amdhsa_exception_fp_ieee_overflow 0
		.amdhsa_exception_fp_ieee_underflow 0
		.amdhsa_exception_fp_ieee_inexact 0
		.amdhsa_exception_int_div_zero 0
	.end_amdhsa_kernel
	.section	.text._ZN4vllm31rms_norm_per_block_quant_kernelIN3c108BFloat16ENS1_15Float8_e4m3fnuzELb0ELb1ELi64EEEvPT0_PfPKT_S9_PKffiiPS7_l,"axG",@progbits,_ZN4vllm31rms_norm_per_block_quant_kernelIN3c108BFloat16ENS1_15Float8_e4m3fnuzELb0ELb1ELi64EEEvPT0_PfPKT_S9_PKffiiPS7_l,comdat
.Lfunc_end85:
	.size	_ZN4vllm31rms_norm_per_block_quant_kernelIN3c108BFloat16ENS1_15Float8_e4m3fnuzELb0ELb1ELi64EEEvPT0_PfPKT_S9_PKffiiPS7_l, .Lfunc_end85-_ZN4vllm31rms_norm_per_block_quant_kernelIN3c108BFloat16ENS1_15Float8_e4m3fnuzELb0ELb1ELi64EEEvPT0_PfPKT_S9_PKffiiPS7_l
                                        ; -- End function
	.section	.AMDGPU.csdata,"",@progbits
; Kernel info:
; codeLenInByte = 16564
; NumSgprs: 38
; NumVgprs: 46
; ScratchSize: 0
; MemoryBound: 0
; FloatMode: 240
; IeeeMode: 1
; LDSByteSize: 4228 bytes/workgroup (compile time only)
; SGPRBlocks: 4
; VGPRBlocks: 5
; NumSGPRsForWavesPerEU: 38
; NumVGPRsForWavesPerEU: 46
; Occupancy: 16
; WaveLimiterHint : 0
; COMPUTE_PGM_RSRC2:SCRATCH_EN: 0
; COMPUTE_PGM_RSRC2:USER_SGPR: 15
; COMPUTE_PGM_RSRC2:TRAP_HANDLER: 0
; COMPUTE_PGM_RSRC2:TGID_X_EN: 1
; COMPUTE_PGM_RSRC2:TGID_Y_EN: 0
; COMPUTE_PGM_RSRC2:TGID_Z_EN: 0
; COMPUTE_PGM_RSRC2:TIDIG_COMP_CNT: 0
	.section	.text._ZN4vllm31rms_norm_per_block_quant_kernelIN3c108BFloat16EaLb0ELb1ELi64EEEvPT0_PfPKT_S8_PKffiiPS6_l,"axG",@progbits,_ZN4vllm31rms_norm_per_block_quant_kernelIN3c108BFloat16EaLb0ELb1ELi64EEEvPT0_PfPKT_S8_PKffiiPS6_l,comdat
	.protected	_ZN4vllm31rms_norm_per_block_quant_kernelIN3c108BFloat16EaLb0ELb1ELi64EEEvPT0_PfPKT_S8_PKffiiPS6_l ; -- Begin function _ZN4vllm31rms_norm_per_block_quant_kernelIN3c108BFloat16EaLb0ELb1ELi64EEEvPT0_PfPKT_S8_PKffiiPS6_l
	.globl	_ZN4vllm31rms_norm_per_block_quant_kernelIN3c108BFloat16EaLb0ELb1ELi64EEEvPT0_PfPKT_S8_PKffiiPS6_l
	.p2align	8
	.type	_ZN4vllm31rms_norm_per_block_quant_kernelIN3c108BFloat16EaLb0ELb1ELi64EEEvPT0_PfPKT_S8_PKffiiPS6_l,@function
_ZN4vllm31rms_norm_per_block_quant_kernelIN3c108BFloat16EaLb0ELb1ELi64EEEvPT0_PfPKT_S8_PKffiiPS6_l: ; @_ZN4vllm31rms_norm_per_block_quant_kernelIN3c108BFloat16EaLb0ELb1ELi64EEEvPT0_PfPKT_S8_PKffiiPS6_l
; %bb.0:
	s_mov_b32 s16, s15
	s_clause 0x2
	s_load_b128 s[12:15], s[0:1], 0x28
	s_load_b256 s[4:11], s[0:1], 0x0
	s_load_b32 s29, s[0:1], 0x48
	v_mov_b32_e32 v6, 0
	s_mov_b32 s17, 0
	s_waitcnt lgkmcnt(0)
	s_ashr_i32 s2, s14, 31
	s_mul_hi_u32 s3, s14, s16
	s_mul_i32 s15, s2, s16
	s_mul_i32 s2, s14, s16
	s_add_i32 s3, s3, s15
	s_mov_b32 s18, s13
	s_lshl_b64 s[22:23], s[2:3], 1
	s_delay_alu instid0(SALU_CYCLE_1)
	s_add_u32 s26, s8, s22
	s_addc_u32 s27, s9, s23
	s_ashr_i32 s14, s13, 2
	s_add_u32 s20, s0, 0x48
	v_cmp_gt_u32_e64 s2, s14, v0
	s_addc_u32 s21, s1, 0
	s_delay_alu instid0(VALU_DEP_1)
	s_and_saveexec_b32 s3, s2
	s_cbranch_execz .LBB86_10
; %bb.1:
	s_cmp_lt_u32 s16, s29
	v_mov_b32_e32 v2, 0
	s_cselect_b32 s15, 12, 18
                                        ; implicit-def: $sgpr19
	v_mov_b32_e32 v1, v0
	s_add_u32 s24, s20, s15
	s_addc_u32 s25, s21, 0
	s_mov_b32 s15, s17
	global_load_u16 v7, v2, s[24:25]
	s_waitcnt vmcnt(0)
	v_lshlrev_b32_e32 v9, 1, v7
	v_mul_lo_u32 v8, v7, 3
	v_add_nc_u32_e32 v10, v7, v7
	v_mov_b32_e32 v6, v2
	s_branch .LBB86_5
.LBB86_2:                               ;   in Loop: Header=BB86_5 Depth=1
	s_or_b32 exec_lo, exec_lo, s28
	s_delay_alu instid0(SALU_CYCLE_1)
	s_or_not1_b32 s28, s30, exec_lo
.LBB86_3:                               ;   in Loop: Header=BB86_5 Depth=1
	s_or_b32 exec_lo, exec_lo, s25
	s_delay_alu instid0(SALU_CYCLE_1) | instskip(SKIP_1) | instid1(SALU_CYCLE_1)
	s_and_not1_b32 s19, s19, exec_lo
	s_and_b32 s25, s28, exec_lo
	s_or_b32 s19, s19, s25
.LBB86_4:                               ;   in Loop: Header=BB86_5 Depth=1
	s_or_b32 exec_lo, exec_lo, s24
	s_delay_alu instid0(SALU_CYCLE_1) | instskip(NEXT) | instid1(SALU_CYCLE_1)
	s_and_b32 s24, exec_lo, s19
	s_or_b32 s15, s24, s15
	s_delay_alu instid0(SALU_CYCLE_1)
	s_and_not1_b32 exec_lo, exec_lo, s15
	s_cbranch_execz .LBB86_9
.LBB86_5:                               ; =>This Inner Loop Header: Depth=1
	v_lshlrev_b64 v[3:4], 3, v[1:2]
	s_or_b32 s19, s19, exec_lo
	s_mov_b32 s24, exec_lo
	s_delay_alu instid0(VALU_DEP_1) | instskip(NEXT) | instid1(VALU_DEP_2)
	v_add_co_u32 v3, vcc_lo, s26, v3
	v_add_co_ci_u32_e32 v4, vcc_lo, s27, v4, vcc_lo
	global_load_b64 v[3:4], v[3:4], off
	s_waitcnt vmcnt(0)
	v_lshlrev_b32_e32 v5, 16, v3
	v_and_b32_e32 v11, 0xffff0000, v3
	v_alignbit_b32 v3, v4, v3, 16
	v_and_b32_e32 v4, 0xffff0000, v4
	s_delay_alu instid0(VALU_DEP_2) | instskip(NEXT) | instid1(VALU_DEP_1)
	v_dual_fmac_f32 v6, v5, v5 :: v_dual_and_b32 v3, 0xffff0000, v3
	v_fmac_f32_e32 v6, v11, v11
	s_delay_alu instid0(VALU_DEP_1) | instskip(NEXT) | instid1(VALU_DEP_1)
	v_fmac_f32_e32 v6, v3, v3
	v_dual_fmac_f32 v6, v4, v4 :: v_dual_add_nc_u32 v3, v1, v7
	s_delay_alu instid0(VALU_DEP_1)
	v_cmpx_gt_u32_e64 s14, v3
	s_cbranch_execz .LBB86_4
; %bb.6:                                ;   in Loop: Header=BB86_5 Depth=1
	v_mov_b32_e32 v4, v2
	s_mov_b32 s28, -1
	s_mov_b32 s25, exec_lo
	s_delay_alu instid0(VALU_DEP_1) | instskip(NEXT) | instid1(VALU_DEP_1)
	v_lshlrev_b64 v[4:5], 3, v[3:4]
	v_add_co_u32 v4, vcc_lo, s26, v4
	s_delay_alu instid0(VALU_DEP_2)
	v_add_co_ci_u32_e32 v5, vcc_lo, s27, v5, vcc_lo
	global_load_b64 v[4:5], v[4:5], off
	s_waitcnt vmcnt(0)
	v_lshlrev_b32_e32 v11, 16, v4
	v_and_b32_e32 v12, 0xffff0000, v4
	v_alignbit_b32 v4, v5, v4, 16
	s_delay_alu instid0(VALU_DEP_3) | instskip(NEXT) | instid1(VALU_DEP_2)
	v_dual_fmac_f32 v6, v11, v11 :: v_dual_and_b32 v5, 0xffff0000, v5
	v_and_b32_e32 v4, 0xffff0000, v4
	s_delay_alu instid0(VALU_DEP_2) | instskip(NEXT) | instid1(VALU_DEP_1)
	v_fmac_f32_e32 v6, v12, v12
	v_fmac_f32_e32 v6, v4, v4
	v_add_nc_u32_e32 v4, v9, v1
	s_delay_alu instid0(VALU_DEP_2) | instskip(NEXT) | instid1(VALU_DEP_2)
	v_fmac_f32_e32 v6, v5, v5
	v_cmpx_gt_u32_e64 s14, v4
	s_cbranch_execz .LBB86_3
; %bb.7:                                ;   in Loop: Header=BB86_5 Depth=1
	v_mov_b32_e32 v5, v2
	v_add_nc_u32_e32 v1, v8, v1
	s_mov_b32 s30, -1
	s_mov_b32 s28, exec_lo
	s_delay_alu instid0(VALU_DEP_2) | instskip(NEXT) | instid1(VALU_DEP_1)
	v_lshlrev_b64 v[4:5], 3, v[4:5]
	v_add_co_u32 v4, vcc_lo, s26, v4
	s_delay_alu instid0(VALU_DEP_2)
	v_add_co_ci_u32_e32 v5, vcc_lo, s27, v5, vcc_lo
	global_load_b64 v[4:5], v[4:5], off
	s_waitcnt vmcnt(0)
	v_and_b32_e32 v12, 0xffff0000, v4
	v_lshlrev_b32_e32 v11, 16, v4
	v_alignbit_b32 v4, v5, v4, 16
	s_delay_alu instid0(VALU_DEP_2) | instskip(NEXT) | instid1(VALU_DEP_2)
	v_dual_fmac_f32 v6, v11, v11 :: v_dual_and_b32 v5, 0xffff0000, v5
	v_and_b32_e32 v4, 0xffff0000, v4
	s_delay_alu instid0(VALU_DEP_2) | instskip(NEXT) | instid1(VALU_DEP_1)
	v_fmac_f32_e32 v6, v12, v12
	v_fmac_f32_e32 v6, v4, v4
	s_delay_alu instid0(VALU_DEP_1)
	v_fmac_f32_e32 v6, v5, v5
	v_cmpx_gt_u32_e64 s14, v1
	s_xor_b32 s28, exec_lo, s28
	s_cbranch_execz .LBB86_2
; %bb.8:                                ;   in Loop: Header=BB86_5 Depth=1
	v_lshlrev_b64 v[4:5], 3, v[1:2]
	s_delay_alu instid0(VALU_DEP_1) | instskip(NEXT) | instid1(VALU_DEP_2)
	v_add_co_u32 v4, vcc_lo, s26, v4
	v_add_co_ci_u32_e32 v5, vcc_lo, s27, v5, vcc_lo
	global_load_b64 v[4:5], v[4:5], off
	s_waitcnt vmcnt(0)
	v_and_b32_e32 v11, 0xffff0000, v4
	v_lshlrev_b32_e32 v1, 16, v4
	v_alignbit_b32 v4, v5, v4, 16
	s_delay_alu instid0(VALU_DEP_2) | instskip(NEXT) | instid1(VALU_DEP_2)
	v_fmac_f32_e32 v6, v1, v1
	v_and_b32_e32 v4, 0xffff0000, v4
	v_add3_u32 v1, v10, v7, v3
	s_delay_alu instid0(VALU_DEP_3) | instskip(NEXT) | instid1(VALU_DEP_2)
	v_dual_fmac_f32 v6, v11, v11 :: v_dual_and_b32 v3, 0xffff0000, v5
	v_cmp_le_u32_e32 vcc_lo, s14, v1
	s_delay_alu instid0(VALU_DEP_2) | instskip(SKIP_1) | instid1(VALU_DEP_1)
	v_fmac_f32_e32 v6, v4, v4
	s_or_not1_b32 s30, vcc_lo, exec_lo
	v_fmac_f32_e32 v6, v3, v3
	s_branch .LBB86_2
.LBB86_9:
	s_or_b32 exec_lo, exec_lo, s15
.LBB86_10:
	s_delay_alu instid0(SALU_CYCLE_1) | instskip(SKIP_4) | instid1(VALU_DEP_2)
	s_or_b32 exec_lo, exec_lo, s3
	v_mbcnt_lo_u32_b32 v1, -1, 0
	s_load_b32 s3, s[20:21], 0xc
	v_and_b32_e32 v7, 0x3e0, v0
	s_mov_b32 s15, exec_lo
	v_cmp_ne_u32_e32 vcc_lo, 31, v1
	v_add_nc_u32_e32 v3, 1, v1
	v_add_co_ci_u32_e32 v2, vcc_lo, 0, v1, vcc_lo
	v_cmp_gt_u32_e32 vcc_lo, 30, v1
	s_delay_alu instid0(VALU_DEP_2)
	v_lshlrev_b32_e32 v2, 2, v2
	v_cndmask_b32_e64 v5, 0, 1, vcc_lo
	ds_bpermute_b32 v4, v2, v6
	s_waitcnt lgkmcnt(0)
	s_and_b32 s3, s3, 0xffff
	v_lshlrev_b32_e32 v5, 1, v5
	v_sub_nc_u32_e64 v12, s3, v7 clamp
	s_delay_alu instid0(VALU_DEP_1) | instskip(SKIP_1) | instid1(VALU_DEP_4)
	v_cmp_lt_u32_e32 vcc_lo, v3, v12
	v_add_f32_e32 v7, v6, v4
	v_add_lshl_u32 v4, v5, v1, 2
	s_delay_alu instid0(VALU_DEP_2) | instskip(SKIP_2) | instid1(VALU_DEP_1)
	v_cndmask_b32_e32 v7, v6, v7, vcc_lo
	v_cmp_gt_u32_e32 vcc_lo, 28, v1
	v_cndmask_b32_e64 v5, 0, 1, vcc_lo
	v_lshlrev_b32_e32 v8, 2, v5
	ds_bpermute_b32 v6, v4, v7
	v_add_nc_u32_e32 v5, 2, v1
	s_delay_alu instid0(VALU_DEP_1) | instskip(SKIP_3) | instid1(VALU_DEP_2)
	v_cmp_lt_u32_e32 vcc_lo, v5, v12
	s_waitcnt lgkmcnt(0)
	v_add_f32_e32 v9, v7, v6
	v_add_lshl_u32 v6, v8, v1, 2
	v_cndmask_b32_e32 v9, v7, v9, vcc_lo
	v_cmp_gt_u32_e32 vcc_lo, 24, v1
	ds_bpermute_b32 v8, v6, v9
	v_cndmask_b32_e64 v7, 0, 1, vcc_lo
	s_delay_alu instid0(VALU_DEP_1) | instskip(SKIP_1) | instid1(VALU_DEP_1)
	v_lshlrev_b32_e32 v10, 3, v7
	v_add_nc_u32_e32 v7, 4, v1
	v_cmp_lt_u32_e32 vcc_lo, v7, v12
	s_waitcnt lgkmcnt(0)
	v_add_f32_e32 v11, v9, v8
	v_add_lshl_u32 v8, v10, v1, 2
	s_delay_alu instid0(VALU_DEP_2) | instskip(SKIP_3) | instid1(VALU_DEP_1)
	v_cndmask_b32_e32 v11, v9, v11, vcc_lo
	v_cmp_gt_u32_e32 vcc_lo, 16, v1
	ds_bpermute_b32 v10, v8, v11
	v_cndmask_b32_e64 v9, 0, 1, vcc_lo
	v_lshlrev_b32_e32 v13, 4, v9
	v_add_nc_u32_e32 v9, 8, v1
	s_delay_alu instid0(VALU_DEP_1) | instskip(SKIP_3) | instid1(VALU_DEP_2)
	v_cmp_lt_u32_e32 vcc_lo, v9, v12
	s_waitcnt lgkmcnt(0)
	v_add_f32_e32 v14, v11, v10
	v_add_lshl_u32 v10, v13, v1, 2
	v_cndmask_b32_e32 v13, v11, v14, vcc_lo
	v_add_nc_u32_e32 v11, 16, v1
	ds_bpermute_b32 v14, v10, v13
	v_cmp_lt_u32_e32 vcc_lo, v11, v12
	s_waitcnt lgkmcnt(0)
	v_add_f32_e32 v14, v13, v14
	s_delay_alu instid0(VALU_DEP_1)
	v_cndmask_b32_e32 v12, v13, v14, vcc_lo
	v_cmpx_eq_u32_e32 0, v1
	s_cbranch_execz .LBB86_12
; %bb.11:
	v_lshrrev_b32_e32 v13, 3, v0
	s_delay_alu instid0(VALU_DEP_1)
	v_and_b32_e32 v13, 0x7c, v13
	ds_store_b32 v13, v12 offset:4096
.LBB86_12:
	s_or_b32 exec_lo, exec_lo, s15
	s_delay_alu instid0(SALU_CYCLE_1)
	s_mov_b32 s15, exec_lo
	s_waitcnt lgkmcnt(0)
	s_barrier
	buffer_gl0_inv
	v_cmpx_gt_u32_e32 32, v0
	s_cbranch_execz .LBB86_14
; %bb.13:
	v_lshlrev_b32_e32 v1, 2, v1
	s_add_i32 s3, s3, 31
	s_delay_alu instid0(SALU_CYCLE_1) | instskip(NEXT) | instid1(SALU_CYCLE_1)
	s_lshr_b32 s3, s3, 5
	v_cmp_gt_u32_e32 vcc_lo, s3, v3
	ds_load_b32 v1, v1 offset:4096
	s_waitcnt lgkmcnt(0)
	ds_bpermute_b32 v2, v2, v1
	s_waitcnt lgkmcnt(0)
	v_add_f32_e32 v2, v1, v2
	s_delay_alu instid0(VALU_DEP_1) | instskip(SKIP_4) | instid1(VALU_DEP_1)
	v_cndmask_b32_e32 v1, v1, v2, vcc_lo
	v_cmp_gt_u32_e32 vcc_lo, s3, v5
	ds_bpermute_b32 v2, v4, v1
	s_waitcnt lgkmcnt(0)
	v_add_f32_e32 v2, v1, v2
	v_cndmask_b32_e32 v1, v1, v2, vcc_lo
	v_cmp_gt_u32_e32 vcc_lo, s3, v7
	ds_bpermute_b32 v2, v6, v1
	s_waitcnt lgkmcnt(0)
	v_add_f32_e32 v2, v1, v2
	s_delay_alu instid0(VALU_DEP_1) | instskip(SKIP_4) | instid1(VALU_DEP_1)
	v_cndmask_b32_e32 v1, v1, v2, vcc_lo
	v_cmp_gt_u32_e32 vcc_lo, s3, v9
	ds_bpermute_b32 v2, v8, v1
	s_waitcnt lgkmcnt(0)
	v_add_f32_e32 v2, v1, v2
	v_cndmask_b32_e32 v1, v1, v2, vcc_lo
	v_cmp_gt_u32_e32 vcc_lo, s3, v11
	ds_bpermute_b32 v2, v10, v1
	s_waitcnt lgkmcnt(0)
	v_add_f32_e32 v2, v1, v2
	s_delay_alu instid0(VALU_DEP_1)
	v_cndmask_b32_e32 v12, v1, v2, vcc_lo
.LBB86_14:
	s_or_b32 exec_lo, exec_lo, s15
	s_delay_alu instid0(SALU_CYCLE_1)
	s_mov_b32 s3, exec_lo
	v_cmpx_eq_u32_e32 0, v0
	s_cbranch_execz .LBB86_16
; %bb.15:
	v_cvt_f32_i32_e32 v1, s13
	s_delay_alu instid0(VALU_DEP_1) | instskip(SKIP_1) | instid1(VALU_DEP_2)
	v_div_scale_f32 v2, null, v1, v1, v12
	v_div_scale_f32 v5, vcc_lo, v12, v1, v12
	v_rcp_f32_e32 v3, v2
	s_waitcnt_depctr 0xfff
	v_fma_f32 v4, -v2, v3, 1.0
	s_delay_alu instid0(VALU_DEP_1) | instskip(NEXT) | instid1(VALU_DEP_1)
	v_fmac_f32_e32 v3, v4, v3
	v_mul_f32_e32 v4, v5, v3
	s_delay_alu instid0(VALU_DEP_1) | instskip(NEXT) | instid1(VALU_DEP_1)
	v_fma_f32 v6, -v2, v4, v5
	v_fmac_f32_e32 v4, v6, v3
	s_delay_alu instid0(VALU_DEP_1) | instskip(NEXT) | instid1(VALU_DEP_1)
	v_fma_f32 v2, -v2, v4, v5
	v_div_fmas_f32 v2, v2, v3, v4
	s_delay_alu instid0(VALU_DEP_1) | instskip(NEXT) | instid1(VALU_DEP_1)
	v_div_fixup_f32 v1, v2, v1, v12
	v_add_f32_e32 v1, s12, v1
	s_delay_alu instid0(VALU_DEP_1) | instskip(SKIP_1) | instid1(VALU_DEP_2)
	v_mul_f32_e32 v2, 0x4b800000, v1
	v_cmp_gt_f32_e32 vcc_lo, 0x800000, v1
	v_cndmask_b32_e32 v1, v1, v2, vcc_lo
	s_delay_alu instid0(VALU_DEP_1) | instskip(SKIP_2) | instid1(VALU_DEP_1)
	v_rsq_f32_e32 v1, v1
	s_waitcnt_depctr 0xfff
	v_mul_f32_e32 v2, 0x45800000, v1
	v_dual_cndmask_b32 v1, v1, v2 :: v_dual_mov_b32 v2, 0
	ds_store_b32 v2, v1 offset:4224
.LBB86_16:
	s_or_b32 exec_lo, exec_lo, s3
	s_ashr_i32 s19, s13, 31
	v_mov_b32_e32 v4, 0
	s_lshr_b32 s3, s19, 26
	s_waitcnt lgkmcnt(0)
	s_add_i32 s3, s13, s3
	s_barrier
	s_ashr_i32 s12, s3, 6
	s_cmp_lt_u32 s16, s29
	buffer_gl0_inv
	s_cselect_b32 s13, 12, 18
	ds_load_b32 v28, v4 offset:4224
	s_add_u32 s20, s20, s13
	s_addc_u32 s21, s21, 0
	s_abs_i32 s13, s12
	global_load_u16 v1, v4, s[20:21]
	v_cvt_f32_u32_e32 v2, s13
	s_sub_i32 s20, 0, s13
	s_ashr_i32 s3, s3, 31
	s_delay_alu instid0(VALU_DEP_1) | instskip(SKIP_2) | instid1(VALU_DEP_1)
	v_rcp_iflag_f32_e32 v2, v2
	s_waitcnt_depctr 0xfff
	v_mul_f32_e32 v2, 0x4f7ffffe, v2
	v_cvt_u32_f32_e32 v2, v2
	s_delay_alu instid0(VALU_DEP_1) | instskip(NEXT) | instid1(VALU_DEP_1)
	v_readfirstlane_b32 s15, v2
	s_mul_i32 s20, s20, s15
	s_delay_alu instid0(SALU_CYCLE_1) | instskip(NEXT) | instid1(SALU_CYCLE_1)
	s_mul_hi_u32 s20, s15, s20
	s_add_i32 s15, s15, s20
	s_waitcnt vmcnt(0)
	v_readfirstlane_b32 s28, v1
	s_delay_alu instid0(VALU_DEP_1) | instskip(NEXT) | instid1(SALU_CYCLE_1)
	s_mul_hi_u32 s15, s28, s15
	s_mul_i32 s20, s15, s13
	s_add_i32 s21, s15, 1
	s_sub_i32 s20, s28, s20
	s_delay_alu instid0(SALU_CYCLE_1)
	s_sub_i32 s24, s20, s13
	s_cmp_ge_u32 s20, s13
	s_cselect_b32 s15, s21, s15
	s_cselect_b32 s20, s24, s20
	s_add_i32 s21, s15, 1
	s_cmp_ge_u32 s20, s13
	s_cselect_b32 s13, s21, s15
	s_ashr_i32 s15, s14, 31
	s_xor_b32 s13, s13, s3
	s_delay_alu instid0(SALU_CYCLE_1) | instskip(NEXT) | instid1(SALU_CYCLE_1)
	s_sub_i32 s20, s13, s3
	s_abs_i32 s3, s20
	s_ashr_i32 s21, s20, 31
	v_cvt_f32_u32_e32 v1, s3
	s_sub_i32 s13, 0, s3
	s_delay_alu instid0(VALU_DEP_1) | instskip(SKIP_2) | instid1(VALU_DEP_1)
	v_rcp_iflag_f32_e32 v1, v1
	s_waitcnt_depctr 0xfff
	v_mul_f32_e32 v1, 0x4f7ffffe, v1
	v_cvt_u32_f32_e32 v1, v1
	s_delay_alu instid0(VALU_DEP_1) | instskip(SKIP_1) | instid1(VALU_DEP_1)
	v_mul_lo_u32 v2, s13, v1
	s_mov_b32 s13, exec_lo
	v_mul_hi_u32 v2, v1, v2
	s_delay_alu instid0(VALU_DEP_1) | instskip(NEXT) | instid1(VALU_DEP_1)
	v_add_nc_u32_e32 v1, v1, v2
	v_mul_hi_u32 v1, v0, v1
	s_delay_alu instid0(VALU_DEP_1) | instskip(SKIP_1) | instid1(VALU_DEP_2)
	v_mul_lo_u32 v2, v1, s3
	v_add_nc_u32_e32 v3, 1, v1
	v_sub_nc_u32_e32 v2, v0, v2
	s_delay_alu instid0(VALU_DEP_1) | instskip(SKIP_1) | instid1(VALU_DEP_2)
	v_subrev_nc_u32_e32 v5, s3, v2
	v_cmp_le_u32_e32 vcc_lo, s3, v2
	v_dual_cndmask_b32 v2, v2, v5 :: v_dual_cndmask_b32 v1, v1, v3
	s_delay_alu instid0(VALU_DEP_1) | instskip(NEXT) | instid1(VALU_DEP_2)
	v_cmp_le_u32_e32 vcc_lo, s3, v2
	v_add_nc_u32_e32 v3, 1, v1
	s_delay_alu instid0(VALU_DEP_1) | instskip(NEXT) | instid1(VALU_DEP_1)
	v_cndmask_b32_e32 v1, v1, v3, vcc_lo
	v_xor_b32_e32 v1, s21, v1
	s_delay_alu instid0(VALU_DEP_1) | instskip(NEXT) | instid1(VALU_DEP_1)
	v_subrev_nc_u32_e32 v1, s21, v1
	v_ashrrev_i32_e32 v2, 31, v1
	v_mul_lo_u32 v3, v1, s20
	s_delay_alu instid0(VALU_DEP_2) | instskip(NEXT) | instid1(VALU_DEP_2)
	v_lshlrev_b64 v[7:8], 4, v[1:2]
	v_sub_nc_u32_e32 v3, v0, v3
	s_delay_alu instid0(VALU_DEP_2) | instskip(NEXT) | instid1(VALU_DEP_3)
	v_add_co_u32 v5, vcc_lo, v7, 16
	v_add_co_ci_u32_e32 v6, vcc_lo, 0, v8, vcc_lo
	s_delay_alu instid0(VALU_DEP_1) | instskip(SKIP_4) | instid1(VALU_DEP_3)
	v_cmp_gt_i64_e32 vcc_lo, s[14:15], v[5:6]
	v_cndmask_b32_e32 v6, s15, v6, vcc_lo
	v_cndmask_b32_e32 v5, s14, v5, vcc_lo
	v_add_co_u32 v7, vcc_lo, v7, v3
	v_add_co_ci_u32_e32 v8, vcc_lo, 0, v8, vcc_lo
	v_ashrrev_i32_e32 v10, 31, v5
	v_mov_b32_e32 v9, v5
	s_delay_alu instid0(VALU_DEP_1)
	v_cmpx_lt_i64_e64 v[7:8], v[9:10]
	s_cbranch_execz .LBB86_26
; %bb.17:
	v_lshlrev_b64 v[13:14], 7, v[1:2]
	v_lshlrev_b64 v[11:12], 3, v[3:4]
	s_mul_i32 s3, s20, 24
	s_mul_hi_i32 s15, s20, 24
	s_add_u32 s24, s8, s3
	s_delay_alu instid0(VALU_DEP_2) | instskip(SKIP_2) | instid1(VALU_DEP_2)
	v_add_co_u32 v4, vcc_lo, s22, v13
	v_add_co_ci_u32_e32 v15, vcc_lo, s23, v14, vcc_lo
	s_addc_u32 s22, s9, s15
	v_add_co_u32 v17, vcc_lo, s24, v4
	s_lshl_b64 s[24:25], s[20:21], 4
	s_delay_alu instid0(VALU_DEP_2)
	v_add_co_ci_u32_e32 v18, vcc_lo, s22, v15, vcc_lo
	s_lshl_b64 s[22:23], s[20:21], 5
	s_add_u32 s33, s8, s24
	s_addc_u32 s34, s9, s25
	s_lshl_b64 s[30:31], s[20:21], 3
	v_add_co_u32 v19, vcc_lo, s33, v4
	s_add_u32 s33, s8, s30
	v_add_co_ci_u32_e32 v20, vcc_lo, s34, v15, vcc_lo
	s_addc_u32 s34, s9, s31
	v_add_co_u32 v21, vcc_lo, s33, v4
	v_add_co_ci_u32_e32 v22, vcc_lo, s34, v15, vcc_lo
	v_add_co_u32 v23, vcc_lo, s8, v4
	s_add_u32 s3, s10, s3
	v_add_co_ci_u32_e32 v24, vcc_lo, s9, v15, vcc_lo
	s_addc_u32 s8, s11, s15
	v_add_co_u32 v25, vcc_lo, s3, v13
	s_add_u32 s3, s10, s24
	v_add_co_ci_u32_e32 v26, vcc_lo, s8, v14, vcc_lo
	s_addc_u32 s8, s11, s25
	;; [unrolled: 4-line block ×3, first 2 shown]
	v_add_co_u32 v30, vcc_lo, s3, v13
	v_add_co_ci_u32_e32 v31, vcc_lo, s8, v14, vcc_lo
	v_add_co_u32 v32, vcc_lo, s10, v13
	v_add_co_ci_u32_e32 v33, vcc_lo, s11, v14, vcc_lo
	v_mov_b32_e32 v14, v8
	v_dual_mov_b32 v4, 0 :: v_dual_mov_b32 v13, v7
	s_mul_hi_i32 s15, s20, 3
	s_mul_i32 s24, s20, 3
	s_lshl_b64 s[8:9], s[20:21], 1
	s_mov_b32 s25, 0
                                        ; implicit-def: $sgpr30
	s_branch .LBB86_21
.LBB86_18:                              ;   in Loop: Header=BB86_21 Depth=1
	s_or_b32 exec_lo, exec_lo, s34
	s_delay_alu instid0(SALU_CYCLE_1)
	s_or_not1_b32 s3, s3, exec_lo
.LBB86_19:                              ;   in Loop: Header=BB86_21 Depth=1
	s_or_b32 exec_lo, exec_lo, s33
	s_delay_alu instid0(SALU_CYCLE_1) | instskip(SKIP_1) | instid1(SALU_CYCLE_1)
	s_and_not1_b32 s30, s30, exec_lo
	s_and_b32 s3, s3, exec_lo
	s_or_b32 s30, s30, s3
.LBB86_20:                              ;   in Loop: Header=BB86_21 Depth=1
	s_or_b32 exec_lo, exec_lo, s31
	s_delay_alu instid0(SALU_CYCLE_1) | instskip(NEXT) | instid1(SALU_CYCLE_1)
	s_and_b32 s3, exec_lo, s30
	s_or_b32 s25, s3, s25
	s_delay_alu instid0(SALU_CYCLE_1)
	s_and_not1_b32 exec_lo, exec_lo, s25
	s_cbranch_execz .LBB86_25
.LBB86_21:                              ; =>This Inner Loop Header: Depth=1
	v_add_co_u32 v15, vcc_lo, v23, v11
	v_add_co_ci_u32_e32 v16, vcc_lo, v24, v12, vcc_lo
	v_add_co_u32 v34, vcc_lo, v32, v11
	v_add_co_ci_u32_e32 v35, vcc_lo, v33, v12, vcc_lo
	s_or_b32 s30, s30, exec_lo
	global_load_b64 v[15:16], v[15:16], off
	global_load_b64 v[34:35], v[34:35], off
	s_mov_b32 s31, exec_lo
	s_waitcnt vmcnt(1)
	v_lshlrev_b32_e32 v37, 16, v15
	v_and_b32_e32 v36, 0xffff0000, v15
	v_alignbit_b32 v15, v16, v15, 16
	s_waitcnt vmcnt(0)
	v_lshlrev_b32_e32 v39, 16, v34
	s_waitcnt lgkmcnt(0)
	v_mul_f32_e32 v37, v28, v37
	v_mul_f32_e32 v36, v28, v36
	s_delay_alu instid0(VALU_DEP_2) | instskip(NEXT) | instid1(VALU_DEP_2)
	v_bfe_u32 v40, v37, 16, 1
	v_bfe_u32 v41, v36, 16, 1
	v_cmp_o_f32_e32 vcc_lo, v37, v37
	s_delay_alu instid0(VALU_DEP_3) | instskip(NEXT) | instid1(VALU_DEP_3)
	v_add3_u32 v40, v37, v40, 0x7fff
	v_add3_u32 v41, v36, v41, 0x7fff
	s_delay_alu instid0(VALU_DEP_2) | instskip(NEXT) | instid1(VALU_DEP_2)
	v_and_b32_e32 v40, 0xffff0000, v40
	v_and_b32_e32 v41, 0xffff0000, v41
	s_delay_alu instid0(VALU_DEP_2) | instskip(SKIP_2) | instid1(VALU_DEP_2)
	v_cndmask_b32_e32 v37, 0x7fc00000, v40, vcc_lo
	v_and_b32_e32 v16, 0xffff0000, v16
	v_cmp_o_f32_e32 vcc_lo, v36, v36
	v_dual_mul_f32 v37, v37, v39 :: v_dual_mul_f32 v16, v28, v16
	v_cndmask_b32_e32 v36, 0x7fc00000, v41, vcc_lo
	v_and_b32_e32 v15, 0xffff0000, v15
	v_and_b32_e32 v38, 0xffff0000, v34
	v_alignbit_b32 v34, v35, v34, 16
	v_bfe_u32 v42, v16, 16, 1
	v_cmp_o_f32_e32 vcc_lo, v16, v16
	v_mul_f32_e32 v15, v28, v15
	v_mul_f32_e32 v36, v36, v38
	v_bfe_u32 v38, v37, 16, 1
	v_add3_u32 v42, v16, v42, 0x7fff
	s_delay_alu instid0(VALU_DEP_4) | instskip(NEXT) | instid1(VALU_DEP_2)
	v_bfe_u32 v43, v15, 16, 1
	v_and_b32_e32 v42, 0xffff0000, v42
	s_delay_alu instid0(VALU_DEP_2) | instskip(NEXT) | instid1(VALU_DEP_2)
	v_add3_u32 v43, v15, v43, 0x7fff
	v_cndmask_b32_e32 v16, 0x7fc00000, v42, vcc_lo
	v_cmp_o_f32_e32 vcc_lo, v15, v15
	s_delay_alu instid0(VALU_DEP_3) | instskip(SKIP_1) | instid1(VALU_DEP_2)
	v_and_b32_e32 v40, 0xffff0000, v43
	v_and_b32_e32 v34, 0xffff0000, v34
	v_cndmask_b32_e32 v15, 0x7fc00000, v40, vcc_lo
	v_and_b32_e32 v35, 0xffff0000, v35
	v_cmp_o_f32_e32 vcc_lo, v37, v37
	s_delay_alu instid0(VALU_DEP_2) | instskip(SKIP_2) | instid1(VALU_DEP_3)
	v_dual_mul_f32 v34, v15, v34 :: v_dual_mul_f32 v35, v16, v35
	v_bfe_u32 v16, v36, 16, 1
	v_add3_u32 v15, v37, v38, 0x7fff
	v_bfe_u32 v39, v34, 16, 1
	s_delay_alu instid0(VALU_DEP_4) | instskip(NEXT) | instid1(VALU_DEP_4)
	v_bfe_u32 v38, v35, 16, 1
	v_add3_u32 v16, v36, v16, 0x7fff
	s_delay_alu instid0(VALU_DEP_4) | instskip(NEXT) | instid1(VALU_DEP_4)
	v_and_b32_e32 v15, 0xffff0000, v15
	v_add3_u32 v39, v34, v39, 0x7fff
	s_delay_alu instid0(VALU_DEP_4) | instskip(NEXT) | instid1(VALU_DEP_4)
	v_add3_u32 v38, v35, v38, 0x7fff
	v_and_b32_e32 v16, 0xffff0000, v16
	s_delay_alu instid0(VALU_DEP_4)
	v_cndmask_b32_e64 v37, 0x7fc00000, |v15|, vcc_lo
	v_cmp_o_f32_e32 vcc_lo, v36, v36
	v_and_b32_e32 v39, 0xffff0000, v39
	v_and_b32_e32 v38, 0xffff0000, v38
	v_cndmask_b32_e64 v36, 0x7fc00000, |v16|, vcc_lo
	v_add_co_u32 v15, vcc_lo, v13, s20
	v_add_co_ci_u32_e32 v16, vcc_lo, s21, v14, vcc_lo
	v_cmp_o_f32_e32 vcc_lo, v34, v34
	s_delay_alu instid0(VALU_DEP_4) | instskip(SKIP_3) | instid1(VALU_DEP_1)
	v_max3_f32 v4, v4, v37, v36
	v_cndmask_b32_e64 v34, 0x7fc00000, |v39|, vcc_lo
	v_cmp_o_f32_e32 vcc_lo, v35, v35
	v_cndmask_b32_e64 v35, 0x7fc00000, |v38|, vcc_lo
	v_max3_f32 v4, v4, v34, v35
	v_cmpx_lt_i64_e64 v[15:16], v[9:10]
	s_cbranch_execz .LBB86_20
; %bb.22:                               ;   in Loop: Header=BB86_21 Depth=1
	v_add_co_u32 v34, vcc_lo, v21, v11
	v_add_co_ci_u32_e32 v35, vcc_lo, v22, v12, vcc_lo
	v_add_co_u32 v36, vcc_lo, v30, v11
	v_add_co_ci_u32_e32 v37, vcc_lo, v31, v12, vcc_lo
	s_mov_b32 s3, -1
	global_load_b64 v[34:35], v[34:35], off
	global_load_b64 v[36:37], v[36:37], off
	s_mov_b32 s33, exec_lo
	s_waitcnt vmcnt(1)
	v_lshlrev_b32_e32 v39, 16, v34
	v_and_b32_e32 v38, 0xffff0000, v34
	v_alignbit_b32 v34, v35, v34, 16
	s_delay_alu instid0(VALU_DEP_3) | instskip(NEXT) | instid1(VALU_DEP_3)
	v_mul_f32_e32 v39, v28, v39
	v_dual_mul_f32 v38, v28, v38 :: v_dual_and_b32 v35, 0xffff0000, v35
	s_waitcnt vmcnt(0)
	v_and_b32_e32 v40, 0xffff0000, v36
	s_delay_alu instid0(VALU_DEP_3) | instskip(NEXT) | instid1(VALU_DEP_3)
	v_bfe_u32 v42, v39, 16, 1
	v_mul_f32_e32 v35, v28, v35
	v_cmp_o_f32_e32 vcc_lo, v39, v39
	v_bfe_u32 v43, v38, 16, 1
	s_delay_alu instid0(VALU_DEP_4) | instskip(NEXT) | instid1(VALU_DEP_4)
	v_add3_u32 v42, v39, v42, 0x7fff
	v_bfe_u32 v44, v35, 16, 1
	s_delay_alu instid0(VALU_DEP_3) | instskip(NEXT) | instid1(VALU_DEP_3)
	v_add3_u32 v43, v38, v43, 0x7fff
	v_and_b32_e32 v42, 0xffff0000, v42
	s_delay_alu instid0(VALU_DEP_3) | instskip(NEXT) | instid1(VALU_DEP_3)
	v_add3_u32 v44, v35, v44, 0x7fff
	v_and_b32_e32 v43, 0xffff0000, v43
	s_delay_alu instid0(VALU_DEP_3)
	v_cndmask_b32_e32 v39, 0x7fc00000, v42, vcc_lo
	v_and_b32_e32 v34, 0xffff0000, v34
	v_lshlrev_b32_e32 v41, 16, v36
	v_cmp_o_f32_e32 vcc_lo, v38, v38
	v_and_b32_e32 v44, 0xffff0000, v44
	v_alignbit_b32 v36, v37, v36, 16
	s_delay_alu instid0(VALU_DEP_4) | instskip(SKIP_3) | instid1(VALU_DEP_4)
	v_dual_mul_f32 v34, v28, v34 :: v_dual_mul_f32 v39, v39, v41
	v_cndmask_b32_e32 v38, 0x7fc00000, v43, vcc_lo
	v_cmp_o_f32_e32 vcc_lo, v35, v35
	v_and_b32_e32 v37, 0xffff0000, v37
	v_bfe_u32 v45, v34, 16, 1
	s_delay_alu instid0(VALU_DEP_4) | instskip(SKIP_2) | instid1(VALU_DEP_4)
	v_mul_f32_e32 v38, v38, v40
	v_cndmask_b32_e32 v35, 0x7fc00000, v44, vcc_lo
	v_cmp_o_f32_e32 vcc_lo, v34, v34
	v_add3_u32 v45, v34, v45, 0x7fff
	v_and_b32_e32 v36, 0xffff0000, v36
	v_bfe_u32 v40, v39, 16, 1
	v_mul_f32_e32 v37, v35, v37
	v_bfe_u32 v35, v38, 16, 1
	v_and_b32_e32 v42, 0xffff0000, v45
	s_delay_alu instid0(VALU_DEP_2) | instskip(NEXT) | instid1(VALU_DEP_2)
	v_add3_u32 v35, v38, v35, 0x7fff
	v_cndmask_b32_e32 v34, 0x7fc00000, v42, vcc_lo
	v_cmp_o_f32_e32 vcc_lo, v39, v39
	s_delay_alu instid0(VALU_DEP_2) | instskip(SKIP_2) | instid1(VALU_DEP_3)
	v_dual_mul_f32 v36, v34, v36 :: v_dual_and_b32 v35, 0xffff0000, v35
	v_add3_u32 v34, v39, v40, 0x7fff
	v_bfe_u32 v40, v37, 16, 1
	v_bfe_u32 v41, v36, 16, 1
	s_delay_alu instid0(VALU_DEP_3) | instskip(NEXT) | instid1(VALU_DEP_3)
	v_and_b32_e32 v34, 0xffff0000, v34
	v_add3_u32 v40, v37, v40, 0x7fff
	s_delay_alu instid0(VALU_DEP_3) | instskip(NEXT) | instid1(VALU_DEP_3)
	v_add3_u32 v41, v36, v41, 0x7fff
	v_cndmask_b32_e64 v39, 0x7fc00000, |v34|, vcc_lo
	v_cmp_o_f32_e32 vcc_lo, v38, v38
	s_delay_alu instid0(VALU_DEP_4) | instskip(NEXT) | instid1(VALU_DEP_4)
	v_and_b32_e32 v40, 0xffff0000, v40
	v_and_b32_e32 v41, 0xffff0000, v41
	v_cndmask_b32_e64 v38, 0x7fc00000, |v35|, vcc_lo
	v_add_co_u32 v34, vcc_lo, s8, v13
	v_add_co_ci_u32_e32 v35, vcc_lo, s9, v14, vcc_lo
	v_cmp_o_f32_e32 vcc_lo, v36, v36
	s_delay_alu instid0(VALU_DEP_4) | instskip(SKIP_3) | instid1(VALU_DEP_1)
	v_max3_f32 v4, v4, v39, v38
	v_cndmask_b32_e64 v36, 0x7fc00000, |v41|, vcc_lo
	v_cmp_o_f32_e32 vcc_lo, v37, v37
	v_cndmask_b32_e64 v37, 0x7fc00000, |v40|, vcc_lo
	v_max3_f32 v4, v4, v36, v37
	v_cmpx_lt_i64_e64 v[34:35], v[9:10]
	s_cbranch_execz .LBB86_19
; %bb.23:                               ;   in Loop: Header=BB86_21 Depth=1
	v_add_co_u32 v34, vcc_lo, v19, v11
	v_add_co_ci_u32_e32 v35, vcc_lo, v20, v12, vcc_lo
	v_add_co_u32 v36, vcc_lo, v27, v11
	v_add_co_ci_u32_e32 v37, vcc_lo, v29, v12, vcc_lo
	global_load_b64 v[34:35], v[34:35], off
	global_load_b64 v[36:37], v[36:37], off
	s_waitcnt vmcnt(1)
	v_lshlrev_b32_e32 v39, 16, v34
	v_and_b32_e32 v38, 0xffff0000, v34
	v_alignbit_b32 v34, v35, v34, 16
	s_delay_alu instid0(VALU_DEP_3) | instskip(NEXT) | instid1(VALU_DEP_3)
	v_mul_f32_e32 v39, v28, v39
	v_dual_mul_f32 v38, v28, v38 :: v_dual_and_b32 v35, 0xffff0000, v35
	s_waitcnt vmcnt(0)
	v_and_b32_e32 v40, 0xffff0000, v36
	s_delay_alu instid0(VALU_DEP_3) | instskip(NEXT) | instid1(VALU_DEP_3)
	v_bfe_u32 v42, v39, 16, 1
	v_mul_f32_e32 v35, v28, v35
	v_cmp_o_f32_e32 vcc_lo, v39, v39
	v_bfe_u32 v43, v38, 16, 1
	s_delay_alu instid0(VALU_DEP_4) | instskip(NEXT) | instid1(VALU_DEP_4)
	v_add3_u32 v42, v39, v42, 0x7fff
	v_bfe_u32 v44, v35, 16, 1
	s_delay_alu instid0(VALU_DEP_3) | instskip(NEXT) | instid1(VALU_DEP_3)
	v_add3_u32 v43, v38, v43, 0x7fff
	v_and_b32_e32 v42, 0xffff0000, v42
	s_delay_alu instid0(VALU_DEP_3) | instskip(NEXT) | instid1(VALU_DEP_3)
	v_add3_u32 v44, v35, v44, 0x7fff
	v_and_b32_e32 v43, 0xffff0000, v43
	s_delay_alu instid0(VALU_DEP_3)
	v_cndmask_b32_e32 v39, 0x7fc00000, v42, vcc_lo
	v_and_b32_e32 v34, 0xffff0000, v34
	v_lshlrev_b32_e32 v41, 16, v36
	v_cmp_o_f32_e32 vcc_lo, v38, v38
	v_and_b32_e32 v44, 0xffff0000, v44
	v_alignbit_b32 v36, v37, v36, 16
	s_delay_alu instid0(VALU_DEP_4) | instskip(SKIP_3) | instid1(VALU_DEP_4)
	v_dual_mul_f32 v34, v28, v34 :: v_dual_mul_f32 v39, v39, v41
	v_cndmask_b32_e32 v38, 0x7fc00000, v43, vcc_lo
	v_cmp_o_f32_e32 vcc_lo, v35, v35
	v_and_b32_e32 v37, 0xffff0000, v37
	v_bfe_u32 v45, v34, 16, 1
	s_delay_alu instid0(VALU_DEP_4) | instskip(SKIP_2) | instid1(VALU_DEP_4)
	v_mul_f32_e32 v38, v38, v40
	v_cndmask_b32_e32 v35, 0x7fc00000, v44, vcc_lo
	v_cmp_o_f32_e32 vcc_lo, v34, v34
	v_add3_u32 v45, v34, v45, 0x7fff
	v_and_b32_e32 v36, 0xffff0000, v36
	v_bfe_u32 v40, v39, 16, 1
	v_mul_f32_e32 v35, v35, v37
	v_bfe_u32 v37, v38, 16, 1
	v_and_b32_e32 v42, 0xffff0000, v45
	s_delay_alu instid0(VALU_DEP_2) | instskip(NEXT) | instid1(VALU_DEP_2)
	v_add3_u32 v37, v38, v37, 0x7fff
	v_cndmask_b32_e32 v34, 0x7fc00000, v42, vcc_lo
	v_cmp_o_f32_e32 vcc_lo, v39, v39
	s_delay_alu instid0(VALU_DEP_2) | instskip(SKIP_2) | instid1(VALU_DEP_3)
	v_dual_mul_f32 v34, v34, v36 :: v_dual_and_b32 v37, 0xffff0000, v37
	v_add3_u32 v36, v39, v40, 0x7fff
	v_bfe_u32 v40, v35, 16, 1
	v_bfe_u32 v41, v34, 16, 1
	s_delay_alu instid0(VALU_DEP_3) | instskip(NEXT) | instid1(VALU_DEP_3)
	v_and_b32_e32 v36, 0xffff0000, v36
	v_add3_u32 v40, v35, v40, 0x7fff
	s_delay_alu instid0(VALU_DEP_3) | instskip(NEXT) | instid1(VALU_DEP_3)
	v_add3_u32 v41, v34, v41, 0x7fff
	v_cndmask_b32_e64 v36, 0x7fc00000, |v36|, vcc_lo
	v_cmp_o_f32_e32 vcc_lo, v38, v38
	s_delay_alu instid0(VALU_DEP_4) | instskip(NEXT) | instid1(VALU_DEP_4)
	v_and_b32_e32 v39, 0xffff0000, v40
	v_and_b32_e32 v38, 0xffff0000, v41
	v_cndmask_b32_e64 v37, 0x7fc00000, |v37|, vcc_lo
	v_add_co_u32 v13, vcc_lo, s24, v13
	v_add_co_ci_u32_e32 v14, vcc_lo, s15, v14, vcc_lo
	v_cmp_o_f32_e32 vcc_lo, v34, v34
	s_delay_alu instid0(VALU_DEP_4) | instskip(SKIP_4) | instid1(VALU_DEP_2)
	v_max3_f32 v4, v4, v36, v37
	v_cndmask_b32_e64 v34, 0x7fc00000, |v38|, vcc_lo
	v_cmp_o_f32_e32 vcc_lo, v35, v35
	v_cndmask_b32_e64 v35, 0x7fc00000, |v39|, vcc_lo
	v_cmp_lt_i64_e32 vcc_lo, v[13:14], v[9:10]
                                        ; implicit-def: $vgpr13_vgpr14
	v_max3_f32 v4, v4, v34, v35
	s_and_saveexec_b32 s34, vcc_lo
	s_delay_alu instid0(SALU_CYCLE_1)
	s_xor_b32 s34, exec_lo, s34
	s_cbranch_execz .LBB86_18
; %bb.24:                               ;   in Loop: Header=BB86_21 Depth=1
	v_add_co_u32 v13, vcc_lo, v17, v11
	v_add_co_ci_u32_e32 v14, vcc_lo, v18, v12, vcc_lo
	v_add_co_u32 v34, vcc_lo, v25, v11
	v_add_co_ci_u32_e32 v35, vcc_lo, v26, v12, vcc_lo
	v_add_co_u32 v17, vcc_lo, v17, s22
	global_load_b64 v[13:14], v[13:14], off
	global_load_b64 v[34:35], v[34:35], off
	v_add_co_ci_u32_e32 v18, vcc_lo, s23, v18, vcc_lo
	v_add_co_u32 v19, vcc_lo, v19, s22
	v_add_co_ci_u32_e32 v20, vcc_lo, s23, v20, vcc_lo
	v_add_co_u32 v21, vcc_lo, v21, s22
	;; [unrolled: 2-line block ×5, first 2 shown]
	v_add_co_ci_u32_e32 v29, vcc_lo, s23, v29, vcc_lo
	s_add_u32 s3, s20, s20
	s_addc_u32 s35, s21, s21
	s_add_u32 s3, s3, s20
	s_addc_u32 s35, s35, s21
	s_waitcnt vmcnt(1)
	v_lshlrev_b32_e32 v37, 16, v13
	s_waitcnt vmcnt(0)
	v_and_b32_e32 v38, 0xffff0000, v34
	v_lshlrev_b32_e32 v39, 16, v34
	v_alignbit_b32 v34, v35, v34, 16
	v_mul_f32_e32 v37, v28, v37
	s_delay_alu instid0(VALU_DEP_1) | instskip(SKIP_1) | instid1(VALU_DEP_2)
	v_bfe_u32 v40, v37, 16, 1
	v_cmp_o_f32_e32 vcc_lo, v37, v37
	v_add3_u32 v40, v37, v40, 0x7fff
	s_delay_alu instid0(VALU_DEP_1) | instskip(NEXT) | instid1(VALU_DEP_1)
	v_and_b32_e32 v40, 0xffff0000, v40
	v_cndmask_b32_e32 v37, 0x7fc00000, v40, vcc_lo
	v_and_b32_e32 v36, 0xffff0000, v13
	v_alignbit_b32 v13, v14, v13, 16
	s_delay_alu instid0(VALU_DEP_2) | instskip(NEXT) | instid1(VALU_DEP_2)
	v_dual_mul_f32 v37, v37, v39 :: v_dual_mul_f32 v36, v28, v36
	v_and_b32_e32 v13, 0xffff0000, v13
	v_and_b32_e32 v14, 0xffff0000, v14
	s_delay_alu instid0(VALU_DEP_3) | instskip(NEXT) | instid1(VALU_DEP_3)
	v_bfe_u32 v41, v36, 16, 1
	v_mul_f32_e32 v13, v28, v13
	s_delay_alu instid0(VALU_DEP_3) | instskip(SKIP_1) | instid1(VALU_DEP_4)
	v_mul_f32_e32 v14, v28, v14
	v_cmp_o_f32_e32 vcc_lo, v36, v36
	v_add3_u32 v41, v36, v41, 0x7fff
	s_delay_alu instid0(VALU_DEP_4) | instskip(NEXT) | instid1(VALU_DEP_4)
	v_bfe_u32 v43, v13, 16, 1
	v_bfe_u32 v42, v14, 16, 1
	s_delay_alu instid0(VALU_DEP_3) | instskip(NEXT) | instid1(VALU_DEP_3)
	v_and_b32_e32 v41, 0xffff0000, v41
	v_add3_u32 v43, v13, v43, 0x7fff
	s_delay_alu instid0(VALU_DEP_3) | instskip(NEXT) | instid1(VALU_DEP_3)
	v_add3_u32 v42, v14, v42, 0x7fff
	v_cndmask_b32_e32 v36, 0x7fc00000, v41, vcc_lo
	v_cmp_o_f32_e32 vcc_lo, v14, v14
	s_delay_alu instid0(VALU_DEP_3) | instskip(SKIP_3) | instid1(VALU_DEP_4)
	v_and_b32_e32 v42, 0xffff0000, v42
	v_and_b32_e32 v35, 0xffff0000, v35
	;; [unrolled: 1-line block ×3, first 2 shown]
	v_mul_f32_e32 v36, v36, v38
	v_cndmask_b32_e32 v14, 0x7fc00000, v42, vcc_lo
	v_and_b32_e32 v34, 0xffff0000, v34
	v_cmp_o_f32_e32 vcc_lo, v13, v13
	s_delay_alu instid0(VALU_DEP_4) | instskip(NEXT) | instid1(VALU_DEP_4)
	v_bfe_u32 v38, v36, 16, 1
	v_mul_f32_e32 v35, v14, v35
	v_bfe_u32 v14, v37, 16, 1
	v_cndmask_b32_e32 v13, 0x7fc00000, v40, vcc_lo
	s_delay_alu instid0(VALU_DEP_4) | instskip(SKIP_1) | instid1(VALU_DEP_4)
	v_add3_u32 v38, v36, v38, 0x7fff
	v_cmp_o_f32_e32 vcc_lo, v37, v37
	v_add3_u32 v14, v37, v14, 0x7fff
	s_delay_alu instid0(VALU_DEP_4) | instskip(SKIP_2) | instid1(VALU_DEP_4)
	v_mul_f32_e32 v34, v13, v34
	v_bfe_u32 v13, v35, 16, 1
	v_and_b32_e32 v38, 0xffff0000, v38
	v_and_b32_e32 v14, 0xffff0000, v14
	s_delay_alu instid0(VALU_DEP_4) | instskip(NEXT) | instid1(VALU_DEP_4)
	v_bfe_u32 v39, v34, 16, 1
	v_add3_u32 v13, v35, v13, 0x7fff
	s_delay_alu instid0(VALU_DEP_3) | instskip(SKIP_1) | instid1(VALU_DEP_3)
	v_cndmask_b32_e64 v37, 0x7fc00000, |v14|, vcc_lo
	v_cmp_o_f32_e32 vcc_lo, v36, v36
	v_and_b32_e32 v40, 0xffff0000, v13
	v_add3_u32 v39, v34, v39, 0x7fff
	v_cndmask_b32_e64 v36, 0x7fc00000, |v38|, vcc_lo
	v_add_co_u32 v13, vcc_lo, s3, v15
	v_add_co_ci_u32_e32 v14, vcc_lo, s35, v16, vcc_lo
	v_cmp_o_f32_e32 vcc_lo, v35, v35
	v_and_b32_e32 v15, 0xffff0000, v39
	v_max3_f32 v4, v4, v37, v36
	v_add_co_u32 v32, s3, v32, s22
	v_cndmask_b32_e64 v16, 0x7fc00000, |v40|, vcc_lo
	v_cmp_o_f32_e32 vcc_lo, v34, v34
	v_add_co_ci_u32_e64 v33, s3, s23, v33, s3
	v_cndmask_b32_e64 v15, 0x7fc00000, |v15|, vcc_lo
	v_add_co_u32 v30, vcc_lo, v30, s22
	v_add_co_ci_u32_e32 v31, vcc_lo, s23, v31, vcc_lo
	v_cmp_ge_i64_e32 vcc_lo, v[13:14], v[9:10]
	s_delay_alu instid0(VALU_DEP_4)
	v_max3_f32 v4, v4, v15, v16
	s_or_not1_b32 s3, vcc_lo, exec_lo
	s_branch .LBB86_18
.LBB86_25:
	s_or_b32 exec_lo, exec_lo, s25
.LBB86_26:
	s_delay_alu instid0(SALU_CYCLE_1)
	s_or_b32 exec_lo, exec_lo, s13
	s_lshr_b32 s15, s28, 5
	v_lshlrev_b32_e32 v29, 2, v0
	v_cvt_f32_u32_e32 v9, s15
	s_sub_i32 s8, 0, s15
	s_add_i32 s9, s12, s15
	s_delay_alu instid0(SALU_CYCLE_1) | instskip(NEXT) | instid1(VALU_DEP_1)
	s_add_i32 s9, s9, -1
	v_rcp_iflag_f32_e32 v9, v9
	s_abs_i32 s13, s9
	s_ashr_i32 s9, s9, 31
	ds_store_b32 v29, v4
	s_waitcnt lgkmcnt(0)
	s_barrier
	buffer_gl0_inv
	v_mul_f32_e32 v9, 0x4f7ffffe, v9
	s_delay_alu instid0(VALU_DEP_1) | instskip(NEXT) | instid1(VALU_DEP_1)
	v_cvt_u32_f32_e32 v9, v9
	v_readfirstlane_b32 s3, v9
	s_delay_alu instid0(VALU_DEP_1) | instskip(NEXT) | instid1(SALU_CYCLE_1)
	s_mul_i32 s8, s8, s3
	s_mul_hi_u32 s8, s3, s8
	s_delay_alu instid0(SALU_CYCLE_1) | instskip(NEXT) | instid1(SALU_CYCLE_1)
	s_add_i32 s3, s3, s8
	s_mul_hi_u32 s3, s13, s3
	s_delay_alu instid0(SALU_CYCLE_1) | instskip(NEXT) | instid1(SALU_CYCLE_1)
	s_mul_i32 s8, s3, s15
	s_sub_i32 s8, s13, s8
	s_add_i32 s13, s3, 1
	s_sub_i32 s22, s8, s15
	s_cmp_ge_u32 s8, s15
	s_cselect_b32 s3, s13, s3
	s_cselect_b32 s8, s22, s8
	s_add_i32 s13, s3, 1
	s_cmp_ge_u32 s8, s15
	s_cselect_b32 s3, s13, s3
	s_delay_alu instid0(SALU_CYCLE_1) | instskip(NEXT) | instid1(SALU_CYCLE_1)
	s_xor_b32 s3, s3, s9
	s_sub_i32 s8, s3, s9
	s_delay_alu instid0(SALU_CYCLE_1) | instskip(NEXT) | instid1(SALU_CYCLE_1)
	s_ashr_i32 s9, s8, 31
	v_cmp_lt_i64_e64 s3, s[8:9], 1
	s_delay_alu instid0(VALU_DEP_1)
	s_and_b32 vcc_lo, exec_lo, s3
	s_cbranch_vccnz .LBB86_46
; %bb.27:
	v_lshrrev_b32_e32 v9, 5, v0
	v_and_b32_e32 v4, 31, v0
	s_ashr_i32 s13, s12, 31
	s_mov_b64 s[22:23], 0
	s_mov_b64 s[24:25], src_shared_base
	v_mul_lo_u32 v19, s20, v9
	v_add_co_u32 v11, s3, v4, 16
	s_delay_alu instid0(VALU_DEP_1) | instskip(SKIP_1) | instid1(VALU_DEP_1)
	v_add_co_ci_u32_e64 v12, null, 0, 0, s3
	v_add_co_u32 v13, s3, v4, 8
	v_add_co_ci_u32_e64 v14, null, 0, 0, s3
	v_add_co_u32 v15, s3, v4, 4
	v_dual_mov_b32 v10, 0 :: v_dual_lshlrev_b32 v21, 2, v19
	v_lshlrev_b32_e32 v22, 2, v4
	v_add_co_ci_u32_e64 v16, null, 0, 0, s3
	v_add_co_u32 v17, s3, v4, 2
	s_delay_alu instid0(VALU_DEP_1) | instskip(SKIP_1) | instid1(VALU_DEP_1)
	v_add_co_ci_u32_e64 v18, null, 0, 0, s3
	v_add_co_u32 v19, s3, v4, 1
	v_add_co_ci_u32_e64 v20, null, 0, 0, s3
	v_add3_u32 v30, v21, v22, 0x80
	s_mul_i32 s3, s20, s15
	s_delay_alu instid0(SALU_CYCLE_1)
	s_lshl_b32 s30, s3, 2
	s_branch .LBB86_30
.LBB86_28:                              ;   in Loop: Header=BB86_30 Depth=1
	s_or_b32 exec_lo, exec_lo, s3
	v_mov_b32_e32 v22, s25
	flat_load_b32 v21, v[21:22] glc dlc
	s_waitcnt vmcnt(0)
.LBB86_29:                              ;   in Loop: Header=BB86_30 Depth=1
	s_or_b32 exec_lo, exec_lo, s24
	s_add_u32 s22, s22, 1
	v_add_nc_u32_e32 v30, s30, v30
	s_addc_u32 s23, s23, 0
	s_delay_alu instid0(SALU_CYCLE_1)
	s_cmp_eq_u64 s[22:23], s[8:9]
	s_cbranch_scc1 .LBB86_46
.LBB86_30:                              ; =>This Loop Header: Depth=1
                                        ;     Child Loop BB86_33 Depth 2
	s_waitcnt lgkmcnt(0)
	v_mad_u64_u32 v[21:22], null, s22, s15, v[9:10]
	s_mov_b32 s24, exec_lo
	s_delay_alu instid0(VALU_DEP_1) | instskip(NEXT) | instid1(VALU_DEP_1)
	v_mad_u64_u32 v[23:24], null, s23, s15, v[22:23]
	v_mov_b32_e32 v22, v23
	s_delay_alu instid0(VALU_DEP_1)
	v_cmpx_gt_i64_e64 s[12:13], v[21:22]
	s_cbranch_execz .LBB86_29
; %bb.31:                               ;   in Loop: Header=BB86_30 Depth=1
	v_mul_lo_u32 v24, v22, s20
	v_mul_lo_u32 v25, v21, s21
	v_mad_u64_u32 v[22:23], null, v21, s20, 0
	s_delay_alu instid0(VALU_DEP_1) | instskip(NEXT) | instid1(VALU_DEP_2)
	v_add3_u32 v23, v23, v25, v24
	v_add_co_u32 v24, vcc_lo, v22, s20
	v_add_co_u32 v31, s3, v22, v4
	s_delay_alu instid0(VALU_DEP_3) | instskip(SKIP_2) | instid1(VALU_DEP_2)
	v_add_co_ci_u32_e32 v25, vcc_lo, s21, v23, vcc_lo
	v_add_co_ci_u32_e64 v21, s3, 0, v23, s3
	s_mov_b32 s3, exec_lo
	v_cmp_gt_i64_e32 vcc_lo, s[18:19], v[24:25]
	v_cndmask_b32_e32 v25, s19, v25, vcc_lo
	v_cndmask_b32_e32 v24, s18, v24, vcc_lo
	v_add_co_u32 v26, vcc_lo, v31, 32
	v_add_co_ci_u32_e32 v27, vcc_lo, 0, v21, vcc_lo
	v_lshlrev_b32_e32 v21, 2, v31
	s_delay_alu instid0(VALU_DEP_2)
	v_cmpx_lt_i64_e64 v[26:27], v[24:25]
	s_cbranch_execz .LBB86_34
; %bb.32:                               ;   in Loop: Header=BB86_30 Depth=1
	ds_load_b32 v33, v21
	v_mov_b32_e32 v32, v30
	s_mov_b32 s31, 0
.LBB86_33:                              ;   Parent Loop BB86_30 Depth=1
                                        ; =>  This Inner Loop Header: Depth=2
	ds_load_b32 v34, v32
	v_add_co_u32 v26, vcc_lo, v26, 32
	v_add_co_ci_u32_e32 v27, vcc_lo, 0, v27, vcc_lo
	s_waitcnt lgkmcnt(1)
	v_dual_max_f32 v33, v33, v33 :: v_dual_add_nc_u32 v32, 0x80, v32
	s_delay_alu instid0(VALU_DEP_2) | instskip(SKIP_3) | instid1(VALU_DEP_1)
	v_cmp_ge_i64_e32 vcc_lo, v[26:27], v[24:25]
	s_or_b32 s31, vcc_lo, s31
	s_waitcnt lgkmcnt(0)
	v_max_f32_e32 v34, v34, v34
	v_max_f32_e32 v33, v33, v34
	ds_store_b32 v21, v33
	s_and_not1_b32 exec_lo, exec_lo, s31
	s_cbranch_execnz .LBB86_33
.LBB86_34:                              ;   in Loop: Header=BB86_30 Depth=1
	s_or_b32 exec_lo, exec_lo, s3
	v_sub_co_u32 v22, vcc_lo, v24, v22
	v_sub_co_ci_u32_e32 v23, vcc_lo, v25, v23, vcc_lo
	s_mov_b32 s3, exec_lo
	s_delay_alu instid0(VALU_DEP_1) | instskip(SKIP_1) | instid1(VALU_DEP_1)
	v_cmp_gt_i64_e32 vcc_lo, 32, v[22:23]
	v_dual_cndmask_b32 v24, 0, v23 :: v_dual_cndmask_b32 v23, 32, v22
	v_cmpx_lt_i64_e64 v[11:12], v[23:24]
	s_cbranch_execz .LBB86_36
; %bb.35:                               ;   in Loop: Header=BB86_30 Depth=1
	v_dual_mov_b32 v22, s25 :: v_dual_add_nc_u32 v25, 64, v21
	v_mov_b32_e32 v26, s25
	flat_load_b32 v27, v[21:22] glc dlc
	s_waitcnt vmcnt(0)
	flat_load_b32 v25, v[25:26] glc dlc
	s_waitcnt vmcnt(0) lgkmcnt(0)
	v_dual_max_f32 v26, v27, v27 :: v_dual_max_f32 v25, v25, v25
	s_delay_alu instid0(VALU_DEP_1)
	v_max_f32_e32 v25, v26, v25
	flat_store_b32 v[21:22], v25 dlc
	s_waitcnt_vscnt null, 0x0
.LBB86_36:                              ;   in Loop: Header=BB86_30 Depth=1
	s_or_b32 exec_lo, exec_lo, s3
	s_delay_alu instid0(SALU_CYCLE_1)
	s_mov_b32 s3, exec_lo
	v_cmpx_lt_i64_e64 v[13:14], v[23:24]
	s_cbranch_execz .LBB86_38
; %bb.37:                               ;   in Loop: Header=BB86_30 Depth=1
	v_dual_mov_b32 v22, s25 :: v_dual_add_nc_u32 v25, 32, v21
	v_mov_b32_e32 v26, s25
	flat_load_b32 v27, v[21:22] glc dlc
	s_waitcnt vmcnt(0)
	flat_load_b32 v25, v[25:26] glc dlc
	s_waitcnt vmcnt(0) lgkmcnt(0)
	v_dual_max_f32 v26, v27, v27 :: v_dual_max_f32 v25, v25, v25
	s_delay_alu instid0(VALU_DEP_1)
	v_max_f32_e32 v25, v26, v25
	flat_store_b32 v[21:22], v25 dlc
	s_waitcnt_vscnt null, 0x0
.LBB86_38:                              ;   in Loop: Header=BB86_30 Depth=1
	s_or_b32 exec_lo, exec_lo, s3
	s_delay_alu instid0(SALU_CYCLE_1)
	s_mov_b32 s3, exec_lo
	v_cmpx_ge_i64_e64 v[15:16], v[23:24]
	s_xor_b32 s3, exec_lo, s3
; %bb.39:                               ;   in Loop: Header=BB86_30 Depth=1
                                        ; implicit-def: $vgpr21
; %bb.40:                               ;   in Loop: Header=BB86_30 Depth=1
	s_delay_alu instid0(SALU_CYCLE_1)
	s_and_not1_saveexec_b32 s3, s3
	s_cbranch_execz .LBB86_42
; %bb.41:                               ;   in Loop: Header=BB86_30 Depth=1
	v_dual_mov_b32 v22, s25 :: v_dual_add_nc_u32 v25, 16, v21
	v_mov_b32_e32 v26, s25
	flat_load_b32 v27, v[21:22] glc dlc
	s_waitcnt vmcnt(0)
	flat_load_b32 v25, v[25:26] glc dlc
	s_waitcnt vmcnt(0) lgkmcnt(0)
	v_dual_max_f32 v26, v27, v27 :: v_dual_max_f32 v25, v25, v25
	s_delay_alu instid0(VALU_DEP_1)
	v_max_f32_e32 v25, v26, v25
	flat_store_b32 v[21:22], v25 dlc
	s_waitcnt_vscnt null, 0x0
.LBB86_42:                              ;   in Loop: Header=BB86_30 Depth=1
	s_or_b32 exec_lo, exec_lo, s3
	v_lshlrev_b32_e32 v21, 2, v31
	s_mov_b32 s3, exec_lo
	v_cmpx_lt_i64_e64 v[17:18], v[23:24]
	s_cbranch_execz .LBB86_44
; %bb.43:                               ;   in Loop: Header=BB86_30 Depth=1
	s_delay_alu instid0(VALU_DEP_2)
	v_dual_mov_b32 v22, s25 :: v_dual_add_nc_u32 v25, 8, v21
	v_mov_b32_e32 v26, s25
	flat_load_b32 v27, v[21:22] glc dlc
	s_waitcnt vmcnt(0)
	flat_load_b32 v25, v[25:26] glc dlc
	s_waitcnt vmcnt(0) lgkmcnt(0)
	v_dual_max_f32 v26, v27, v27 :: v_dual_max_f32 v25, v25, v25
	s_delay_alu instid0(VALU_DEP_1)
	v_max_f32_e32 v25, v26, v25
	flat_store_b32 v[21:22], v25 dlc
	s_waitcnt_vscnt null, 0x0
.LBB86_44:                              ;   in Loop: Header=BB86_30 Depth=1
	s_or_b32 exec_lo, exec_lo, s3
	s_delay_alu instid0(SALU_CYCLE_1)
	s_mov_b32 s3, exec_lo
	v_cmpx_lt_i64_e64 v[19:20], v[23:24]
	s_cbranch_execz .LBB86_28
; %bb.45:                               ;   in Loop: Header=BB86_30 Depth=1
	v_dual_mov_b32 v22, s25 :: v_dual_add_nc_u32 v23, 4, v21
	v_mov_b32_e32 v24, s25
	flat_load_b32 v25, v[21:22] glc dlc
	s_waitcnt vmcnt(0)
	flat_load_b32 v23, v[23:24] glc dlc
	s_waitcnt vmcnt(0) lgkmcnt(0)
	v_dual_max_f32 v24, v25, v25 :: v_dual_max_f32 v23, v23, v23
	s_delay_alu instid0(VALU_DEP_1)
	v_max_f32_e32 v23, v24, v23
	flat_store_b32 v[21:22], v23 dlc
	s_waitcnt_vscnt null, 0x0
	s_branch .LBB86_28
.LBB86_46:
	s_load_b64 s[8:9], s[0:1], 0x40
	v_cmp_lt_i64_e32 vcc_lo, v[7:8], v[5:6]
	v_cmp_eq_u32_e64 s3, 0, v3
	s_waitcnt lgkmcnt(0)
	s_barrier
	buffer_gl0_inv
	s_and_b32 s12, s3, vcc_lo
	s_delay_alu instid0(SALU_CYCLE_1)
	s_and_saveexec_b32 s3, s12
	s_cbranch_execz .LBB86_53
; %bb.47:
	s_load_b64 s[0:1], s[0:1], 0x20
	ds_load_b32 v5, v29
	s_waitcnt lgkmcnt(0)
	s_cmp_eq_u64 s[0:1], 0
	s_cbranch_scc1 .LBB86_49
; %bb.48:
	s_load_b32 s0, s[0:1], 0x0
	v_max_f32_e32 v3, v5, v5
	s_waitcnt lgkmcnt(0)
	v_max_f32_e64 v4, s0, s0
	s_delay_alu instid0(VALU_DEP_1)
	v_min_f32_e32 v5, v3, v4
.LBB86_49:
	s_add_u32 s0, s8, s29
	s_addc_u32 s1, s9, 0
	s_add_u32 s12, s0, -1
	s_addc_u32 s13, s1, -1
	s_delay_alu instid0(SALU_CYCLE_1) | instskip(SKIP_1) | instid1(SALU_CYCLE_1)
	s_or_b64 s[20:21], s[12:13], s[8:9]
	s_mov_b32 s20, 0
	s_cmp_lg_u64 s[20:21], 0
	s_cbranch_scc0 .LBB86_66
; %bb.50:
	s_ashr_i32 s0, s9, 31
	s_delay_alu instid0(SALU_CYCLE_1) | instskip(SKIP_2) | instid1(SALU_CYCLE_1)
	s_add_u32 s22, s8, s0
	s_mov_b32 s1, s0
	s_addc_u32 s23, s9, s0
	s_xor_b64 s[0:1], s[22:23], s[0:1]
	s_delay_alu instid0(SALU_CYCLE_1) | instskip(SKIP_3) | instid1(VALU_DEP_1)
	v_cvt_f32_u32_e32 v3, s0
	v_cvt_f32_u32_e32 v4, s1
	s_sub_u32 s22, 0, s0
	s_subb_u32 s23, 0, s1
	v_fmamk_f32 v3, v4, 0x4f800000, v3
	s_delay_alu instid0(VALU_DEP_1) | instskip(SKIP_2) | instid1(VALU_DEP_1)
	v_rcp_f32_e32 v3, v3
	s_waitcnt_depctr 0xfff
	v_mul_f32_e32 v3, 0x5f7ffffc, v3
	v_mul_f32_e32 v4, 0x2f800000, v3
	s_delay_alu instid0(VALU_DEP_1) | instskip(NEXT) | instid1(VALU_DEP_1)
	v_trunc_f32_e32 v4, v4
	v_fmamk_f32 v3, v4, 0xcf800000, v3
	v_cvt_u32_f32_e32 v4, v4
	s_delay_alu instid0(VALU_DEP_2) | instskip(NEXT) | instid1(VALU_DEP_2)
	v_cvt_u32_f32_e32 v3, v3
	v_readfirstlane_b32 s15, v4
	s_delay_alu instid0(VALU_DEP_2) | instskip(NEXT) | instid1(VALU_DEP_2)
	v_readfirstlane_b32 s21, v3
	s_mul_i32 s24, s22, s15
	s_delay_alu instid0(VALU_DEP_1)
	s_mul_hi_u32 s30, s22, s21
	s_mul_i32 s25, s23, s21
	s_add_i32 s24, s30, s24
	s_mul_i32 s31, s22, s21
	s_add_i32 s24, s24, s25
	s_mul_hi_u32 s30, s21, s31
	s_mul_hi_u32 s33, s15, s31
	s_mul_i32 s25, s15, s31
	s_mul_hi_u32 s31, s21, s24
	s_mul_i32 s21, s21, s24
	s_mul_hi_u32 s34, s15, s24
	s_add_u32 s21, s30, s21
	s_addc_u32 s30, 0, s31
	s_add_u32 s21, s21, s25
	s_mul_i32 s24, s15, s24
	s_addc_u32 s21, s30, s33
	s_addc_u32 s25, s34, 0
	s_add_u32 s21, s21, s24
	s_addc_u32 s24, 0, s25
	v_add_co_u32 v3, s21, v3, s21
	s_delay_alu instid0(VALU_DEP_1) | instskip(SKIP_1) | instid1(VALU_DEP_1)
	s_cmp_lg_u32 s21, 0
	s_addc_u32 s15, s15, s24
	v_readfirstlane_b32 s21, v3
	s_mul_i32 s24, s22, s15
	s_delay_alu instid0(VALU_DEP_1)
	s_mul_hi_u32 s25, s22, s21
	s_mul_i32 s23, s23, s21
	s_add_i32 s24, s25, s24
	s_mul_i32 s22, s22, s21
	s_add_i32 s24, s24, s23
	s_mul_hi_u32 s25, s15, s22
	s_mul_i32 s30, s15, s22
	s_mul_hi_u32 s22, s21, s22
	s_mul_hi_u32 s31, s21, s24
	s_mul_i32 s21, s21, s24
	s_mul_hi_u32 s23, s15, s24
	s_add_u32 s21, s22, s21
	s_addc_u32 s22, 0, s31
	s_add_u32 s21, s21, s30
	s_mul_i32 s24, s15, s24
	s_addc_u32 s21, s22, s25
	s_addc_u32 s22, s23, 0
	s_add_u32 s21, s21, s24
	s_addc_u32 s22, 0, s22
	v_add_co_u32 v3, s21, v3, s21
	s_delay_alu instid0(VALU_DEP_1) | instskip(SKIP_2) | instid1(VALU_DEP_1)
	s_cmp_lg_u32 s21, 0
	s_addc_u32 s15, s15, s22
	s_ashr_i32 s22, s13, 31
	v_readfirstlane_b32 s21, v3
	s_add_u32 s24, s12, s22
	s_mov_b32 s23, s22
	s_addc_u32 s25, s13, s22
	s_delay_alu instid0(SALU_CYCLE_1) | instskip(NEXT) | instid1(SALU_CYCLE_1)
	s_xor_b64 s[24:25], s[24:25], s[22:23]
	s_mul_i32 s30, s24, s15
	s_mul_hi_u32 s31, s24, s21
	s_mul_hi_u32 s23, s24, s15
	;; [unrolled: 1-line block ×3, first 2 shown]
	s_mul_i32 s21, s25, s21
	s_add_u32 s30, s31, s30
	s_addc_u32 s23, 0, s23
	s_mul_hi_u32 s33, s25, s15
	s_add_u32 s21, s30, s21
	s_mul_i32 s15, s25, s15
	s_addc_u32 s21, s23, s34
	s_addc_u32 s23, s33, 0
	s_add_u32 s15, s21, s15
	s_addc_u32 s21, 0, s23
	s_mul_hi_u32 s23, s0, s15
	s_mul_i32 s21, s0, s21
	s_mul_i32 s30, s1, s15
	;; [unrolled: 1-line block ×3, first 2 shown]
	s_add_i32 s21, s23, s21
	v_sub_co_u32 v3, s15, s24, s15
	s_add_i32 s21, s21, s30
	s_delay_alu instid0(SALU_CYCLE_1) | instskip(SKIP_1) | instid1(VALU_DEP_1)
	s_sub_i32 s23, s25, s21
	s_cmp_lg_u32 s15, 0
	v_sub_co_u32 v4, s24, v3, s0
	s_subb_u32 s23, s23, s1
	s_cmp_lg_u32 s24, 0
	s_subb_u32 s30, s23, 0
	s_delay_alu instid0(VALU_DEP_1)
	v_cmp_le_u32_e32 vcc_lo, s0, v4
	s_cmp_ge_u32 s30, s1
	s_cselect_b32 s31, -1, 0
	s_cmp_eq_u32 s30, s1
	v_cndmask_b32_e64 v6, 0, -1, vcc_lo
	s_cselect_b32 vcc_lo, -1, 0
	s_cmp_lg_u32 s24, 0
	v_sub_co_u32 v7, s24, v4, s0
	s_subb_u32 s23, s23, s1
	s_cmp_lg_u32 s24, 0
	v_cndmask_b32_e32 v6, s31, v6, vcc_lo
	s_subb_u32 s23, s23, 0
	s_cmp_lg_u32 s15, 0
	v_cmp_le_u32_e32 vcc_lo, s0, v3
	s_subb_u32 s15, s25, s21
	s_delay_alu instid0(SALU_CYCLE_1)
	s_cmp_ge_u32 s15, s1
	v_cndmask_b32_e64 v8, 0, -1, vcc_lo
	s_cselect_b32 s21, -1, 0
	s_cmp_eq_u32 s15, s1
	v_cmp_ne_u32_e32 vcc_lo, 0, v6
	v_mov_b32_e32 v6, s23
	s_cselect_b32 s0, -1, 0
	s_delay_alu instid0(SALU_CYCLE_1) | instskip(SKIP_1) | instid1(VALU_DEP_3)
	v_cndmask_b32_e64 v8, s21, v8, s0
	v_cndmask_b32_e32 v4, v4, v7, vcc_lo
	v_cndmask_b32_e32 v6, s30, v6, vcc_lo
	s_delay_alu instid0(VALU_DEP_3) | instskip(NEXT) | instid1(VALU_DEP_3)
	v_cmp_ne_u32_e32 vcc_lo, 0, v8
	v_cndmask_b32_e32 v3, v3, v4, vcc_lo
	s_delay_alu instid0(VALU_DEP_3) | instskip(NEXT) | instid1(VALU_DEP_2)
	v_cndmask_b32_e32 v6, s15, v6, vcc_lo
	v_xor_b32_e32 v3, s22, v3
	s_delay_alu instid0(VALU_DEP_2) | instskip(NEXT) | instid1(VALU_DEP_2)
	v_xor_b32_e32 v4, s22, v6
	v_sub_co_u32 v3, vcc_lo, v3, s22
	s_delay_alu instid0(VALU_DEP_2)
	v_subrev_co_ci_u32_e32 v4, vcc_lo, s22, v4, vcc_lo
	s_and_not1_b32 vcc_lo, exec_lo, s20
	s_cbranch_vccnz .LBB86_52
.LBB86_51:
	v_cvt_f32_u32_e32 v3, s8
	s_sub_i32 s0, 0, s8
	s_delay_alu instid0(VALU_DEP_1) | instskip(SKIP_2) | instid1(VALU_DEP_1)
	v_rcp_iflag_f32_e32 v3, v3
	s_waitcnt_depctr 0xfff
	v_mul_f32_e32 v3, 0x4f7ffffe, v3
	v_cvt_u32_f32_e32 v3, v3
	s_delay_alu instid0(VALU_DEP_1) | instskip(NEXT) | instid1(VALU_DEP_1)
	v_mul_lo_u32 v4, s0, v3
	v_mul_hi_u32 v4, v3, v4
	s_delay_alu instid0(VALU_DEP_1) | instskip(NEXT) | instid1(VALU_DEP_1)
	v_add_nc_u32_e32 v3, v3, v4
	v_mul_hi_u32 v3, s12, v3
	s_delay_alu instid0(VALU_DEP_1) | instskip(NEXT) | instid1(VALU_DEP_1)
	v_mul_lo_u32 v3, v3, s8
	v_sub_nc_u32_e32 v3, s12, v3
	s_delay_alu instid0(VALU_DEP_1) | instskip(SKIP_1) | instid1(VALU_DEP_2)
	v_subrev_nc_u32_e32 v4, s8, v3
	v_cmp_le_u32_e32 vcc_lo, s8, v3
	v_cndmask_b32_e32 v3, v3, v4, vcc_lo
	s_delay_alu instid0(VALU_DEP_1) | instskip(SKIP_1) | instid1(VALU_DEP_2)
	v_subrev_nc_u32_e32 v4, s8, v3
	v_cmp_le_u32_e32 vcc_lo, s8, v3
	v_dual_cndmask_b32 v3, v3, v4 :: v_dual_mov_b32 v4, 0
.LBB86_52:
	v_div_scale_f32 v6, null, 0x42fe0000, 0x42fe0000, v5
	v_div_scale_f32 v9, vcc_lo, v5, 0x42fe0000, v5
	s_delay_alu instid0(VALU_DEP_3) | instskip(NEXT) | instid1(VALU_DEP_3)
	v_sub_co_u32 v10, s0, s12, v3
	v_rcp_f32_e32 v7, v6
	v_sub_co_ci_u32_e64 v3, s0, s13, v4, s0
	s_lshl_b64 s[0:1], s[16:17], 2
	s_delay_alu instid0(SALU_CYCLE_1) | instskip(NEXT) | instid1(VALU_DEP_1)
	s_add_u32 s0, s0, s6
	v_mul_lo_u32 v11, v3, v1
	s_addc_u32 s1, s1, s7
	s_waitcnt_depctr 0xfff
	v_fma_f32 v8, -v6, v7, 1.0
	s_delay_alu instid0(VALU_DEP_1) | instskip(NEXT) | instid1(VALU_DEP_1)
	v_fmac_f32_e32 v7, v8, v7
	v_mul_f32_e32 v8, v9, v7
	s_delay_alu instid0(VALU_DEP_1) | instskip(NEXT) | instid1(VALU_DEP_1)
	v_fma_f32 v4, -v6, v8, v9
	v_fmac_f32_e32 v8, v4, v7
	v_mul_lo_u32 v4, v10, v2
	v_mad_u64_u32 v[2:3], null, v10, v1, 0
	s_delay_alu instid0(VALU_DEP_3) | instskip(NEXT) | instid1(VALU_DEP_2)
	v_fma_f32 v1, -v6, v8, v9
	v_add3_u32 v3, v3, v4, v11
	s_delay_alu instid0(VALU_DEP_2) | instskip(NEXT) | instid1(VALU_DEP_1)
	v_div_fmas_f32 v1, v1, v7, v8
	v_div_fixup_f32 v4, v1, 0x42fe0000, v5
	s_delay_alu instid0(VALU_DEP_3) | instskip(NEXT) | instid1(VALU_DEP_2)
	v_lshlrev_b64 v[1:2], 2, v[2:3]
	v_max_f32_e32 v3, 0x34000000, v4
	s_delay_alu instid0(VALU_DEP_2) | instskip(NEXT) | instid1(VALU_DEP_3)
	v_add_co_u32 v1, vcc_lo, s0, v1
	v_add_co_ci_u32_e32 v2, vcc_lo, s1, v2, vcc_lo
	global_store_b32 v[1:2], v3, off
.LBB86_53:
	s_or_b32 exec_lo, exec_lo, s3
	s_waitcnt_vscnt null, 0x0
	s_barrier
	buffer_gl0_inv
	s_and_saveexec_b32 s0, s2
	s_cbranch_execz .LBB86_65
; %bb.54:
	s_add_u32 s0, s8, s29
	s_addc_u32 s1, s9, 0
	s_add_u32 s2, s0, -1
	s_addc_u32 s3, s1, -1
	s_delay_alu instid0(SALU_CYCLE_1) | instskip(SKIP_1) | instid1(SALU_CYCLE_1)
	s_or_b64 s[12:13], s[2:3], s[8:9]
	s_mov_b32 s12, 0
	s_cmp_lg_u64 s[12:13], 0
	s_cbranch_scc0 .LBB86_67
; %bb.55:
	s_ashr_i32 s0, s9, 31
	s_delay_alu instid0(SALU_CYCLE_1) | instskip(SKIP_2) | instid1(SALU_CYCLE_1)
	s_add_u32 s20, s8, s0
	s_mov_b32 s1, s0
	s_addc_u32 s21, s9, s0
	s_xor_b64 s[0:1], s[20:21], s[0:1]
	s_delay_alu instid0(SALU_CYCLE_1) | instskip(SKIP_3) | instid1(VALU_DEP_1)
	v_cvt_f32_u32_e32 v1, s0
	v_cvt_f32_u32_e32 v2, s1
	s_sub_u32 s15, 0, s0
	s_subb_u32 s20, 0, s1
	v_fmamk_f32 v1, v2, 0x4f800000, v1
	s_delay_alu instid0(VALU_DEP_1) | instskip(SKIP_2) | instid1(VALU_DEP_1)
	v_rcp_f32_e32 v1, v1
	s_waitcnt_depctr 0xfff
	v_mul_f32_e32 v1, 0x5f7ffffc, v1
	v_mul_f32_e32 v2, 0x2f800000, v1
	s_delay_alu instid0(VALU_DEP_1) | instskip(NEXT) | instid1(VALU_DEP_1)
	v_trunc_f32_e32 v2, v2
	v_fmamk_f32 v1, v2, 0xcf800000, v1
	v_cvt_u32_f32_e32 v2, v2
	s_delay_alu instid0(VALU_DEP_2) | instskip(NEXT) | instid1(VALU_DEP_2)
	v_cvt_u32_f32_e32 v1, v1
	v_readfirstlane_b32 s9, v2
	s_delay_alu instid0(VALU_DEP_2) | instskip(NEXT) | instid1(VALU_DEP_2)
	v_readfirstlane_b32 s13, v1
	s_mul_i32 s21, s15, s9
	s_delay_alu instid0(VALU_DEP_1)
	s_mul_hi_u32 s23, s15, s13
	s_mul_i32 s22, s20, s13
	s_add_i32 s21, s23, s21
	s_mul_i32 s24, s15, s13
	s_add_i32 s21, s21, s22
	s_mul_hi_u32 s23, s13, s24
	s_mul_hi_u32 s25, s9, s24
	s_mul_i32 s22, s9, s24
	s_mul_hi_u32 s24, s13, s21
	s_mul_i32 s13, s13, s21
	s_mul_hi_u32 s29, s9, s21
	s_add_u32 s13, s23, s13
	s_addc_u32 s23, 0, s24
	s_add_u32 s13, s13, s22
	s_mul_i32 s21, s9, s21
	s_addc_u32 s13, s23, s25
	s_addc_u32 s22, s29, 0
	s_add_u32 s13, s13, s21
	s_addc_u32 s21, 0, s22
	v_add_co_u32 v1, s13, v1, s13
	s_delay_alu instid0(VALU_DEP_1) | instskip(SKIP_1) | instid1(VALU_DEP_1)
	s_cmp_lg_u32 s13, 0
	s_addc_u32 s9, s9, s21
	v_readfirstlane_b32 s13, v1
	s_mul_i32 s21, s15, s9
	s_delay_alu instid0(VALU_DEP_1)
	s_mul_hi_u32 s22, s15, s13
	s_mul_i32 s20, s20, s13
	s_add_i32 s21, s22, s21
	s_mul_i32 s15, s15, s13
	s_add_i32 s21, s21, s20
	s_mul_hi_u32 s22, s9, s15
	s_mul_i32 s23, s9, s15
	s_mul_hi_u32 s15, s13, s15
	s_mul_hi_u32 s24, s13, s21
	s_mul_i32 s13, s13, s21
	s_mul_hi_u32 s20, s9, s21
	s_add_u32 s13, s15, s13
	s_addc_u32 s15, 0, s24
	s_add_u32 s13, s13, s23
	s_mul_i32 s21, s9, s21
	s_addc_u32 s13, s15, s22
	s_addc_u32 s15, s20, 0
	s_add_u32 s13, s13, s21
	s_addc_u32 s15, 0, s15
	v_add_co_u32 v1, s13, v1, s13
	s_delay_alu instid0(VALU_DEP_1) | instskip(SKIP_2) | instid1(VALU_DEP_1)
	s_cmp_lg_u32 s13, 0
	s_addc_u32 s9, s9, s15
	s_ashr_i32 s20, s3, 31
	v_readfirstlane_b32 s13, v1
	s_add_u32 s22, s2, s20
	s_mov_b32 s21, s20
	s_addc_u32 s23, s3, s20
	s_delay_alu instid0(SALU_CYCLE_1) | instskip(NEXT) | instid1(SALU_CYCLE_1)
	s_xor_b64 s[22:23], s[22:23], s[20:21]
	s_mul_i32 s21, s22, s9
	s_mul_hi_u32 s24, s22, s13
	s_mul_hi_u32 s15, s22, s9
	;; [unrolled: 1-line block ×3, first 2 shown]
	s_mul_i32 s13, s23, s13
	s_add_u32 s21, s24, s21
	s_addc_u32 s15, 0, s15
	s_mul_hi_u32 s25, s23, s9
	s_add_u32 s13, s21, s13
	s_mul_i32 s9, s23, s9
	s_addc_u32 s13, s15, s29
	s_addc_u32 s15, s25, 0
	s_add_u32 s9, s13, s9
	s_addc_u32 s13, 0, s15
	s_mul_hi_u32 s15, s0, s9
	s_mul_i32 s13, s0, s13
	s_mul_i32 s21, s1, s9
	;; [unrolled: 1-line block ×3, first 2 shown]
	s_add_i32 s13, s15, s13
	v_sub_co_u32 v1, s9, s22, s9
	s_add_i32 s13, s13, s21
	s_delay_alu instid0(SALU_CYCLE_1) | instskip(SKIP_1) | instid1(VALU_DEP_1)
	s_sub_i32 s15, s23, s13
	s_cmp_lg_u32 s9, 0
	v_sub_co_u32 v2, s21, v1, s0
	s_subb_u32 s15, s15, s1
	s_cmp_lg_u32 s21, 0
	s_subb_u32 s22, s15, 0
	s_delay_alu instid0(VALU_DEP_1)
	v_cmp_le_u32_e32 vcc_lo, s0, v2
	s_cmp_ge_u32 s22, s1
	s_cselect_b32 s24, -1, 0
	s_cmp_eq_u32 s22, s1
	v_cndmask_b32_e64 v3, 0, -1, vcc_lo
	s_cselect_b32 vcc_lo, -1, 0
	s_cmp_lg_u32 s21, 0
	v_sub_co_u32 v4, s21, v2, s0
	s_subb_u32 s15, s15, s1
	s_cmp_lg_u32 s21, 0
	v_cndmask_b32_e32 v3, s24, v3, vcc_lo
	s_subb_u32 s15, s15, 0
	s_cmp_lg_u32 s9, 0
	v_cmp_le_u32_e32 vcc_lo, s0, v1
	s_subb_u32 s9, s23, s13
	s_delay_alu instid0(SALU_CYCLE_1)
	s_cmp_ge_u32 s9, s1
	v_cndmask_b32_e64 v5, 0, -1, vcc_lo
	s_cselect_b32 s13, -1, 0
	s_cmp_eq_u32 s9, s1
	v_cmp_ne_u32_e32 vcc_lo, 0, v3
	v_mov_b32_e32 v3, s15
	s_cselect_b32 s0, -1, 0
	s_delay_alu instid0(SALU_CYCLE_1) | instskip(SKIP_1) | instid1(VALU_DEP_3)
	v_cndmask_b32_e64 v5, s13, v5, s0
	v_cndmask_b32_e32 v2, v2, v4, vcc_lo
	v_cndmask_b32_e32 v3, s22, v3, vcc_lo
	s_delay_alu instid0(VALU_DEP_3) | instskip(NEXT) | instid1(VALU_DEP_3)
	v_cmp_ne_u32_e32 vcc_lo, 0, v5
	v_cndmask_b32_e32 v1, v1, v2, vcc_lo
	s_delay_alu instid0(VALU_DEP_3) | instskip(NEXT) | instid1(VALU_DEP_2)
	v_cndmask_b32_e32 v3, s9, v3, vcc_lo
	v_xor_b32_e32 v1, s20, v1
	s_delay_alu instid0(VALU_DEP_2) | instskip(NEXT) | instid1(VALU_DEP_2)
	v_xor_b32_e32 v2, s20, v3
	v_sub_co_u32 v1, vcc_lo, v1, s20
	s_delay_alu instid0(VALU_DEP_2)
	v_subrev_co_ci_u32_e32 v2, vcc_lo, s20, v2, vcc_lo
	s_and_not1_b32 vcc_lo, exec_lo, s12
	s_cbranch_vccnz .LBB86_57
.LBB86_56:
	v_cvt_f32_u32_e32 v1, s8
	s_sub_i32 s0, 0, s8
	s_delay_alu instid0(VALU_DEP_1) | instskip(SKIP_2) | instid1(VALU_DEP_1)
	v_rcp_iflag_f32_e32 v1, v1
	s_waitcnt_depctr 0xfff
	v_mul_f32_e32 v1, 0x4f7ffffe, v1
	v_cvt_u32_f32_e32 v1, v1
	s_delay_alu instid0(VALU_DEP_1) | instskip(NEXT) | instid1(VALU_DEP_1)
	v_mul_lo_u32 v2, s0, v1
	v_mul_hi_u32 v2, v1, v2
	s_delay_alu instid0(VALU_DEP_1) | instskip(NEXT) | instid1(VALU_DEP_1)
	v_add_nc_u32_e32 v1, v1, v2
	v_mul_hi_u32 v1, s2, v1
	s_delay_alu instid0(VALU_DEP_1) | instskip(NEXT) | instid1(VALU_DEP_1)
	v_mul_lo_u32 v1, v1, s8
	v_sub_nc_u32_e32 v1, s2, v1
	s_delay_alu instid0(VALU_DEP_1) | instskip(SKIP_1) | instid1(VALU_DEP_2)
	v_subrev_nc_u32_e32 v2, s8, v1
	v_cmp_le_u32_e32 vcc_lo, s8, v1
	v_cndmask_b32_e32 v1, v1, v2, vcc_lo
	s_delay_alu instid0(VALU_DEP_1) | instskip(SKIP_1) | instid1(VALU_DEP_2)
	v_subrev_nc_u32_e32 v2, s8, v1
	v_cmp_le_u32_e32 vcc_lo, s8, v1
	v_dual_cndmask_b32 v1, v1, v2 :: v_dual_mov_b32 v2, 0
.LBB86_57:
	s_mul_i32 s0, s19, s16
	s_mul_hi_u32 s1, s18, s16
	s_mul_i32 s8, s18, s16
	s_add_i32 s0, s1, s0
	v_sub_co_u32 v5, vcc_lo, s2, v1
	s_add_u32 s1, s4, s8
	s_addc_u32 s4, s5, s0
	s_lshl_b64 s[8:9], s[16:17], 2
	v_sub_co_ci_u32_e32 v6, vcc_lo, s3, v2, vcc_lo
	v_mov_b32_e32 v1, 0
	s_add_u32 s5, s6, s8
	s_addc_u32 s6, s7, s9
	s_mul_i32 s2, s28, 3
	s_lshl_b32 s3, s28, 1
	s_mov_b32 s7, 0
	s_add_i32 s8, s28, s28
                                        ; implicit-def: $sgpr9
	s_branch .LBB86_61
.LBB86_58:                              ;   in Loop: Header=BB86_61 Depth=1
	s_or_b32 exec_lo, exec_lo, s15
	s_delay_alu instid0(SALU_CYCLE_1)
	s_or_not1_b32 s0, s0, exec_lo
.LBB86_59:                              ;   in Loop: Header=BB86_61 Depth=1
	s_or_b32 exec_lo, exec_lo, s13
	s_delay_alu instid0(SALU_CYCLE_1) | instskip(SKIP_1) | instid1(SALU_CYCLE_1)
	s_and_not1_b32 s9, s9, exec_lo
	s_and_b32 s0, s0, exec_lo
	s_or_b32 s9, s9, s0
.LBB86_60:                              ;   in Loop: Header=BB86_61 Depth=1
	s_or_b32 exec_lo, exec_lo, s12
	s_delay_alu instid0(SALU_CYCLE_1) | instskip(NEXT) | instid1(SALU_CYCLE_1)
	s_and_b32 s0, exec_lo, s9
	s_or_b32 s7, s0, s7
	s_delay_alu instid0(SALU_CYCLE_1)
	s_and_not1_b32 exec_lo, exec_lo, s7
	s_cbranch_execz .LBB86_65
.LBB86_61:                              ; =>This Inner Loop Header: Depth=1
	v_lshlrev_b64 v[7:8], 3, v[0:1]
	v_bfe_u32 v4, v0, 4, 26
	s_or_b32 s9, s9, exec_lo
	s_mov_b32 s12, exec_lo
	s_delay_alu instid0(VALU_DEP_1) | instskip(NEXT) | instid1(VALU_DEP_3)
	v_mad_u64_u32 v[2:3], null, v5, v4, 0
	v_add_co_u32 v9, vcc_lo, s26, v7
	v_add_co_ci_u32_e32 v10, vcc_lo, s27, v8, vcc_lo
	v_add_co_u32 v7, vcc_lo, s10, v7
	v_add_co_ci_u32_e32 v8, vcc_lo, s11, v8, vcc_lo
	v_mad_u64_u32 v[11:12], null, v6, v4, v[3:4]
	global_load_b64 v[9:10], v[9:10], off
	global_load_b64 v[7:8], v[7:8], off
	v_mov_b32_e32 v3, v11
	s_waitcnt vmcnt(1)
	v_lshlrev_b32_e32 v11, 16, v9
	s_waitcnt vmcnt(0)
	v_and_b32_e32 v4, 0xffff0000, v7
	v_lshlrev_b64 v[2:3], 2, v[2:3]
	s_delay_alu instid0(VALU_DEP_3) | instskip(NEXT) | instid1(VALU_DEP_2)
	v_mul_f32_e32 v11, v28, v11
	v_add_co_u32 v2, vcc_lo, s5, v2
	s_delay_alu instid0(VALU_DEP_3) | instskip(NEXT) | instid1(VALU_DEP_3)
	v_add_co_ci_u32_e32 v3, vcc_lo, s6, v3, vcc_lo
	v_bfe_u32 v13, v11, 16, 1
	v_cmp_o_f32_e32 vcc_lo, v11, v11
	global_load_b32 v2, v[2:3], off
	v_and_b32_e32 v3, 0xffff0000, v9
	v_alignbit_b32 v9, v10, v9, 16
	v_and_b32_e32 v10, 0xffff0000, v10
	v_add3_u32 v13, v11, v13, 0x7fff
	s_delay_alu instid0(VALU_DEP_2) | instskip(SKIP_1) | instid1(VALU_DEP_2)
	v_mul_f32_e32 v10, v28, v10
	v_mul_f32_e32 v3, v28, v3
	v_bfe_u32 v15, v10, 16, 1
	s_delay_alu instid0(VALU_DEP_2) | instskip(NEXT) | instid1(VALU_DEP_2)
	v_bfe_u32 v14, v3, 16, 1
	v_add3_u32 v15, v10, v15, 0x7fff
	s_delay_alu instid0(VALU_DEP_2) | instskip(SKIP_2) | instid1(VALU_DEP_1)
	v_add3_u32 v14, v3, v14, 0x7fff
	s_waitcnt vmcnt(0)
	v_div_scale_f32 v16, null, v2, v2, 1.0
	v_rcp_f32_e32 v18, v16
	v_and_b32_e32 v9, 0xffff0000, v9
	v_lshlrev_b32_e32 v12, 16, v7
	v_alignbit_b32 v7, v8, v7, 16
	v_and_b32_e32 v8, 0xffff0000, v8
	v_and_b32_e32 v13, 0xffff0000, v13
	s_delay_alu instid0(VALU_DEP_1) | instskip(SKIP_2) | instid1(VALU_DEP_2)
	v_cndmask_b32_e32 v11, 0x7fc00000, v13, vcc_lo
	v_and_b32_e32 v14, 0xffff0000, v14
	v_cmp_o_f32_e32 vcc_lo, v3, v3
	v_cndmask_b32_e32 v3, 0x7fc00000, v14, vcc_lo
	v_fma_f32 v14, -v16, v18, 1.0
	v_cmp_o_f32_e32 vcc_lo, v10, v10
	s_delay_alu instid0(VALU_DEP_2) | instskip(SKIP_3) | instid1(VALU_DEP_3)
	v_dual_mul_f32 v3, v3, v4 :: v_dual_fmac_f32 v18, v14, v18
	v_mul_f32_e32 v9, v28, v9
	v_and_b32_e32 v15, 0xffff0000, v15
	v_mul_f32_e32 v11, v11, v12
	v_bfe_u32 v17, v9, 16, 1
	s_delay_alu instid0(VALU_DEP_3) | instskip(SKIP_2) | instid1(VALU_DEP_4)
	v_cndmask_b32_e32 v10, 0x7fc00000, v15, vcc_lo
	v_div_scale_f32 v15, vcc_lo, 1.0, v2, 1.0
	v_and_b32_e32 v7, 0xffff0000, v7
	v_add3_u32 v17, v9, v17, 0x7fff
	v_cmp_o_f32_e64 s0, v9, v9
	s_delay_alu instid0(VALU_DEP_4) | instskip(SKIP_3) | instid1(VALU_DEP_4)
	v_mul_f32_e32 v4, v15, v18
	v_mul_f32_e32 v8, v10, v8
	v_bfe_u32 v10, v3, 16, 1
	v_and_b32_e32 v13, 0xffff0000, v17
	v_fma_f32 v12, -v16, v4, v15
	s_delay_alu instid0(VALU_DEP_3) | instskip(NEXT) | instid1(VALU_DEP_3)
	v_add3_u32 v10, v3, v10, 0x7fff
	v_cndmask_b32_e64 v9, 0x7fc00000, v13, s0
	v_bfe_u32 v13, v8, 16, 1
	s_delay_alu instid0(VALU_DEP_4) | instskip(NEXT) | instid1(VALU_DEP_4)
	v_fmac_f32_e32 v4, v12, v18
	v_and_b32_e32 v10, 0xffff0000, v10
	s_delay_alu instid0(VALU_DEP_3) | instskip(SKIP_2) | instid1(VALU_DEP_3)
	v_add3_u32 v12, v8, v13, 0x7fff
	v_mul_f32_e32 v7, v9, v7
	v_bfe_u32 v9, v11, 16, 1
	v_and_b32_e32 v12, 0xffff0000, v12
	s_delay_alu instid0(VALU_DEP_3) | instskip(NEXT) | instid1(VALU_DEP_3)
	v_bfe_u32 v14, v7, 16, 1
	v_add3_u32 v9, v11, v9, 0x7fff
	s_delay_alu instid0(VALU_DEP_2) | instskip(SKIP_1) | instid1(VALU_DEP_3)
	v_add3_u32 v13, v7, v14, 0x7fff
	v_fma_f32 v14, -v16, v4, v15
	v_and_b32_e32 v9, 0xffff0000, v9
	s_delay_alu instid0(VALU_DEP_3) | instskip(NEXT) | instid1(VALU_DEP_3)
	v_and_b32_e32 v13, 0xffff0000, v13
	v_div_fmas_f32 v4, v14, v18, v4
	v_cmp_o_f32_e32 vcc_lo, v11, v11
	s_delay_alu instid0(VALU_DEP_2) | instskip(SKIP_4) | instid1(VALU_DEP_2)
	v_div_fixup_f32 v2, v4, v2, 1.0
	v_cndmask_b32_e32 v9, 0x7fc00000, v9, vcc_lo
	v_cmp_o_f32_e32 vcc_lo, v7, v7
	v_cndmask_b32_e32 v7, 0x7fc00000, v13, vcc_lo
	v_cmp_o_f32_e32 vcc_lo, v3, v3
	v_mul_f32_e32 v7, v2, v7
	v_cndmask_b32_e32 v3, 0x7fc00000, v10, vcc_lo
	v_cmp_o_f32_e32 vcc_lo, v8, v8
	v_mul_f32_e32 v8, v2, v9
	s_delay_alu instid0(VALU_DEP_3) | instskip(NEXT) | instid1(VALU_DEP_1)
	v_dual_mul_f32 v3, v2, v3 :: v_dual_cndmask_b32 v4, 0x7fc00000, v12
	v_mul_f32_e32 v2, v2, v4
	v_rndne_f32_e32 v4, v7
	s_delay_alu instid0(VALU_DEP_4) | instskip(NEXT) | instid1(VALU_DEP_3)
	v_rndne_f32_e32 v7, v8
	v_rndne_f32_e32 v2, v2
	s_delay_alu instid0(VALU_DEP_3) | instskip(SKIP_4) | instid1(VALU_DEP_3)
	v_cmp_nlt_f32_e32 vcc_lo, 0x42fe0000, v4
	v_cndmask_b32_e32 v8, 0x42fe0000, v4, vcc_lo
	v_rndne_f32_e32 v3, v3
	v_cmp_nlt_f32_e32 vcc_lo, 0x42fe0000, v7
	v_cndmask_b32_e32 v9, 0x42fe0000, v7, vcc_lo
	v_cmp_nlt_f32_e32 vcc_lo, 0x42fe0000, v3
	v_cndmask_b32_e32 v10, 0x42fe0000, v3, vcc_lo
	v_cmp_ngt_f32_e32 vcc_lo, 0xc3000000, v4
	v_cndmask_b32_e32 v4, 0xc3000000, v8, vcc_lo
	v_cmp_nlt_f32_e32 vcc_lo, 0x42fe0000, v2
	s_delay_alu instid0(VALU_DEP_2) | instskip(SKIP_2) | instid1(VALU_DEP_3)
	v_cvt_i32_f32_e32 v4, v4
	v_cndmask_b32_e32 v8, 0x42fe0000, v2, vcc_lo
	v_cmp_ngt_f32_e32 vcc_lo, 0xc3000000, v3
	v_and_b32_e32 v4, 0xff, v4
	v_cndmask_b32_e32 v3, 0xc3000000, v10, vcc_lo
	v_cmp_ngt_f32_e32 vcc_lo, 0xc3000000, v7
	s_delay_alu instid0(VALU_DEP_2) | instskip(SKIP_3) | instid1(VALU_DEP_3)
	v_cvt_i32_f32_e32 v3, v3
	v_cndmask_b32_e32 v7, 0xc3000000, v9, vcc_lo
	v_lshlrev_b32_e32 v9, 16, v4
	v_cmp_ngt_f32_e32 vcc_lo, 0xc3000000, v2
	v_cvt_i32_f32_e32 v7, v7
	v_cndmask_b32_e32 v2, 0xc3000000, v8, vcc_lo
	v_and_b32_e32 v8, 0xff, v3
	v_lshlrev_b64 v[3:4], 2, v[0:1]
	s_delay_alu instid0(VALU_DEP_4) | instskip(NEXT) | instid1(VALU_DEP_4)
	v_and_b32_e32 v7, 0xff, v7
	v_cvt_i32_f32_e32 v2, v2
	s_delay_alu instid0(VALU_DEP_4) | instskip(NEXT) | instid1(VALU_DEP_4)
	v_lshlrev_b32_e32 v8, 8, v8
	v_add_co_u32 v3, vcc_lo, s1, v3
	s_delay_alu instid0(VALU_DEP_3) | instskip(SKIP_2) | instid1(VALU_DEP_3)
	v_lshl_or_b32 v9, v2, 24, v9
	v_add_nc_u32_e32 v2, s28, v0
	v_add_co_ci_u32_e32 v4, vcc_lo, s4, v4, vcc_lo
	v_or3_b32 v7, v9, v8, v7
	global_store_b32 v[3:4], v7, off
	v_cmpx_gt_u32_e64 s14, v2
	s_cbranch_execz .LBB86_60
; %bb.62:                               ;   in Loop: Header=BB86_61 Depth=1
	v_bfe_u32 v15, v2, 4, 26
	s_mov_b32 s13, exec_lo
	s_delay_alu instid0(VALU_DEP_1) | instskip(NEXT) | instid1(VALU_DEP_1)
	v_mad_u64_u32 v[7:8], null, v5, v15, 0
	v_dual_mov_b32 v3, v1 :: v_dual_mov_b32 v4, v8
	s_delay_alu instid0(VALU_DEP_1) | instskip(NEXT) | instid1(VALU_DEP_2)
	v_lshlrev_b64 v[9:10], 3, v[2:3]
	v_mad_u64_u32 v[13:14], null, v6, v15, v[4:5]
	s_delay_alu instid0(VALU_DEP_2) | instskip(NEXT) | instid1(VALU_DEP_3)
	v_add_co_u32 v11, vcc_lo, s26, v9
	v_add_co_ci_u32_e32 v12, vcc_lo, s27, v10, vcc_lo
	v_add_co_u32 v9, vcc_lo, s10, v9
	v_add_co_ci_u32_e32 v10, vcc_lo, s11, v10, vcc_lo
	global_load_b64 v[11:12], v[11:12], off
	v_mov_b32_e32 v8, v13
	global_load_b64 v[9:10], v[9:10], off
	v_lshlrev_b64 v[7:8], 2, v[7:8]
	s_delay_alu instid0(VALU_DEP_1) | instskip(NEXT) | instid1(VALU_DEP_2)
	v_add_co_u32 v7, vcc_lo, s5, v7
	v_add_co_ci_u32_e32 v8, vcc_lo, s6, v8, vcc_lo
	global_load_b32 v4, v[7:8], off
	s_waitcnt vmcnt(2)
	v_and_b32_e32 v7, 0xffff0000, v11
	v_lshlrev_b32_e32 v13, 16, v11
	v_alignbit_b32 v11, v12, v11, 16
	v_and_b32_e32 v12, 0xffff0000, v12
	s_waitcnt vmcnt(1)
	v_dual_mul_f32 v7, v28, v7 :: v_dual_and_b32 v8, 0xffff0000, v9
	s_delay_alu instid0(VALU_DEP_2) | instskip(SKIP_1) | instid1(VALU_DEP_3)
	v_mul_f32_e32 v12, v28, v12
	v_mul_f32_e32 v13, v28, v13
	v_bfe_u32 v16, v7, 16, 1
	s_delay_alu instid0(VALU_DEP_3) | instskip(NEXT) | instid1(VALU_DEP_3)
	v_bfe_u32 v17, v12, 16, 1
	v_bfe_u32 v15, v13, 16, 1
	s_delay_alu instid0(VALU_DEP_3) | instskip(SKIP_1) | instid1(VALU_DEP_4)
	v_add3_u32 v16, v7, v16, 0x7fff
	v_cmp_o_f32_e32 vcc_lo, v13, v13
	v_add3_u32 v17, v12, v17, 0x7fff
	s_waitcnt vmcnt(0)
	v_div_scale_f32 v18, null, v4, v4, 1.0
	v_add3_u32 v15, v13, v15, 0x7fff
	s_delay_alu instid0(VALU_DEP_2) | instskip(NEXT) | instid1(VALU_DEP_1)
	v_rcp_f32_e32 v20, v18
	v_and_b32_e32 v15, 0xffff0000, v15
	s_delay_alu instid0(VALU_DEP_1) | instskip(SKIP_2) | instid1(VALU_DEP_2)
	v_cndmask_b32_e32 v13, 0x7fc00000, v15, vcc_lo
	v_and_b32_e32 v16, 0xffff0000, v16
	v_cmp_o_f32_e32 vcc_lo, v7, v7
	v_cndmask_b32_e32 v7, 0x7fc00000, v16, vcc_lo
	s_waitcnt_depctr 0xfff
	v_fma_f32 v16, -v18, v20, 1.0
	v_and_b32_e32 v11, 0xffff0000, v11
	v_cmp_o_f32_e32 vcc_lo, v12, v12
	v_mul_f32_e32 v7, v7, v8
	s_delay_alu instid0(VALU_DEP_4) | instskip(NEXT) | instid1(VALU_DEP_4)
	v_fmac_f32_e32 v20, v16, v20
	v_dual_mul_f32 v11, v28, v11 :: v_dual_lshlrev_b32 v14, 16, v9
	v_and_b32_e32 v17, 0xffff0000, v17
	v_alignbit_b32 v9, v10, v9, 16
	v_and_b32_e32 v10, 0xffff0000, v10
	s_delay_alu instid0(VALU_DEP_4) | instskip(SKIP_4) | instid1(VALU_DEP_4)
	v_mul_f32_e32 v13, v13, v14
	v_bfe_u32 v19, v11, 16, 1
	v_cndmask_b32_e32 v12, 0x7fc00000, v17, vcc_lo
	v_div_scale_f32 v17, vcc_lo, 1.0, v4, 1.0
	v_cmp_o_f32_e64 s0, v11, v11
	v_add3_u32 v19, v11, v19, 0x7fff
	s_delay_alu instid0(VALU_DEP_3) | instskip(SKIP_2) | instid1(VALU_DEP_4)
	v_dual_mul_f32 v8, v17, v20 :: v_dual_and_b32 v9, 0xffff0000, v9
	v_mul_f32_e32 v10, v12, v10
	v_bfe_u32 v12, v7, 16, 1
	v_and_b32_e32 v15, 0xffff0000, v19
	s_delay_alu instid0(VALU_DEP_4) | instskip(NEXT) | instid1(VALU_DEP_3)
	v_fma_f32 v14, -v18, v8, v17
	v_add3_u32 v12, v7, v12, 0x7fff
	s_delay_alu instid0(VALU_DEP_3) | instskip(SKIP_1) | instid1(VALU_DEP_4)
	v_cndmask_b32_e64 v11, 0x7fc00000, v15, s0
	v_bfe_u32 v15, v10, 16, 1
	v_fmac_f32_e32 v8, v14, v20
	s_mov_b32 s0, -1
	s_delay_alu instid0(VALU_DEP_3) | instskip(SKIP_2) | instid1(VALU_DEP_3)
	v_dual_mul_f32 v9, v11, v9 :: v_dual_and_b32 v12, 0xffff0000, v12
	v_bfe_u32 v11, v13, 16, 1
	v_add3_u32 v14, v10, v15, 0x7fff
	v_bfe_u32 v16, v9, 16, 1
	s_delay_alu instid0(VALU_DEP_3) | instskip(NEXT) | instid1(VALU_DEP_2)
	v_add3_u32 v11, v13, v11, 0x7fff
	v_add3_u32 v15, v9, v16, 0x7fff
	v_fma_f32 v16, -v18, v8, v17
	s_delay_alu instid0(VALU_DEP_3) | instskip(NEXT) | instid1(VALU_DEP_3)
	v_and_b32_e32 v11, 0xffff0000, v11
	v_and_b32_e32 v15, 0xffff0000, v15
	s_delay_alu instid0(VALU_DEP_3) | instskip(SKIP_1) | instid1(VALU_DEP_2)
	v_div_fmas_f32 v8, v16, v20, v8
	v_cmp_o_f32_e32 vcc_lo, v13, v13
	v_div_fixup_f32 v4, v8, v4, 1.0
	v_cndmask_b32_e32 v11, 0x7fc00000, v11, vcc_lo
	v_cmp_o_f32_e32 vcc_lo, v9, v9
	v_cndmask_b32_e32 v9, 0x7fc00000, v15, vcc_lo
	v_cmp_o_f32_e32 vcc_lo, v7, v7
	s_delay_alu instid0(VALU_DEP_2) | instskip(SKIP_3) | instid1(VALU_DEP_3)
	v_dual_mul_f32 v9, v4, v9 :: v_dual_and_b32 v14, 0xffff0000, v14
	v_cndmask_b32_e32 v7, 0x7fc00000, v12, vcc_lo
	v_cmp_o_f32_e32 vcc_lo, v10, v10
	v_mul_f32_e32 v10, v4, v11
	v_dual_mul_f32 v7, v4, v7 :: v_dual_cndmask_b32 v8, 0x7fc00000, v14
	s_delay_alu instid0(VALU_DEP_1) | instskip(NEXT) | instid1(VALU_DEP_2)
	v_rndne_f32_e32 v7, v7
	v_mul_f32_e32 v4, v4, v8
	v_rndne_f32_e32 v8, v9
	v_rndne_f32_e32 v9, v10
	s_delay_alu instid0(VALU_DEP_3) | instskip(NEXT) | instid1(VALU_DEP_3)
	v_rndne_f32_e32 v4, v4
	v_cmp_nlt_f32_e32 vcc_lo, 0x42fe0000, v8
	v_cndmask_b32_e32 v10, 0x42fe0000, v8, vcc_lo
	s_delay_alu instid0(VALU_DEP_4)
	v_cmp_nlt_f32_e32 vcc_lo, 0x42fe0000, v9
	v_cndmask_b32_e32 v11, 0x42fe0000, v9, vcc_lo
	v_cmp_nlt_f32_e32 vcc_lo, 0x42fe0000, v7
	v_cndmask_b32_e32 v12, 0x42fe0000, v7, vcc_lo
	v_cmp_ngt_f32_e32 vcc_lo, 0xc3000000, v8
	v_cndmask_b32_e32 v8, 0xc3000000, v10, vcc_lo
	v_cmp_nlt_f32_e32 vcc_lo, 0x42fe0000, v4
	s_delay_alu instid0(VALU_DEP_2) | instskip(SKIP_2) | instid1(VALU_DEP_3)
	v_cvt_i32_f32_e32 v8, v8
	v_cndmask_b32_e32 v10, 0x42fe0000, v4, vcc_lo
	v_cmp_ngt_f32_e32 vcc_lo, 0xc3000000, v7
	v_and_b32_e32 v8, 0xff, v8
	v_cndmask_b32_e32 v7, 0xc3000000, v12, vcc_lo
	v_cmp_ngt_f32_e32 vcc_lo, 0xc3000000, v9
	s_delay_alu instid0(VALU_DEP_2) | instskip(SKIP_3) | instid1(VALU_DEP_3)
	v_cvt_i32_f32_e32 v7, v7
	v_cndmask_b32_e32 v9, 0xc3000000, v11, vcc_lo
	v_lshlrev_b32_e32 v11, 16, v8
	v_cmp_ngt_f32_e32 vcc_lo, 0xc3000000, v4
	v_cvt_i32_f32_e32 v9, v9
	v_cndmask_b32_e32 v4, 0xc3000000, v10, vcc_lo
	v_and_b32_e32 v10, 0xff, v7
	v_lshlrev_b64 v[7:8], 2, v[2:3]
	s_delay_alu instid0(VALU_DEP_4) | instskip(SKIP_4) | instid1(VALU_DEP_3)
	v_and_b32_e32 v9, 0xff, v9
	v_add_nc_u32_e32 v3, s3, v0
	v_cvt_i32_f32_e32 v4, v4
	v_lshlrev_b32_e32 v10, 8, v10
	v_add_co_u32 v7, vcc_lo, s1, v7
	v_lshl_or_b32 v4, v4, 24, v11
	v_add_co_ci_u32_e32 v8, vcc_lo, s4, v8, vcc_lo
	s_delay_alu instid0(VALU_DEP_2)
	v_or3_b32 v4, v4, v10, v9
	global_store_b32 v[7:8], v4, off
	v_cmpx_gt_u32_e64 s14, v3
	s_cbranch_execz .LBB86_59
; %bb.63:                               ;   in Loop: Header=BB86_61 Depth=1
	v_mov_b32_e32 v4, v1
	v_bfe_u32 v15, v3, 4, 26
	v_add_nc_u32_e32 v0, s2, v0
	s_mov_b32 s15, exec_lo
	s_delay_alu instid0(VALU_DEP_3) | instskip(NEXT) | instid1(VALU_DEP_3)
	v_lshlrev_b64 v[9:10], 3, v[3:4]
	v_mad_u64_u32 v[7:8], null, v5, v15, 0
	s_delay_alu instid0(VALU_DEP_2) | instskip(NEXT) | instid1(VALU_DEP_3)
	v_add_co_u32 v11, vcc_lo, s26, v9
	v_add_co_ci_u32_e32 v12, vcc_lo, s27, v10, vcc_lo
	s_delay_alu instid0(VALU_DEP_3)
	v_mad_u64_u32 v[13:14], null, v6, v15, v[8:9]
	v_add_co_u32 v9, vcc_lo, s10, v9
	v_add_co_ci_u32_e32 v10, vcc_lo, s11, v10, vcc_lo
	global_load_b64 v[11:12], v[11:12], off
	global_load_b64 v[9:10], v[9:10], off
	v_mov_b32_e32 v8, v13
	s_waitcnt vmcnt(1)
	v_lshlrev_b32_e32 v14, 16, v11
	s_waitcnt vmcnt(0)
	v_lshlrev_b32_e32 v15, 16, v9
	v_lshlrev_b64 v[7:8], 2, v[7:8]
	v_and_b32_e32 v13, 0xffff0000, v9
	v_alignbit_b32 v9, v10, v9, 16
	v_lshlrev_b64 v[3:4], 2, v[3:4]
	s_delay_alu instid0(VALU_DEP_4) | instskip(SKIP_1) | instid1(VALU_DEP_4)
	v_add_co_u32 v7, vcc_lo, s5, v7
	v_add_co_ci_u32_e32 v8, vcc_lo, s6, v8, vcc_lo
	v_and_b32_e32 v9, 0xffff0000, v9
	global_load_b32 v7, v[7:8], off
	s_waitcnt vmcnt(0)
	v_div_scale_f32 v19, null, v7, v7, 1.0
	s_delay_alu instid0(VALU_DEP_1) | instskip(SKIP_3) | instid1(VALU_DEP_2)
	v_rcp_f32_e32 v21, v19
	v_and_b32_e32 v8, 0xffff0000, v11
	v_alignbit_b32 v11, v12, v11, 16
	v_mul_f32_e32 v14, v28, v14
	v_dual_mul_f32 v8, v28, v8 :: v_dual_and_b32 v11, 0xffff0000, v11
	v_and_b32_e32 v12, 0xffff0000, v12
	s_delay_alu instid0(VALU_DEP_3) | instskip(SKIP_1) | instid1(VALU_DEP_4)
	v_bfe_u32 v16, v14, 16, 1
	v_cmp_o_f32_e32 vcc_lo, v14, v14
	v_bfe_u32 v17, v8, 16, 1
	v_mul_f32_e32 v11, v28, v11
	s_delay_alu instid0(VALU_DEP_4) | instskip(NEXT) | instid1(VALU_DEP_3)
	v_add3_u32 v16, v14, v16, 0x7fff
	v_add3_u32 v17, v8, v17, 0x7fff
	v_mul_f32_e32 v12, v28, v12
	s_delay_alu instid0(VALU_DEP_4) | instskip(NEXT) | instid1(VALU_DEP_4)
	v_bfe_u32 v20, v11, 16, 1
	v_and_b32_e32 v16, 0xffff0000, v16
	v_cmp_o_f32_e64 s0, v11, v11
	v_and_b32_e32 v17, 0xffff0000, v17
	v_bfe_u32 v18, v12, 16, 1
	v_add3_u32 v20, v11, v20, 0x7fff
	v_cndmask_b32_e32 v14, 0x7fc00000, v16, vcc_lo
	v_cmp_o_f32_e32 vcc_lo, v8, v8
	s_delay_alu instid0(VALU_DEP_4) | instskip(NEXT) | instid1(VALU_DEP_4)
	v_add3_u32 v18, v12, v18, 0x7fff
	v_and_b32_e32 v16, 0xffff0000, v20
	s_delay_alu instid0(VALU_DEP_4)
	v_mul_f32_e32 v14, v14, v15
	v_cndmask_b32_e32 v8, 0x7fc00000, v17, vcc_lo
	v_fma_f32 v17, -v19, v21, 1.0
	v_and_b32_e32 v18, 0xffff0000, v18
	v_cmp_o_f32_e32 vcc_lo, v12, v12
	v_cndmask_b32_e64 v11, 0x7fc00000, v16, s0
	s_delay_alu instid0(VALU_DEP_4)
	v_dual_fmac_f32 v21, v17, v21 :: v_dual_and_b32 v10, 0xffff0000, v10
	s_mov_b32 s0, -1
	v_cndmask_b32_e32 v12, 0x7fc00000, v18, vcc_lo
	v_div_scale_f32 v18, vcc_lo, 1.0, v7, 1.0
	v_mul_f32_e32 v9, v11, v9
	v_bfe_u32 v11, v14, 16, 1
	s_delay_alu instid0(VALU_DEP_4) | instskip(NEXT) | instid1(VALU_DEP_3)
	v_mul_f32_e32 v10, v12, v10
	v_bfe_u32 v17, v9, 16, 1
	s_delay_alu instid0(VALU_DEP_3) | instskip(SKIP_3) | instid1(VALU_DEP_4)
	v_add3_u32 v11, v14, v11, 0x7fff
	v_mul_f32_e32 v8, v8, v13
	v_mul_f32_e32 v13, v18, v21
	v_bfe_u32 v16, v10, 16, 1
	v_and_b32_e32 v11, 0xffff0000, v11
	s_delay_alu instid0(VALU_DEP_4) | instskip(NEXT) | instid1(VALU_DEP_4)
	v_bfe_u32 v12, v8, 16, 1
	v_fma_f32 v15, -v19, v13, v18
	s_delay_alu instid0(VALU_DEP_2) | instskip(NEXT) | instid1(VALU_DEP_2)
	v_add3_u32 v12, v8, v12, 0x7fff
	v_fmac_f32_e32 v13, v15, v21
	v_add3_u32 v15, v10, v16, 0x7fff
	v_add3_u32 v16, v9, v17, 0x7fff
	s_delay_alu instid0(VALU_DEP_4) | instskip(NEXT) | instid1(VALU_DEP_4)
	v_and_b32_e32 v12, 0xffff0000, v12
	v_fma_f32 v17, -v19, v13, v18
	s_delay_alu instid0(VALU_DEP_4) | instskip(NEXT) | instid1(VALU_DEP_4)
	v_and_b32_e32 v15, 0xffff0000, v15
	v_and_b32_e32 v16, 0xffff0000, v16
	s_delay_alu instid0(VALU_DEP_3) | instskip(SKIP_1) | instid1(VALU_DEP_2)
	v_div_fmas_f32 v13, v17, v21, v13
	v_cmp_o_f32_e32 vcc_lo, v14, v14
	v_div_fixup_f32 v7, v13, v7, 1.0
	v_cndmask_b32_e32 v11, 0x7fc00000, v11, vcc_lo
	v_cmp_o_f32_e32 vcc_lo, v9, v9
	v_cndmask_b32_e32 v9, 0x7fc00000, v16, vcc_lo
	v_cmp_o_f32_e32 vcc_lo, v8, v8
	s_delay_alu instid0(VALU_DEP_2) | instskip(SKIP_1) | instid1(VALU_DEP_2)
	v_dual_mul_f32 v9, v7, v9 :: v_dual_cndmask_b32 v8, 0x7fc00000, v12
	v_cmp_o_f32_e32 vcc_lo, v10, v10
	v_rndne_f32_e32 v9, v9
	s_delay_alu instid0(VALU_DEP_3) | instskip(SKIP_2) | instid1(VALU_DEP_4)
	v_mul_f32_e32 v8, v7, v8
	v_cndmask_b32_e32 v10, 0x7fc00000, v15, vcc_lo
	v_mul_f32_e32 v11, v7, v11
	v_cmp_nlt_f32_e32 vcc_lo, 0x42fe0000, v9
	s_delay_alu instid0(VALU_DEP_4) | instskip(NEXT) | instid1(VALU_DEP_4)
	v_rndne_f32_e32 v8, v8
	v_mul_f32_e32 v7, v7, v10
	s_delay_alu instid0(VALU_DEP_4) | instskip(SKIP_1) | instid1(VALU_DEP_3)
	v_rndne_f32_e32 v10, v11
	v_cndmask_b32_e32 v11, 0x42fe0000, v9, vcc_lo
	v_rndne_f32_e32 v7, v7
	s_delay_alu instid0(VALU_DEP_3)
	v_cmp_nlt_f32_e32 vcc_lo, 0x42fe0000, v10
	v_cndmask_b32_e32 v12, 0x42fe0000, v10, vcc_lo
	v_cmp_nlt_f32_e32 vcc_lo, 0x42fe0000, v8
	v_cndmask_b32_e32 v13, 0x42fe0000, v8, vcc_lo
	v_cmp_ngt_f32_e32 vcc_lo, 0xc3000000, v9
	v_cndmask_b32_e32 v9, 0xc3000000, v11, vcc_lo
	v_cmp_nlt_f32_e32 vcc_lo, 0x42fe0000, v7
	s_delay_alu instid0(VALU_DEP_2) | instskip(SKIP_2) | instid1(VALU_DEP_3)
	v_cvt_i32_f32_e32 v9, v9
	v_cndmask_b32_e32 v11, 0x42fe0000, v7, vcc_lo
	v_cmp_ngt_f32_e32 vcc_lo, 0xc3000000, v8
	v_and_b32_e32 v9, 0xff, v9
	v_cndmask_b32_e32 v8, 0xc3000000, v13, vcc_lo
	v_cmp_ngt_f32_e32 vcc_lo, 0xc3000000, v10
	s_delay_alu instid0(VALU_DEP_3) | instskip(NEXT) | instid1(VALU_DEP_3)
	v_lshlrev_b32_e32 v9, 16, v9
	v_cvt_i32_f32_e32 v8, v8
	v_cndmask_b32_e32 v10, 0xc3000000, v12, vcc_lo
	v_cmp_ngt_f32_e32 vcc_lo, 0xc3000000, v7
	s_delay_alu instid0(VALU_DEP_3) | instskip(NEXT) | instid1(VALU_DEP_3)
	v_and_b32_e32 v8, 0xff, v8
	v_cvt_i32_f32_e32 v10, v10
	v_cndmask_b32_e32 v7, 0xc3000000, v11, vcc_lo
	v_add_co_u32 v3, vcc_lo, s1, v3
	s_delay_alu instid0(VALU_DEP_4) | instskip(NEXT) | instid1(VALU_DEP_4)
	v_lshlrev_b32_e32 v8, 8, v8
	v_and_b32_e32 v10, 0xff, v10
	s_delay_alu instid0(VALU_DEP_4) | instskip(SKIP_1) | instid1(VALU_DEP_2)
	v_cvt_i32_f32_e32 v7, v7
	v_add_co_ci_u32_e32 v4, vcc_lo, s4, v4, vcc_lo
	v_lshl_or_b32 v7, v7, 24, v9
	s_delay_alu instid0(VALU_DEP_1)
	v_or3_b32 v7, v7, v8, v10
	global_store_b32 v[3:4], v7, off
	v_cmpx_gt_u32_e64 s14, v0
	s_cbranch_execz .LBB86_58
; %bb.64:                               ;   in Loop: Header=BB86_61 Depth=1
	v_lshlrev_b64 v[7:8], 3, v[0:1]
	v_bfe_u32 v13, v0, 4, 26
	s_delay_alu instid0(VALU_DEP_1) | instskip(NEXT) | instid1(VALU_DEP_3)
	v_mad_u64_u32 v[3:4], null, v5, v13, 0
	v_add_co_u32 v9, vcc_lo, s26, v7
	s_delay_alu instid0(VALU_DEP_4)
	v_add_co_ci_u32_e32 v10, vcc_lo, s27, v8, vcc_lo
	v_add_co_u32 v7, vcc_lo, s10, v7
	v_add_co_ci_u32_e32 v8, vcc_lo, s11, v8, vcc_lo
	v_mad_u64_u32 v[11:12], null, v6, v13, v[4:5]
	global_load_b64 v[9:10], v[9:10], off
	global_load_b64 v[7:8], v[7:8], off
	v_mov_b32_e32 v4, v11
	s_waitcnt vmcnt(1)
	v_lshlrev_b32_e32 v12, 16, v9
	s_waitcnt vmcnt(0)
	v_and_b32_e32 v11, 0xffff0000, v7
	v_lshlrev_b64 v[3:4], 2, v[3:4]
	v_lshlrev_b32_e32 v13, 16, v7
	v_alignbit_b32 v7, v8, v7, 16
	v_mul_f32_e32 v12, v28, v12
	s_delay_alu instid0(VALU_DEP_4) | instskip(SKIP_1) | instid1(VALU_DEP_3)
	v_add_co_u32 v3, vcc_lo, s5, v3
	v_add_co_ci_u32_e32 v4, vcc_lo, s6, v4, vcc_lo
	v_bfe_u32 v14, v12, 16, 1
	v_cmp_o_f32_e32 vcc_lo, v12, v12
	v_and_b32_e32 v7, 0xffff0000, v7
	global_load_b32 v3, v[3:4], off
	v_add3_u32 v14, v12, v14, 0x7fff
	s_delay_alu instid0(VALU_DEP_1) | instskip(NEXT) | instid1(VALU_DEP_1)
	v_and_b32_e32 v14, 0xffff0000, v14
	v_cndmask_b32_e32 v12, 0x7fc00000, v14, vcc_lo
	s_delay_alu instid0(VALU_DEP_1) | instskip(SKIP_2) | instid1(VALU_DEP_1)
	v_mul_f32_e32 v12, v12, v13
	s_waitcnt vmcnt(0)
	v_div_scale_f32 v17, null, v3, v3, 1.0
	v_rcp_f32_e32 v19, v17
	v_and_b32_e32 v4, 0xffff0000, v9
	v_alignbit_b32 v9, v10, v9, 16
	s_delay_alu instid0(VALU_DEP_1) | instskip(SKIP_1) | instid1(VALU_DEP_2)
	v_dual_mul_f32 v4, v28, v4 :: v_dual_and_b32 v9, 0xffff0000, v9
	v_and_b32_e32 v10, 0xffff0000, v10
	v_bfe_u32 v15, v4, 16, 1
	s_delay_alu instid0(VALU_DEP_3) | instskip(NEXT) | instid1(VALU_DEP_3)
	v_mul_f32_e32 v9, v28, v9
	v_mul_f32_e32 v10, v28, v10
	v_cmp_o_f32_e32 vcc_lo, v4, v4
	s_delay_alu instid0(VALU_DEP_4) | instskip(NEXT) | instid1(VALU_DEP_4)
	v_add3_u32 v15, v4, v15, 0x7fff
	v_bfe_u32 v18, v9, 16, 1
	s_delay_alu instid0(VALU_DEP_4) | instskip(SKIP_1) | instid1(VALU_DEP_4)
	v_bfe_u32 v16, v10, 16, 1
	v_cmp_o_f32_e64 s0, v9, v9
	v_and_b32_e32 v15, 0xffff0000, v15
	s_delay_alu instid0(VALU_DEP_4) | instskip(NEXT) | instid1(VALU_DEP_4)
	v_add3_u32 v18, v9, v18, 0x7fff
	v_add3_u32 v16, v10, v16, 0x7fff
	s_delay_alu instid0(VALU_DEP_3) | instskip(NEXT) | instid1(VALU_DEP_3)
	v_cndmask_b32_e32 v4, 0x7fc00000, v15, vcc_lo
	v_and_b32_e32 v14, 0xffff0000, v18
	s_delay_alu instid0(VALU_DEP_3) | instskip(SKIP_2) | instid1(VALU_DEP_4)
	v_and_b32_e32 v16, 0xffff0000, v16
	v_fma_f32 v15, -v17, v19, 1.0
	v_cmp_o_f32_e32 vcc_lo, v10, v10
	v_cndmask_b32_e64 v9, 0x7fc00000, v14, s0
	s_delay_alu instid0(VALU_DEP_3) | instskip(SKIP_2) | instid1(VALU_DEP_4)
	v_dual_fmac_f32 v19, v15, v19 :: v_dual_and_b32 v8, 0xffff0000, v8
	v_cndmask_b32_e32 v10, 0x7fc00000, v16, vcc_lo
	v_div_scale_f32 v16, vcc_lo, 1.0, v3, 1.0
	v_mul_f32_e32 v7, v9, v7
	v_bfe_u32 v9, v12, 16, 1
	s_delay_alu instid0(VALU_DEP_4) | instskip(NEXT) | instid1(VALU_DEP_3)
	v_mul_f32_e32 v8, v10, v8
	v_bfe_u32 v15, v7, 16, 1
	s_delay_alu instid0(VALU_DEP_3) | instskip(SKIP_3) | instid1(VALU_DEP_4)
	v_add3_u32 v9, v12, v9, 0x7fff
	v_mul_f32_e32 v4, v4, v11
	v_mul_f32_e32 v11, v16, v19
	v_bfe_u32 v14, v8, 16, 1
	v_and_b32_e32 v9, 0xffff0000, v9
	s_delay_alu instid0(VALU_DEP_4) | instskip(NEXT) | instid1(VALU_DEP_4)
	v_bfe_u32 v10, v4, 16, 1
	v_fma_f32 v13, -v17, v11, v16
	s_delay_alu instid0(VALU_DEP_2) | instskip(NEXT) | instid1(VALU_DEP_2)
	v_add3_u32 v10, v4, v10, 0x7fff
	v_fmac_f32_e32 v11, v13, v19
	v_add3_u32 v13, v8, v14, 0x7fff
	v_add3_u32 v14, v7, v15, 0x7fff
	s_delay_alu instid0(VALU_DEP_4) | instskip(NEXT) | instid1(VALU_DEP_4)
	v_and_b32_e32 v10, 0xffff0000, v10
	v_fma_f32 v15, -v17, v11, v16
	s_delay_alu instid0(VALU_DEP_4) | instskip(NEXT) | instid1(VALU_DEP_4)
	v_and_b32_e32 v13, 0xffff0000, v13
	v_and_b32_e32 v14, 0xffff0000, v14
	s_delay_alu instid0(VALU_DEP_3) | instskip(SKIP_1) | instid1(VALU_DEP_2)
	v_div_fmas_f32 v11, v15, v19, v11
	v_cmp_o_f32_e32 vcc_lo, v12, v12
	v_div_fixup_f32 v3, v11, v3, 1.0
	v_cndmask_b32_e32 v9, 0x7fc00000, v9, vcc_lo
	v_cmp_o_f32_e32 vcc_lo, v7, v7
	v_cndmask_b32_e32 v7, 0x7fc00000, v14, vcc_lo
	v_cmp_o_f32_e32 vcc_lo, v4, v4
	s_delay_alu instid0(VALU_DEP_2) | instskip(SKIP_1) | instid1(VALU_DEP_2)
	v_dual_mul_f32 v7, v3, v7 :: v_dual_cndmask_b32 v4, 0x7fc00000, v10
	v_cmp_o_f32_e32 vcc_lo, v8, v8
	v_rndne_f32_e32 v7, v7
	s_delay_alu instid0(VALU_DEP_3) | instskip(SKIP_2) | instid1(VALU_DEP_4)
	v_mul_f32_e32 v4, v3, v4
	v_cndmask_b32_e32 v8, 0x7fc00000, v13, vcc_lo
	v_mul_f32_e32 v9, v3, v9
	v_cmp_nlt_f32_e32 vcc_lo, 0x42fe0000, v7
	s_delay_alu instid0(VALU_DEP_4) | instskip(NEXT) | instid1(VALU_DEP_4)
	v_rndne_f32_e32 v4, v4
	v_mul_f32_e32 v3, v3, v8
	s_delay_alu instid0(VALU_DEP_4) | instskip(SKIP_1) | instid1(VALU_DEP_3)
	v_rndne_f32_e32 v8, v9
	v_cndmask_b32_e32 v9, 0x42fe0000, v7, vcc_lo
	v_rndne_f32_e32 v3, v3
	s_delay_alu instid0(VALU_DEP_3)
	v_cmp_nlt_f32_e32 vcc_lo, 0x42fe0000, v8
	v_cndmask_b32_e32 v10, 0x42fe0000, v8, vcc_lo
	v_cmp_nlt_f32_e32 vcc_lo, 0x42fe0000, v4
	v_cndmask_b32_e32 v11, 0x42fe0000, v4, vcc_lo
	v_cmp_ngt_f32_e32 vcc_lo, 0xc3000000, v7
	v_cndmask_b32_e32 v7, 0xc3000000, v9, vcc_lo
	v_cmp_nlt_f32_e32 vcc_lo, 0x42fe0000, v3
	s_delay_alu instid0(VALU_DEP_2) | instskip(SKIP_2) | instid1(VALU_DEP_3)
	v_cvt_i32_f32_e32 v7, v7
	v_cndmask_b32_e32 v9, 0x42fe0000, v3, vcc_lo
	v_cmp_ngt_f32_e32 vcc_lo, 0xc3000000, v4
	v_and_b32_e32 v7, 0xff, v7
	v_cndmask_b32_e32 v4, 0xc3000000, v11, vcc_lo
	v_cmp_ngt_f32_e32 vcc_lo, 0xc3000000, v8
	s_delay_alu instid0(VALU_DEP_3) | instskip(NEXT) | instid1(VALU_DEP_3)
	v_lshlrev_b32_e32 v7, 16, v7
	v_cvt_i32_f32_e32 v4, v4
	v_cndmask_b32_e32 v8, 0xc3000000, v10, vcc_lo
	v_cmp_ngt_f32_e32 vcc_lo, 0xc3000000, v3
	s_delay_alu instid0(VALU_DEP_3) | instskip(NEXT) | instid1(VALU_DEP_3)
	v_and_b32_e32 v10, 0xff, v4
	v_cvt_i32_f32_e32 v8, v8
	s_delay_alu instid0(VALU_DEP_2) | instskip(NEXT) | instid1(VALU_DEP_2)
	v_dual_cndmask_b32 v3, 0xc3000000, v9 :: v_dual_lshlrev_b32 v10, 8, v10
	v_and_b32_e32 v8, 0xff, v8
	s_delay_alu instid0(VALU_DEP_2) | instskip(SKIP_2) | instid1(VALU_DEP_3)
	v_cvt_i32_f32_e32 v9, v3
	v_lshlrev_b64 v[3:4], 2, v[0:1]
	v_add3_u32 v0, s8, s28, v2
	v_lshl_or_b32 v7, v9, 24, v7
	s_delay_alu instid0(VALU_DEP_3) | instskip(NEXT) | instid1(VALU_DEP_4)
	v_add_co_u32 v2, vcc_lo, s1, v3
	v_add_co_ci_u32_e32 v3, vcc_lo, s4, v4, vcc_lo
	s_delay_alu instid0(VALU_DEP_4) | instskip(NEXT) | instid1(VALU_DEP_4)
	v_cmp_le_u32_e32 vcc_lo, s14, v0
	v_or3_b32 v4, v7, v10, v8
	s_or_not1_b32 s0, vcc_lo, exec_lo
	global_store_b32 v[2:3], v4, off
	s_branch .LBB86_58
.LBB86_65:
	s_nop 0
	s_sendmsg sendmsg(MSG_DEALLOC_VGPRS)
	s_endpgm
.LBB86_66:
                                        ; implicit-def: $vgpr3_vgpr4
	s_branch .LBB86_51
.LBB86_67:
                                        ; implicit-def: $vgpr1_vgpr2
	s_branch .LBB86_56
	.section	.rodata,"a",@progbits
	.p2align	6, 0x0
	.amdhsa_kernel _ZN4vllm31rms_norm_per_block_quant_kernelIN3c108BFloat16EaLb0ELb1ELi64EEEvPT0_PfPKT_S8_PKffiiPS6_l
		.amdhsa_group_segment_fixed_size 4228
		.amdhsa_private_segment_fixed_size 0
		.amdhsa_kernarg_size 328
		.amdhsa_user_sgpr_count 15
		.amdhsa_user_sgpr_dispatch_ptr 0
		.amdhsa_user_sgpr_queue_ptr 0
		.amdhsa_user_sgpr_kernarg_segment_ptr 1
		.amdhsa_user_sgpr_dispatch_id 0
		.amdhsa_user_sgpr_private_segment_size 0
		.amdhsa_wavefront_size32 1
		.amdhsa_uses_dynamic_stack 0
		.amdhsa_enable_private_segment 0
		.amdhsa_system_sgpr_workgroup_id_x 1
		.amdhsa_system_sgpr_workgroup_id_y 0
		.amdhsa_system_sgpr_workgroup_id_z 0
		.amdhsa_system_sgpr_workgroup_info 0
		.amdhsa_system_vgpr_workitem_id 0
		.amdhsa_next_free_vgpr 46
		.amdhsa_next_free_sgpr 36
		.amdhsa_reserve_vcc 1
		.amdhsa_float_round_mode_32 0
		.amdhsa_float_round_mode_16_64 0
		.amdhsa_float_denorm_mode_32 3
		.amdhsa_float_denorm_mode_16_64 3
		.amdhsa_dx10_clamp 1
		.amdhsa_ieee_mode 1
		.amdhsa_fp16_overflow 0
		.amdhsa_workgroup_processor_mode 1
		.amdhsa_memory_ordered 1
		.amdhsa_forward_progress 0
		.amdhsa_shared_vgpr_count 0
		.amdhsa_exception_fp_ieee_invalid_op 0
		.amdhsa_exception_fp_denorm_src 0
		.amdhsa_exception_fp_ieee_div_zero 0
		.amdhsa_exception_fp_ieee_overflow 0
		.amdhsa_exception_fp_ieee_underflow 0
		.amdhsa_exception_fp_ieee_inexact 0
		.amdhsa_exception_int_div_zero 0
	.end_amdhsa_kernel
	.section	.text._ZN4vllm31rms_norm_per_block_quant_kernelIN3c108BFloat16EaLb0ELb1ELi64EEEvPT0_PfPKT_S8_PKffiiPS6_l,"axG",@progbits,_ZN4vllm31rms_norm_per_block_quant_kernelIN3c108BFloat16EaLb0ELb1ELi64EEEvPT0_PfPKT_S8_PKffiiPS6_l,comdat
.Lfunc_end86:
	.size	_ZN4vllm31rms_norm_per_block_quant_kernelIN3c108BFloat16EaLb0ELb1ELi64EEEvPT0_PfPKT_S8_PKffiiPS6_l, .Lfunc_end86-_ZN4vllm31rms_norm_per_block_quant_kernelIN3c108BFloat16EaLb0ELb1ELi64EEEvPT0_PfPKT_S8_PKffiiPS6_l
                                        ; -- End function
	.section	.AMDGPU.csdata,"",@progbits
; Kernel info:
; codeLenInByte = 12076
; NumSgprs: 38
; NumVgprs: 46
; ScratchSize: 0
; MemoryBound: 0
; FloatMode: 240
; IeeeMode: 1
; LDSByteSize: 4228 bytes/workgroup (compile time only)
; SGPRBlocks: 4
; VGPRBlocks: 5
; NumSGPRsForWavesPerEU: 38
; NumVGPRsForWavesPerEU: 46
; Occupancy: 16
; WaveLimiterHint : 0
; COMPUTE_PGM_RSRC2:SCRATCH_EN: 0
; COMPUTE_PGM_RSRC2:USER_SGPR: 15
; COMPUTE_PGM_RSRC2:TRAP_HANDLER: 0
; COMPUTE_PGM_RSRC2:TGID_X_EN: 1
; COMPUTE_PGM_RSRC2:TGID_Y_EN: 0
; COMPUTE_PGM_RSRC2:TGID_Z_EN: 0
; COMPUTE_PGM_RSRC2:TIDIG_COMP_CNT: 0
	.section	.text._ZN4vllm31rms_norm_per_block_quant_kernelIN3c108BFloat16ENS1_13Float8_e4m3fnELb0ELb0ELi64EEEvPT0_PfPKT_S9_PKffiiPS7_l,"axG",@progbits,_ZN4vllm31rms_norm_per_block_quant_kernelIN3c108BFloat16ENS1_13Float8_e4m3fnELb0ELb0ELi64EEEvPT0_PfPKT_S9_PKffiiPS7_l,comdat
	.protected	_ZN4vllm31rms_norm_per_block_quant_kernelIN3c108BFloat16ENS1_13Float8_e4m3fnELb0ELb0ELi64EEEvPT0_PfPKT_S9_PKffiiPS7_l ; -- Begin function _ZN4vllm31rms_norm_per_block_quant_kernelIN3c108BFloat16ENS1_13Float8_e4m3fnELb0ELb0ELi64EEEvPT0_PfPKT_S9_PKffiiPS7_l
	.globl	_ZN4vllm31rms_norm_per_block_quant_kernelIN3c108BFloat16ENS1_13Float8_e4m3fnELb0ELb0ELi64EEEvPT0_PfPKT_S9_PKffiiPS7_l
	.p2align	8
	.type	_ZN4vllm31rms_norm_per_block_quant_kernelIN3c108BFloat16ENS1_13Float8_e4m3fnELb0ELb0ELi64EEEvPT0_PfPKT_S9_PKffiiPS7_l,@function
_ZN4vllm31rms_norm_per_block_quant_kernelIN3c108BFloat16ENS1_13Float8_e4m3fnELb0ELb0ELi64EEEvPT0_PfPKT_S9_PKffiiPS7_l: ; @_ZN4vllm31rms_norm_per_block_quant_kernelIN3c108BFloat16ENS1_13Float8_e4m3fnELb0ELb0ELi64EEEvPT0_PfPKT_S9_PKffiiPS7_l
; %bb.0:
	s_clause 0x1
	s_load_b128 s[16:19], s[0:1], 0x28
	s_load_b256 s[4:11], s[0:1], 0x0
	v_mov_b32_e32 v6, 0
	s_mov_b32 s13, 0
	s_waitcnt lgkmcnt(0)
	s_ashr_i32 s2, s18, 31
	s_mul_hi_u32 s3, s18, s15
	s_mul_i32 s12, s2, s15
	s_mul_i32 s2, s18, s15
	s_add_i32 s3, s3, s12
	s_mov_b32 s18, s17
	s_lshl_b64 s[22:23], s[2:3], 1
	s_delay_alu instid0(SALU_CYCLE_1)
	s_add_u32 s14, s8, s22
	s_addc_u32 s26, s9, s23
	s_ashr_i32 s12, s17, 2
	s_add_u32 s20, s0, 0x48
	v_cmp_gt_u32_e64 s2, s12, v0
	s_addc_u32 s21, s1, 0
	s_delay_alu instid0(VALU_DEP_1)
	s_and_saveexec_b32 s3, s2
	s_cbranch_execz .LBB87_10
; %bb.1:
	s_load_b32 s19, s[20:21], 0x0
	v_dual_mov_b32 v2, 0 :: v_dual_mov_b32 v1, v0
	s_waitcnt lgkmcnt(0)
	s_cmp_lt_u32 s15, s19
	s_cselect_b32 s19, 12, 18
	s_delay_alu instid0(SALU_CYCLE_1)
	s_add_u32 s24, s20, s19
	s_addc_u32 s25, s21, 0
                                        ; implicit-def: $sgpr19
	global_load_u16 v7, v2, s[24:25]
	s_waitcnt vmcnt(0)
	v_lshlrev_b32_e32 v9, 1, v7
	v_mul_lo_u32 v8, v7, 3
	v_add_nc_u32_e32 v10, v7, v7
	v_mov_b32_e32 v6, v2
	s_branch .LBB87_5
.LBB87_2:                               ;   in Loop: Header=BB87_5 Depth=1
	s_or_b32 exec_lo, exec_lo, s27
	s_delay_alu instid0(SALU_CYCLE_1)
	s_or_not1_b32 s27, s28, exec_lo
.LBB87_3:                               ;   in Loop: Header=BB87_5 Depth=1
	s_or_b32 exec_lo, exec_lo, s25
	s_delay_alu instid0(SALU_CYCLE_1) | instskip(SKIP_1) | instid1(SALU_CYCLE_1)
	s_and_not1_b32 s19, s19, exec_lo
	s_and_b32 s25, s27, exec_lo
	s_or_b32 s19, s19, s25
.LBB87_4:                               ;   in Loop: Header=BB87_5 Depth=1
	s_or_b32 exec_lo, exec_lo, s24
	s_delay_alu instid0(SALU_CYCLE_1) | instskip(NEXT) | instid1(SALU_CYCLE_1)
	s_and_b32 s24, exec_lo, s19
	s_or_b32 s13, s24, s13
	s_delay_alu instid0(SALU_CYCLE_1)
	s_and_not1_b32 exec_lo, exec_lo, s13
	s_cbranch_execz .LBB87_9
.LBB87_5:                               ; =>This Inner Loop Header: Depth=1
	v_lshlrev_b64 v[3:4], 3, v[1:2]
	s_or_b32 s19, s19, exec_lo
	s_mov_b32 s24, exec_lo
	s_delay_alu instid0(VALU_DEP_1) | instskip(NEXT) | instid1(VALU_DEP_2)
	v_add_co_u32 v3, vcc_lo, s14, v3
	v_add_co_ci_u32_e32 v4, vcc_lo, s26, v4, vcc_lo
	global_load_b64 v[3:4], v[3:4], off
	s_waitcnt vmcnt(0)
	v_lshlrev_b32_e32 v5, 16, v3
	v_and_b32_e32 v11, 0xffff0000, v3
	v_alignbit_b32 v3, v4, v3, 16
	v_and_b32_e32 v4, 0xffff0000, v4
	s_delay_alu instid0(VALU_DEP_2) | instskip(NEXT) | instid1(VALU_DEP_1)
	v_dual_fmac_f32 v6, v5, v5 :: v_dual_and_b32 v3, 0xffff0000, v3
	v_fmac_f32_e32 v6, v11, v11
	s_delay_alu instid0(VALU_DEP_1) | instskip(NEXT) | instid1(VALU_DEP_1)
	v_fmac_f32_e32 v6, v3, v3
	v_dual_fmac_f32 v6, v4, v4 :: v_dual_add_nc_u32 v3, v1, v7
	s_delay_alu instid0(VALU_DEP_1)
	v_cmpx_gt_u32_e64 s12, v3
	s_cbranch_execz .LBB87_4
; %bb.6:                                ;   in Loop: Header=BB87_5 Depth=1
	v_mov_b32_e32 v4, v2
	s_mov_b32 s27, -1
	s_mov_b32 s25, exec_lo
	s_delay_alu instid0(VALU_DEP_1) | instskip(NEXT) | instid1(VALU_DEP_1)
	v_lshlrev_b64 v[4:5], 3, v[3:4]
	v_add_co_u32 v4, vcc_lo, s14, v4
	s_delay_alu instid0(VALU_DEP_2)
	v_add_co_ci_u32_e32 v5, vcc_lo, s26, v5, vcc_lo
	global_load_b64 v[4:5], v[4:5], off
	s_waitcnt vmcnt(0)
	v_lshlrev_b32_e32 v11, 16, v4
	v_and_b32_e32 v12, 0xffff0000, v4
	v_alignbit_b32 v4, v5, v4, 16
	s_delay_alu instid0(VALU_DEP_3) | instskip(NEXT) | instid1(VALU_DEP_2)
	v_dual_fmac_f32 v6, v11, v11 :: v_dual_and_b32 v5, 0xffff0000, v5
	v_and_b32_e32 v4, 0xffff0000, v4
	s_delay_alu instid0(VALU_DEP_2) | instskip(NEXT) | instid1(VALU_DEP_1)
	v_fmac_f32_e32 v6, v12, v12
	v_fmac_f32_e32 v6, v4, v4
	v_add_nc_u32_e32 v4, v9, v1
	s_delay_alu instid0(VALU_DEP_2) | instskip(NEXT) | instid1(VALU_DEP_2)
	v_fmac_f32_e32 v6, v5, v5
	v_cmpx_gt_u32_e64 s12, v4
	s_cbranch_execz .LBB87_3
; %bb.7:                                ;   in Loop: Header=BB87_5 Depth=1
	v_mov_b32_e32 v5, v2
	v_add_nc_u32_e32 v1, v8, v1
	s_mov_b32 s28, -1
	s_mov_b32 s27, exec_lo
	s_delay_alu instid0(VALU_DEP_2) | instskip(NEXT) | instid1(VALU_DEP_1)
	v_lshlrev_b64 v[4:5], 3, v[4:5]
	v_add_co_u32 v4, vcc_lo, s14, v4
	s_delay_alu instid0(VALU_DEP_2)
	v_add_co_ci_u32_e32 v5, vcc_lo, s26, v5, vcc_lo
	global_load_b64 v[4:5], v[4:5], off
	s_waitcnt vmcnt(0)
	v_and_b32_e32 v12, 0xffff0000, v4
	v_lshlrev_b32_e32 v11, 16, v4
	v_alignbit_b32 v4, v5, v4, 16
	s_delay_alu instid0(VALU_DEP_2) | instskip(NEXT) | instid1(VALU_DEP_2)
	v_dual_fmac_f32 v6, v11, v11 :: v_dual_and_b32 v5, 0xffff0000, v5
	v_and_b32_e32 v4, 0xffff0000, v4
	s_delay_alu instid0(VALU_DEP_2) | instskip(NEXT) | instid1(VALU_DEP_1)
	v_fmac_f32_e32 v6, v12, v12
	v_fmac_f32_e32 v6, v4, v4
	s_delay_alu instid0(VALU_DEP_1)
	v_fmac_f32_e32 v6, v5, v5
	v_cmpx_gt_u32_e64 s12, v1
	s_xor_b32 s27, exec_lo, s27
	s_cbranch_execz .LBB87_2
; %bb.8:                                ;   in Loop: Header=BB87_5 Depth=1
	v_lshlrev_b64 v[4:5], 3, v[1:2]
	s_delay_alu instid0(VALU_DEP_1) | instskip(NEXT) | instid1(VALU_DEP_2)
	v_add_co_u32 v4, vcc_lo, s14, v4
	v_add_co_ci_u32_e32 v5, vcc_lo, s26, v5, vcc_lo
	global_load_b64 v[4:5], v[4:5], off
	s_waitcnt vmcnt(0)
	v_and_b32_e32 v11, 0xffff0000, v4
	v_lshlrev_b32_e32 v1, 16, v4
	v_alignbit_b32 v4, v5, v4, 16
	s_delay_alu instid0(VALU_DEP_2) | instskip(NEXT) | instid1(VALU_DEP_2)
	v_fmac_f32_e32 v6, v1, v1
	v_and_b32_e32 v4, 0xffff0000, v4
	v_add3_u32 v1, v10, v7, v3
	s_delay_alu instid0(VALU_DEP_3) | instskip(NEXT) | instid1(VALU_DEP_2)
	v_dual_fmac_f32 v6, v11, v11 :: v_dual_and_b32 v3, 0xffff0000, v5
	v_cmp_le_u32_e32 vcc_lo, s12, v1
	s_delay_alu instid0(VALU_DEP_2) | instskip(SKIP_1) | instid1(VALU_DEP_1)
	v_fmac_f32_e32 v6, v4, v4
	s_or_not1_b32 s28, vcc_lo, exec_lo
	v_fmac_f32_e32 v6, v3, v3
	s_branch .LBB87_2
.LBB87_9:
	s_or_b32 exec_lo, exec_lo, s13
.LBB87_10:
	s_delay_alu instid0(SALU_CYCLE_1) | instskip(SKIP_3) | instid1(VALU_DEP_2)
	s_or_b32 exec_lo, exec_lo, s3
	v_mbcnt_lo_u32_b32 v1, -1, 0
	s_load_b32 s3, s[20:21], 0xc
	v_and_b32_e32 v7, 0x3e0, v0
	v_cmp_ne_u32_e32 vcc_lo, 31, v1
	v_add_nc_u32_e32 v3, 1, v1
	v_add_co_ci_u32_e32 v2, vcc_lo, 0, v1, vcc_lo
	v_cmp_gt_u32_e32 vcc_lo, 30, v1
	s_delay_alu instid0(VALU_DEP_2)
	v_lshlrev_b32_e32 v2, 2, v2
	v_cndmask_b32_e64 v5, 0, 1, vcc_lo
	ds_bpermute_b32 v4, v2, v6
	s_waitcnt lgkmcnt(0)
	s_and_b32 s27, s3, 0xffff
	v_lshlrev_b32_e32 v5, 1, v5
	v_sub_nc_u32_e64 v12, s27, v7 clamp
	s_mov_b32 s3, exec_lo
	s_delay_alu instid0(VALU_DEP_1) | instskip(SKIP_2) | instid1(VALU_DEP_2)
	v_cmp_lt_u32_e32 vcc_lo, v3, v12
	v_add_f32_e32 v7, v6, v4
	v_add_lshl_u32 v4, v5, v1, 2
	v_cndmask_b32_e32 v7, v6, v7, vcc_lo
	v_cmp_gt_u32_e32 vcc_lo, 28, v1
	v_cndmask_b32_e64 v5, 0, 1, vcc_lo
	s_delay_alu instid0(VALU_DEP_1) | instskip(SKIP_2) | instid1(VALU_DEP_1)
	v_lshlrev_b32_e32 v8, 2, v5
	ds_bpermute_b32 v6, v4, v7
	v_add_nc_u32_e32 v5, 2, v1
	v_cmp_lt_u32_e32 vcc_lo, v5, v12
	s_waitcnt lgkmcnt(0)
	v_add_f32_e32 v9, v7, v6
	v_add_lshl_u32 v6, v8, v1, 2
	s_delay_alu instid0(VALU_DEP_2) | instskip(SKIP_3) | instid1(VALU_DEP_1)
	v_cndmask_b32_e32 v9, v7, v9, vcc_lo
	v_cmp_gt_u32_e32 vcc_lo, 24, v1
	ds_bpermute_b32 v8, v6, v9
	v_cndmask_b32_e64 v7, 0, 1, vcc_lo
	v_lshlrev_b32_e32 v10, 3, v7
	v_add_nc_u32_e32 v7, 4, v1
	s_delay_alu instid0(VALU_DEP_1) | instskip(SKIP_3) | instid1(VALU_DEP_2)
	v_cmp_lt_u32_e32 vcc_lo, v7, v12
	s_waitcnt lgkmcnt(0)
	v_add_f32_e32 v11, v9, v8
	v_add_lshl_u32 v8, v10, v1, 2
	v_cndmask_b32_e32 v11, v9, v11, vcc_lo
	v_cmp_gt_u32_e32 vcc_lo, 16, v1
	ds_bpermute_b32 v10, v8, v11
	v_cndmask_b32_e64 v9, 0, 1, vcc_lo
	s_delay_alu instid0(VALU_DEP_1) | instskip(SKIP_1) | instid1(VALU_DEP_1)
	v_lshlrev_b32_e32 v13, 4, v9
	v_add_nc_u32_e32 v9, 8, v1
	v_cmp_lt_u32_e32 vcc_lo, v9, v12
	s_waitcnt lgkmcnt(0)
	v_add_f32_e32 v14, v11, v10
	v_add_lshl_u32 v10, v13, v1, 2
	s_delay_alu instid0(VALU_DEP_2)
	v_cndmask_b32_e32 v13, v11, v14, vcc_lo
	v_add_nc_u32_e32 v11, 16, v1
	ds_bpermute_b32 v14, v10, v13
	v_cmp_lt_u32_e32 vcc_lo, v11, v12
	s_waitcnt lgkmcnt(0)
	v_add_f32_e32 v14, v13, v14
	s_delay_alu instid0(VALU_DEP_1)
	v_cndmask_b32_e32 v12, v13, v14, vcc_lo
	v_cmpx_eq_u32_e32 0, v1
	s_cbranch_execz .LBB87_12
; %bb.11:
	v_lshrrev_b32_e32 v13, 3, v0
	s_delay_alu instid0(VALU_DEP_1)
	v_and_b32_e32 v13, 0x7c, v13
	ds_store_b32 v13, v12 offset:4096
.LBB87_12:
	s_or_b32 exec_lo, exec_lo, s3
	s_delay_alu instid0(SALU_CYCLE_1)
	s_mov_b32 s3, exec_lo
	s_waitcnt lgkmcnt(0)
	s_barrier
	buffer_gl0_inv
	v_cmpx_gt_u32_e32 32, v0
	s_cbranch_execz .LBB87_14
; %bb.13:
	v_lshlrev_b32_e32 v1, 2, v1
	s_add_i32 s13, s27, 31
	s_delay_alu instid0(SALU_CYCLE_1) | instskip(NEXT) | instid1(SALU_CYCLE_1)
	s_lshr_b32 s13, s13, 5
	v_cmp_gt_u32_e32 vcc_lo, s13, v3
	ds_load_b32 v1, v1 offset:4096
	s_waitcnt lgkmcnt(0)
	ds_bpermute_b32 v2, v2, v1
	s_waitcnt lgkmcnt(0)
	v_add_f32_e32 v2, v1, v2
	s_delay_alu instid0(VALU_DEP_1) | instskip(SKIP_4) | instid1(VALU_DEP_1)
	v_cndmask_b32_e32 v1, v1, v2, vcc_lo
	v_cmp_gt_u32_e32 vcc_lo, s13, v5
	ds_bpermute_b32 v2, v4, v1
	s_waitcnt lgkmcnt(0)
	v_add_f32_e32 v2, v1, v2
	v_cndmask_b32_e32 v1, v1, v2, vcc_lo
	v_cmp_gt_u32_e32 vcc_lo, s13, v7
	ds_bpermute_b32 v2, v6, v1
	s_waitcnt lgkmcnt(0)
	v_add_f32_e32 v2, v1, v2
	s_delay_alu instid0(VALU_DEP_1) | instskip(SKIP_4) | instid1(VALU_DEP_1)
	v_cndmask_b32_e32 v1, v1, v2, vcc_lo
	v_cmp_gt_u32_e32 vcc_lo, s13, v9
	ds_bpermute_b32 v2, v8, v1
	s_waitcnt lgkmcnt(0)
	v_add_f32_e32 v2, v1, v2
	v_cndmask_b32_e32 v1, v1, v2, vcc_lo
	v_cmp_gt_u32_e32 vcc_lo, s13, v11
	ds_bpermute_b32 v2, v10, v1
	s_waitcnt lgkmcnt(0)
	v_add_f32_e32 v2, v1, v2
	s_delay_alu instid0(VALU_DEP_1)
	v_cndmask_b32_e32 v12, v1, v2, vcc_lo
.LBB87_14:
	s_or_b32 exec_lo, exec_lo, s3
	s_delay_alu instid0(SALU_CYCLE_1)
	s_mov_b32 s3, exec_lo
	v_cmpx_eq_u32_e32 0, v0
	s_cbranch_execz .LBB87_16
; %bb.15:
	v_cvt_f32_i32_e32 v1, s17
	s_delay_alu instid0(VALU_DEP_1) | instskip(SKIP_1) | instid1(VALU_DEP_2)
	v_div_scale_f32 v2, null, v1, v1, v12
	v_div_scale_f32 v5, vcc_lo, v12, v1, v12
	v_rcp_f32_e32 v3, v2
	s_waitcnt_depctr 0xfff
	v_fma_f32 v4, -v2, v3, 1.0
	s_delay_alu instid0(VALU_DEP_1) | instskip(NEXT) | instid1(VALU_DEP_1)
	v_fmac_f32_e32 v3, v4, v3
	v_mul_f32_e32 v4, v5, v3
	s_delay_alu instid0(VALU_DEP_1) | instskip(NEXT) | instid1(VALU_DEP_1)
	v_fma_f32 v6, -v2, v4, v5
	v_fmac_f32_e32 v4, v6, v3
	s_delay_alu instid0(VALU_DEP_1) | instskip(NEXT) | instid1(VALU_DEP_1)
	v_fma_f32 v2, -v2, v4, v5
	v_div_fmas_f32 v2, v2, v3, v4
	s_delay_alu instid0(VALU_DEP_1) | instskip(NEXT) | instid1(VALU_DEP_1)
	v_div_fixup_f32 v1, v2, v1, v12
	v_add_f32_e32 v1, s16, v1
	s_delay_alu instid0(VALU_DEP_1) | instskip(SKIP_1) | instid1(VALU_DEP_2)
	v_mul_f32_e32 v2, 0x4b800000, v1
	v_cmp_gt_f32_e32 vcc_lo, 0x800000, v1
	v_cndmask_b32_e32 v1, v1, v2, vcc_lo
	s_delay_alu instid0(VALU_DEP_1) | instskip(SKIP_2) | instid1(VALU_DEP_1)
	v_rsq_f32_e32 v1, v1
	s_waitcnt_depctr 0xfff
	v_mul_f32_e32 v2, 0x45800000, v1
	v_dual_cndmask_b32 v1, v1, v2 :: v_dual_mov_b32 v2, 0
	ds_store_b32 v2, v1 offset:4224
.LBB87_16:
	s_or_b32 exec_lo, exec_lo, s3
	s_ashr_i32 s19, s17, 31
	s_waitcnt lgkmcnt(0)
	s_lshr_b32 s3, s19, 26
	s_barrier
	s_add_i32 s3, s17, s3
	buffer_gl0_inv
	s_ashr_i32 s16, s3, 6
	s_ashr_i32 s3, s3, 31
	s_abs_i32 s13, s16
	s_delay_alu instid0(SALU_CYCLE_1) | instskip(SKIP_1) | instid1(VALU_DEP_1)
	v_cvt_f32_u32_e32 v1, s13
	s_sub_i32 s20, 0, s13
	v_rcp_iflag_f32_e32 v1, v1
	s_waitcnt_depctr 0xfff
	v_mul_f32_e32 v1, 0x4f7ffffe, v1
	s_delay_alu instid0(VALU_DEP_1) | instskip(NEXT) | instid1(VALU_DEP_1)
	v_cvt_u32_f32_e32 v1, v1
	v_readfirstlane_b32 s17, v1
	s_delay_alu instid0(VALU_DEP_1) | instskip(NEXT) | instid1(SALU_CYCLE_1)
	s_mul_i32 s20, s20, s17
	s_mul_hi_u32 s20, s17, s20
	s_delay_alu instid0(SALU_CYCLE_1) | instskip(NEXT) | instid1(SALU_CYCLE_1)
	s_add_i32 s17, s17, s20
	s_mul_hi_u32 s17, s27, s17
	s_delay_alu instid0(SALU_CYCLE_1) | instskip(SKIP_2) | instid1(SALU_CYCLE_1)
	s_mul_i32 s20, s17, s13
	s_add_i32 s21, s17, 1
	s_sub_i32 s20, s27, s20
	s_sub_i32 s24, s20, s13
	s_cmp_ge_u32 s20, s13
	s_cselect_b32 s17, s21, s17
	s_cselect_b32 s20, s24, s20
	s_add_i32 s21, s17, 1
	s_cmp_ge_u32 s20, s13
	s_cselect_b32 s13, s21, s17
	s_delay_alu instid0(SALU_CYCLE_1) | instskip(NEXT) | instid1(SALU_CYCLE_1)
	s_xor_b32 s13, s13, s3
	s_sub_i32 s20, s13, s3
	s_delay_alu instid0(SALU_CYCLE_1) | instskip(SKIP_3) | instid1(VALU_DEP_1)
	s_abs_i32 s3, s20
	s_ashr_i32 s21, s20, 31
	v_cvt_f32_u32_e32 v1, s3
	s_sub_i32 s13, 0, s3
	v_rcp_iflag_f32_e32 v1, v1
	s_waitcnt_depctr 0xfff
	v_mul_f32_e32 v1, 0x4f7ffffe, v1
	s_delay_alu instid0(VALU_DEP_1) | instskip(NEXT) | instid1(VALU_DEP_1)
	v_cvt_u32_f32_e32 v1, v1
	v_mul_lo_u32 v2, s13, v1
	s_ashr_i32 s13, s12, 31
	s_delay_alu instid0(VALU_DEP_1) | instskip(NEXT) | instid1(VALU_DEP_1)
	v_mul_hi_u32 v2, v1, v2
	v_add_nc_u32_e32 v1, v1, v2
	s_delay_alu instid0(VALU_DEP_1) | instskip(NEXT) | instid1(VALU_DEP_1)
	v_mul_hi_u32 v1, v0, v1
	v_mul_lo_u32 v2, v1, s3
	v_add_nc_u32_e32 v3, 1, v1
	s_delay_alu instid0(VALU_DEP_2) | instskip(NEXT) | instid1(VALU_DEP_1)
	v_sub_nc_u32_e32 v2, v0, v2
	v_subrev_nc_u32_e32 v4, s3, v2
	v_cmp_le_u32_e32 vcc_lo, s3, v2
	s_delay_alu instid0(VALU_DEP_2) | instskip(NEXT) | instid1(VALU_DEP_1)
	v_dual_cndmask_b32 v1, v1, v3 :: v_dual_cndmask_b32 v2, v2, v4
	v_dual_mov_b32 v4, 0 :: v_dual_add_nc_u32 v3, 1, v1
	s_delay_alu instid0(VALU_DEP_2) | instskip(SKIP_2) | instid1(VALU_DEP_1)
	v_cmp_le_u32_e32 vcc_lo, s3, v2
	ds_load_b32 v28, v4 offset:4224
	v_cndmask_b32_e32 v1, v1, v3, vcc_lo
	v_xor_b32_e32 v1, s21, v1
	s_delay_alu instid0(VALU_DEP_1) | instskip(NEXT) | instid1(VALU_DEP_1)
	v_subrev_nc_u32_e32 v1, s21, v1
	v_ashrrev_i32_e32 v2, 31, v1
	v_mul_lo_u32 v3, v1, s20
	s_delay_alu instid0(VALU_DEP_2) | instskip(NEXT) | instid1(VALU_DEP_2)
	v_lshlrev_b64 v[7:8], 4, v[1:2]
	v_sub_nc_u32_e32 v3, v0, v3
	s_delay_alu instid0(VALU_DEP_2) | instskip(NEXT) | instid1(VALU_DEP_3)
	v_add_co_u32 v5, vcc_lo, v7, 16
	v_add_co_ci_u32_e32 v6, vcc_lo, 0, v8, vcc_lo
	s_delay_alu instid0(VALU_DEP_1) | instskip(SKIP_4) | instid1(VALU_DEP_3)
	v_cmp_gt_i64_e32 vcc_lo, s[12:13], v[5:6]
	v_cndmask_b32_e32 v6, s13, v6, vcc_lo
	v_cndmask_b32_e32 v5, s12, v5, vcc_lo
	v_add_co_u32 v7, vcc_lo, v7, v3
	v_add_co_ci_u32_e32 v8, vcc_lo, 0, v8, vcc_lo
	v_ashrrev_i32_e32 v10, 31, v5
	v_mov_b32_e32 v9, v5
	s_mov_b32 s13, exec_lo
	s_delay_alu instid0(VALU_DEP_1)
	v_cmpx_lt_i64_e64 v[7:8], v[9:10]
	s_cbranch_execz .LBB87_26
; %bb.17:
	v_lshlrev_b64 v[13:14], 7, v[1:2]
	v_lshlrev_b64 v[11:12], 3, v[3:4]
	s_mul_i32 s3, s20, 24
	s_mul_hi_i32 s17, s20, 24
	s_add_u32 s24, s8, s3
	s_delay_alu instid0(VALU_DEP_2) | instskip(SKIP_2) | instid1(VALU_DEP_2)
	v_add_co_u32 v4, vcc_lo, s22, v13
	v_add_co_ci_u32_e32 v15, vcc_lo, s23, v14, vcc_lo
	s_addc_u32 s22, s9, s17
	v_add_co_u32 v17, vcc_lo, s24, v4
	s_lshl_b64 s[24:25], s[20:21], 4
	s_delay_alu instid0(VALU_DEP_2)
	v_add_co_ci_u32_e32 v18, vcc_lo, s22, v15, vcc_lo
	s_lshl_b64 s[22:23], s[20:21], 5
	s_add_u32 s30, s8, s24
	s_addc_u32 s31, s9, s25
	s_lshl_b64 s[28:29], s[20:21], 3
	v_add_co_u32 v19, vcc_lo, s30, v4
	s_add_u32 s30, s8, s28
	v_add_co_ci_u32_e32 v20, vcc_lo, s31, v15, vcc_lo
	s_addc_u32 s31, s9, s29
	v_add_co_u32 v21, vcc_lo, s30, v4
	v_add_co_ci_u32_e32 v22, vcc_lo, s31, v15, vcc_lo
	v_add_co_u32 v23, vcc_lo, s8, v4
	s_add_u32 s3, s10, s3
	v_add_co_ci_u32_e32 v24, vcc_lo, s9, v15, vcc_lo
	s_addc_u32 s8, s11, s17
	v_add_co_u32 v25, vcc_lo, s3, v13
	s_add_u32 s3, s10, s24
	v_add_co_ci_u32_e32 v26, vcc_lo, s8, v14, vcc_lo
	s_addc_u32 s8, s11, s25
	;; [unrolled: 4-line block ×3, first 2 shown]
	v_add_co_u32 v30, vcc_lo, s3, v13
	v_add_co_ci_u32_e32 v31, vcc_lo, s8, v14, vcc_lo
	v_add_co_u32 v32, vcc_lo, s10, v13
	v_add_co_ci_u32_e32 v33, vcc_lo, s11, v14, vcc_lo
	v_mov_b32_e32 v14, v8
	v_dual_mov_b32 v4, 0 :: v_dual_mov_b32 v13, v7
	s_mul_hi_i32 s17, s20, 3
	s_mul_i32 s24, s20, 3
	s_lshl_b64 s[8:9], s[20:21], 1
	s_mov_b32 s25, 0
                                        ; implicit-def: $sgpr28
	s_branch .LBB87_21
.LBB87_18:                              ;   in Loop: Header=BB87_21 Depth=1
	s_or_b32 exec_lo, exec_lo, s31
	s_delay_alu instid0(SALU_CYCLE_1)
	s_or_not1_b32 s3, s3, exec_lo
.LBB87_19:                              ;   in Loop: Header=BB87_21 Depth=1
	s_or_b32 exec_lo, exec_lo, s30
	s_delay_alu instid0(SALU_CYCLE_1) | instskip(SKIP_1) | instid1(SALU_CYCLE_1)
	s_and_not1_b32 s28, s28, exec_lo
	s_and_b32 s3, s3, exec_lo
	s_or_b32 s28, s28, s3
.LBB87_20:                              ;   in Loop: Header=BB87_21 Depth=1
	s_or_b32 exec_lo, exec_lo, s29
	s_delay_alu instid0(SALU_CYCLE_1) | instskip(NEXT) | instid1(SALU_CYCLE_1)
	s_and_b32 s3, exec_lo, s28
	s_or_b32 s25, s3, s25
	s_delay_alu instid0(SALU_CYCLE_1)
	s_and_not1_b32 exec_lo, exec_lo, s25
	s_cbranch_execz .LBB87_25
.LBB87_21:                              ; =>This Inner Loop Header: Depth=1
	v_add_co_u32 v15, vcc_lo, v23, v11
	v_add_co_ci_u32_e32 v16, vcc_lo, v24, v12, vcc_lo
	v_add_co_u32 v34, vcc_lo, v32, v11
	v_add_co_ci_u32_e32 v35, vcc_lo, v33, v12, vcc_lo
	s_or_b32 s28, s28, exec_lo
	global_load_b64 v[15:16], v[15:16], off
	global_load_b64 v[34:35], v[34:35], off
	s_mov_b32 s29, exec_lo
	s_waitcnt vmcnt(1)
	v_lshlrev_b32_e32 v37, 16, v15
	v_and_b32_e32 v36, 0xffff0000, v15
	v_alignbit_b32 v15, v16, v15, 16
	s_waitcnt vmcnt(0)
	v_lshlrev_b32_e32 v39, 16, v34
	s_waitcnt lgkmcnt(0)
	v_mul_f32_e32 v37, v28, v37
	v_mul_f32_e32 v36, v28, v36
	s_delay_alu instid0(VALU_DEP_2) | instskip(NEXT) | instid1(VALU_DEP_2)
	v_bfe_u32 v40, v37, 16, 1
	v_bfe_u32 v41, v36, 16, 1
	v_cmp_o_f32_e32 vcc_lo, v37, v37
	s_delay_alu instid0(VALU_DEP_3) | instskip(NEXT) | instid1(VALU_DEP_3)
	v_add3_u32 v40, v37, v40, 0x7fff
	v_add3_u32 v41, v36, v41, 0x7fff
	s_delay_alu instid0(VALU_DEP_2) | instskip(NEXT) | instid1(VALU_DEP_2)
	v_and_b32_e32 v40, 0xffff0000, v40
	v_and_b32_e32 v41, 0xffff0000, v41
	s_delay_alu instid0(VALU_DEP_2) | instskip(SKIP_2) | instid1(VALU_DEP_2)
	v_cndmask_b32_e32 v37, 0x7fc00000, v40, vcc_lo
	v_and_b32_e32 v16, 0xffff0000, v16
	v_cmp_o_f32_e32 vcc_lo, v36, v36
	v_dual_mul_f32 v37, v37, v39 :: v_dual_mul_f32 v16, v28, v16
	v_cndmask_b32_e32 v36, 0x7fc00000, v41, vcc_lo
	v_and_b32_e32 v15, 0xffff0000, v15
	v_and_b32_e32 v38, 0xffff0000, v34
	v_alignbit_b32 v34, v35, v34, 16
	v_bfe_u32 v42, v16, 16, 1
	v_cmp_o_f32_e32 vcc_lo, v16, v16
	v_mul_f32_e32 v15, v28, v15
	v_mul_f32_e32 v36, v36, v38
	v_bfe_u32 v38, v37, 16, 1
	v_add3_u32 v42, v16, v42, 0x7fff
	s_delay_alu instid0(VALU_DEP_4) | instskip(NEXT) | instid1(VALU_DEP_2)
	v_bfe_u32 v43, v15, 16, 1
	v_and_b32_e32 v42, 0xffff0000, v42
	s_delay_alu instid0(VALU_DEP_2) | instskip(NEXT) | instid1(VALU_DEP_2)
	v_add3_u32 v43, v15, v43, 0x7fff
	v_cndmask_b32_e32 v16, 0x7fc00000, v42, vcc_lo
	v_cmp_o_f32_e32 vcc_lo, v15, v15
	s_delay_alu instid0(VALU_DEP_3) | instskip(SKIP_1) | instid1(VALU_DEP_2)
	v_and_b32_e32 v40, 0xffff0000, v43
	v_and_b32_e32 v34, 0xffff0000, v34
	v_cndmask_b32_e32 v15, 0x7fc00000, v40, vcc_lo
	v_and_b32_e32 v35, 0xffff0000, v35
	v_cmp_o_f32_e32 vcc_lo, v37, v37
	s_delay_alu instid0(VALU_DEP_2) | instskip(SKIP_2) | instid1(VALU_DEP_3)
	v_dual_mul_f32 v34, v15, v34 :: v_dual_mul_f32 v35, v16, v35
	v_bfe_u32 v16, v36, 16, 1
	v_add3_u32 v15, v37, v38, 0x7fff
	v_bfe_u32 v39, v34, 16, 1
	s_delay_alu instid0(VALU_DEP_4) | instskip(NEXT) | instid1(VALU_DEP_4)
	v_bfe_u32 v38, v35, 16, 1
	v_add3_u32 v16, v36, v16, 0x7fff
	s_delay_alu instid0(VALU_DEP_4) | instskip(NEXT) | instid1(VALU_DEP_4)
	v_and_b32_e32 v15, 0xffff0000, v15
	v_add3_u32 v39, v34, v39, 0x7fff
	s_delay_alu instid0(VALU_DEP_4) | instskip(NEXT) | instid1(VALU_DEP_4)
	v_add3_u32 v38, v35, v38, 0x7fff
	v_and_b32_e32 v16, 0xffff0000, v16
	s_delay_alu instid0(VALU_DEP_4)
	v_cndmask_b32_e64 v37, 0x7fc00000, |v15|, vcc_lo
	v_cmp_o_f32_e32 vcc_lo, v36, v36
	v_and_b32_e32 v39, 0xffff0000, v39
	v_and_b32_e32 v38, 0xffff0000, v38
	v_cndmask_b32_e64 v36, 0x7fc00000, |v16|, vcc_lo
	v_add_co_u32 v15, vcc_lo, v13, s20
	v_add_co_ci_u32_e32 v16, vcc_lo, s21, v14, vcc_lo
	v_cmp_o_f32_e32 vcc_lo, v34, v34
	s_delay_alu instid0(VALU_DEP_4) | instskip(SKIP_3) | instid1(VALU_DEP_1)
	v_max3_f32 v4, v4, v37, v36
	v_cndmask_b32_e64 v34, 0x7fc00000, |v39|, vcc_lo
	v_cmp_o_f32_e32 vcc_lo, v35, v35
	v_cndmask_b32_e64 v35, 0x7fc00000, |v38|, vcc_lo
	v_max3_f32 v4, v4, v34, v35
	v_cmpx_lt_i64_e64 v[15:16], v[9:10]
	s_cbranch_execz .LBB87_20
; %bb.22:                               ;   in Loop: Header=BB87_21 Depth=1
	v_add_co_u32 v34, vcc_lo, v21, v11
	v_add_co_ci_u32_e32 v35, vcc_lo, v22, v12, vcc_lo
	v_add_co_u32 v36, vcc_lo, v30, v11
	v_add_co_ci_u32_e32 v37, vcc_lo, v31, v12, vcc_lo
	s_mov_b32 s3, -1
	global_load_b64 v[34:35], v[34:35], off
	global_load_b64 v[36:37], v[36:37], off
	s_mov_b32 s30, exec_lo
	s_waitcnt vmcnt(1)
	v_lshlrev_b32_e32 v39, 16, v34
	v_and_b32_e32 v38, 0xffff0000, v34
	v_alignbit_b32 v34, v35, v34, 16
	s_delay_alu instid0(VALU_DEP_3) | instskip(NEXT) | instid1(VALU_DEP_3)
	v_mul_f32_e32 v39, v28, v39
	v_dual_mul_f32 v38, v28, v38 :: v_dual_and_b32 v35, 0xffff0000, v35
	s_waitcnt vmcnt(0)
	v_and_b32_e32 v40, 0xffff0000, v36
	s_delay_alu instid0(VALU_DEP_3) | instskip(NEXT) | instid1(VALU_DEP_3)
	v_bfe_u32 v42, v39, 16, 1
	v_mul_f32_e32 v35, v28, v35
	v_cmp_o_f32_e32 vcc_lo, v39, v39
	v_bfe_u32 v43, v38, 16, 1
	s_delay_alu instid0(VALU_DEP_4) | instskip(NEXT) | instid1(VALU_DEP_4)
	v_add3_u32 v42, v39, v42, 0x7fff
	v_bfe_u32 v44, v35, 16, 1
	s_delay_alu instid0(VALU_DEP_3) | instskip(NEXT) | instid1(VALU_DEP_3)
	v_add3_u32 v43, v38, v43, 0x7fff
	v_and_b32_e32 v42, 0xffff0000, v42
	s_delay_alu instid0(VALU_DEP_3) | instskip(NEXT) | instid1(VALU_DEP_3)
	v_add3_u32 v44, v35, v44, 0x7fff
	v_and_b32_e32 v43, 0xffff0000, v43
	s_delay_alu instid0(VALU_DEP_3)
	v_cndmask_b32_e32 v39, 0x7fc00000, v42, vcc_lo
	v_and_b32_e32 v34, 0xffff0000, v34
	v_lshlrev_b32_e32 v41, 16, v36
	v_cmp_o_f32_e32 vcc_lo, v38, v38
	v_and_b32_e32 v44, 0xffff0000, v44
	v_alignbit_b32 v36, v37, v36, 16
	s_delay_alu instid0(VALU_DEP_4) | instskip(SKIP_3) | instid1(VALU_DEP_4)
	v_dual_mul_f32 v34, v28, v34 :: v_dual_mul_f32 v39, v39, v41
	v_cndmask_b32_e32 v38, 0x7fc00000, v43, vcc_lo
	v_cmp_o_f32_e32 vcc_lo, v35, v35
	v_and_b32_e32 v37, 0xffff0000, v37
	v_bfe_u32 v45, v34, 16, 1
	s_delay_alu instid0(VALU_DEP_4) | instskip(SKIP_2) | instid1(VALU_DEP_4)
	v_mul_f32_e32 v38, v38, v40
	v_cndmask_b32_e32 v35, 0x7fc00000, v44, vcc_lo
	v_cmp_o_f32_e32 vcc_lo, v34, v34
	v_add3_u32 v45, v34, v45, 0x7fff
	v_and_b32_e32 v36, 0xffff0000, v36
	v_bfe_u32 v40, v39, 16, 1
	v_mul_f32_e32 v37, v35, v37
	v_bfe_u32 v35, v38, 16, 1
	v_and_b32_e32 v42, 0xffff0000, v45
	s_delay_alu instid0(VALU_DEP_2) | instskip(NEXT) | instid1(VALU_DEP_2)
	v_add3_u32 v35, v38, v35, 0x7fff
	v_cndmask_b32_e32 v34, 0x7fc00000, v42, vcc_lo
	v_cmp_o_f32_e32 vcc_lo, v39, v39
	s_delay_alu instid0(VALU_DEP_2) | instskip(SKIP_2) | instid1(VALU_DEP_3)
	v_dual_mul_f32 v36, v34, v36 :: v_dual_and_b32 v35, 0xffff0000, v35
	v_add3_u32 v34, v39, v40, 0x7fff
	v_bfe_u32 v40, v37, 16, 1
	v_bfe_u32 v41, v36, 16, 1
	s_delay_alu instid0(VALU_DEP_3) | instskip(NEXT) | instid1(VALU_DEP_3)
	v_and_b32_e32 v34, 0xffff0000, v34
	v_add3_u32 v40, v37, v40, 0x7fff
	s_delay_alu instid0(VALU_DEP_3) | instskip(NEXT) | instid1(VALU_DEP_3)
	v_add3_u32 v41, v36, v41, 0x7fff
	v_cndmask_b32_e64 v39, 0x7fc00000, |v34|, vcc_lo
	v_cmp_o_f32_e32 vcc_lo, v38, v38
	s_delay_alu instid0(VALU_DEP_4) | instskip(NEXT) | instid1(VALU_DEP_4)
	v_and_b32_e32 v40, 0xffff0000, v40
	v_and_b32_e32 v41, 0xffff0000, v41
	v_cndmask_b32_e64 v38, 0x7fc00000, |v35|, vcc_lo
	v_add_co_u32 v34, vcc_lo, s8, v13
	v_add_co_ci_u32_e32 v35, vcc_lo, s9, v14, vcc_lo
	v_cmp_o_f32_e32 vcc_lo, v36, v36
	s_delay_alu instid0(VALU_DEP_4) | instskip(SKIP_3) | instid1(VALU_DEP_1)
	v_max3_f32 v4, v4, v39, v38
	v_cndmask_b32_e64 v36, 0x7fc00000, |v41|, vcc_lo
	v_cmp_o_f32_e32 vcc_lo, v37, v37
	v_cndmask_b32_e64 v37, 0x7fc00000, |v40|, vcc_lo
	v_max3_f32 v4, v4, v36, v37
	v_cmpx_lt_i64_e64 v[34:35], v[9:10]
	s_cbranch_execz .LBB87_19
; %bb.23:                               ;   in Loop: Header=BB87_21 Depth=1
	v_add_co_u32 v34, vcc_lo, v19, v11
	v_add_co_ci_u32_e32 v35, vcc_lo, v20, v12, vcc_lo
	v_add_co_u32 v36, vcc_lo, v27, v11
	v_add_co_ci_u32_e32 v37, vcc_lo, v29, v12, vcc_lo
	global_load_b64 v[34:35], v[34:35], off
	global_load_b64 v[36:37], v[36:37], off
	s_waitcnt vmcnt(1)
	v_lshlrev_b32_e32 v39, 16, v34
	v_and_b32_e32 v38, 0xffff0000, v34
	v_alignbit_b32 v34, v35, v34, 16
	s_delay_alu instid0(VALU_DEP_3) | instskip(NEXT) | instid1(VALU_DEP_3)
	v_mul_f32_e32 v39, v28, v39
	v_dual_mul_f32 v38, v28, v38 :: v_dual_and_b32 v35, 0xffff0000, v35
	s_waitcnt vmcnt(0)
	v_and_b32_e32 v40, 0xffff0000, v36
	s_delay_alu instid0(VALU_DEP_3) | instskip(NEXT) | instid1(VALU_DEP_3)
	v_bfe_u32 v42, v39, 16, 1
	v_mul_f32_e32 v35, v28, v35
	v_cmp_o_f32_e32 vcc_lo, v39, v39
	v_bfe_u32 v43, v38, 16, 1
	s_delay_alu instid0(VALU_DEP_4) | instskip(NEXT) | instid1(VALU_DEP_4)
	v_add3_u32 v42, v39, v42, 0x7fff
	v_bfe_u32 v44, v35, 16, 1
	s_delay_alu instid0(VALU_DEP_3) | instskip(NEXT) | instid1(VALU_DEP_3)
	v_add3_u32 v43, v38, v43, 0x7fff
	v_and_b32_e32 v42, 0xffff0000, v42
	s_delay_alu instid0(VALU_DEP_3) | instskip(NEXT) | instid1(VALU_DEP_3)
	v_add3_u32 v44, v35, v44, 0x7fff
	v_and_b32_e32 v43, 0xffff0000, v43
	s_delay_alu instid0(VALU_DEP_3)
	v_cndmask_b32_e32 v39, 0x7fc00000, v42, vcc_lo
	v_and_b32_e32 v34, 0xffff0000, v34
	v_lshlrev_b32_e32 v41, 16, v36
	v_cmp_o_f32_e32 vcc_lo, v38, v38
	v_and_b32_e32 v44, 0xffff0000, v44
	v_alignbit_b32 v36, v37, v36, 16
	s_delay_alu instid0(VALU_DEP_4) | instskip(SKIP_3) | instid1(VALU_DEP_4)
	v_dual_mul_f32 v34, v28, v34 :: v_dual_mul_f32 v39, v39, v41
	v_cndmask_b32_e32 v38, 0x7fc00000, v43, vcc_lo
	v_cmp_o_f32_e32 vcc_lo, v35, v35
	v_and_b32_e32 v37, 0xffff0000, v37
	v_bfe_u32 v45, v34, 16, 1
	s_delay_alu instid0(VALU_DEP_4) | instskip(SKIP_2) | instid1(VALU_DEP_4)
	v_mul_f32_e32 v38, v38, v40
	v_cndmask_b32_e32 v35, 0x7fc00000, v44, vcc_lo
	v_cmp_o_f32_e32 vcc_lo, v34, v34
	v_add3_u32 v45, v34, v45, 0x7fff
	v_and_b32_e32 v36, 0xffff0000, v36
	v_bfe_u32 v40, v39, 16, 1
	v_mul_f32_e32 v35, v35, v37
	v_bfe_u32 v37, v38, 16, 1
	v_and_b32_e32 v42, 0xffff0000, v45
	s_delay_alu instid0(VALU_DEP_2) | instskip(NEXT) | instid1(VALU_DEP_2)
	v_add3_u32 v37, v38, v37, 0x7fff
	v_cndmask_b32_e32 v34, 0x7fc00000, v42, vcc_lo
	v_cmp_o_f32_e32 vcc_lo, v39, v39
	s_delay_alu instid0(VALU_DEP_2) | instskip(SKIP_2) | instid1(VALU_DEP_3)
	v_dual_mul_f32 v34, v34, v36 :: v_dual_and_b32 v37, 0xffff0000, v37
	v_add3_u32 v36, v39, v40, 0x7fff
	v_bfe_u32 v40, v35, 16, 1
	v_bfe_u32 v41, v34, 16, 1
	s_delay_alu instid0(VALU_DEP_3) | instskip(NEXT) | instid1(VALU_DEP_3)
	v_and_b32_e32 v36, 0xffff0000, v36
	v_add3_u32 v40, v35, v40, 0x7fff
	s_delay_alu instid0(VALU_DEP_3) | instskip(NEXT) | instid1(VALU_DEP_3)
	v_add3_u32 v41, v34, v41, 0x7fff
	v_cndmask_b32_e64 v36, 0x7fc00000, |v36|, vcc_lo
	v_cmp_o_f32_e32 vcc_lo, v38, v38
	s_delay_alu instid0(VALU_DEP_4) | instskip(NEXT) | instid1(VALU_DEP_4)
	v_and_b32_e32 v39, 0xffff0000, v40
	v_and_b32_e32 v38, 0xffff0000, v41
	v_cndmask_b32_e64 v37, 0x7fc00000, |v37|, vcc_lo
	v_add_co_u32 v13, vcc_lo, s24, v13
	v_add_co_ci_u32_e32 v14, vcc_lo, s17, v14, vcc_lo
	v_cmp_o_f32_e32 vcc_lo, v34, v34
	s_delay_alu instid0(VALU_DEP_4) | instskip(SKIP_4) | instid1(VALU_DEP_2)
	v_max3_f32 v4, v4, v36, v37
	v_cndmask_b32_e64 v34, 0x7fc00000, |v38|, vcc_lo
	v_cmp_o_f32_e32 vcc_lo, v35, v35
	v_cndmask_b32_e64 v35, 0x7fc00000, |v39|, vcc_lo
	v_cmp_lt_i64_e32 vcc_lo, v[13:14], v[9:10]
                                        ; implicit-def: $vgpr13_vgpr14
	v_max3_f32 v4, v4, v34, v35
	s_and_saveexec_b32 s31, vcc_lo
	s_delay_alu instid0(SALU_CYCLE_1)
	s_xor_b32 s31, exec_lo, s31
	s_cbranch_execz .LBB87_18
; %bb.24:                               ;   in Loop: Header=BB87_21 Depth=1
	v_add_co_u32 v13, vcc_lo, v17, v11
	v_add_co_ci_u32_e32 v14, vcc_lo, v18, v12, vcc_lo
	v_add_co_u32 v34, vcc_lo, v25, v11
	v_add_co_ci_u32_e32 v35, vcc_lo, v26, v12, vcc_lo
	v_add_co_u32 v17, vcc_lo, v17, s22
	global_load_b64 v[13:14], v[13:14], off
	global_load_b64 v[34:35], v[34:35], off
	v_add_co_ci_u32_e32 v18, vcc_lo, s23, v18, vcc_lo
	v_add_co_u32 v19, vcc_lo, v19, s22
	v_add_co_ci_u32_e32 v20, vcc_lo, s23, v20, vcc_lo
	v_add_co_u32 v21, vcc_lo, v21, s22
	;; [unrolled: 2-line block ×5, first 2 shown]
	v_add_co_ci_u32_e32 v29, vcc_lo, s23, v29, vcc_lo
	s_add_u32 s3, s20, s20
	s_addc_u32 s33, s21, s21
	s_add_u32 s3, s3, s20
	s_addc_u32 s33, s33, s21
	s_waitcnt vmcnt(1)
	v_lshlrev_b32_e32 v37, 16, v13
	s_waitcnt vmcnt(0)
	v_and_b32_e32 v38, 0xffff0000, v34
	v_lshlrev_b32_e32 v39, 16, v34
	v_alignbit_b32 v34, v35, v34, 16
	v_mul_f32_e32 v37, v28, v37
	s_delay_alu instid0(VALU_DEP_1) | instskip(SKIP_1) | instid1(VALU_DEP_2)
	v_bfe_u32 v40, v37, 16, 1
	v_cmp_o_f32_e32 vcc_lo, v37, v37
	v_add3_u32 v40, v37, v40, 0x7fff
	s_delay_alu instid0(VALU_DEP_1) | instskip(NEXT) | instid1(VALU_DEP_1)
	v_and_b32_e32 v40, 0xffff0000, v40
	v_cndmask_b32_e32 v37, 0x7fc00000, v40, vcc_lo
	v_and_b32_e32 v36, 0xffff0000, v13
	v_alignbit_b32 v13, v14, v13, 16
	s_delay_alu instid0(VALU_DEP_2) | instskip(NEXT) | instid1(VALU_DEP_2)
	v_dual_mul_f32 v37, v37, v39 :: v_dual_mul_f32 v36, v28, v36
	v_and_b32_e32 v13, 0xffff0000, v13
	v_and_b32_e32 v14, 0xffff0000, v14
	s_delay_alu instid0(VALU_DEP_3) | instskip(NEXT) | instid1(VALU_DEP_3)
	v_bfe_u32 v41, v36, 16, 1
	v_mul_f32_e32 v13, v28, v13
	s_delay_alu instid0(VALU_DEP_3) | instskip(SKIP_1) | instid1(VALU_DEP_4)
	v_mul_f32_e32 v14, v28, v14
	v_cmp_o_f32_e32 vcc_lo, v36, v36
	v_add3_u32 v41, v36, v41, 0x7fff
	s_delay_alu instid0(VALU_DEP_4) | instskip(NEXT) | instid1(VALU_DEP_4)
	v_bfe_u32 v43, v13, 16, 1
	v_bfe_u32 v42, v14, 16, 1
	s_delay_alu instid0(VALU_DEP_3) | instskip(NEXT) | instid1(VALU_DEP_3)
	v_and_b32_e32 v41, 0xffff0000, v41
	v_add3_u32 v43, v13, v43, 0x7fff
	s_delay_alu instid0(VALU_DEP_3) | instskip(NEXT) | instid1(VALU_DEP_3)
	v_add3_u32 v42, v14, v42, 0x7fff
	v_cndmask_b32_e32 v36, 0x7fc00000, v41, vcc_lo
	v_cmp_o_f32_e32 vcc_lo, v14, v14
	s_delay_alu instid0(VALU_DEP_3) | instskip(SKIP_3) | instid1(VALU_DEP_4)
	v_and_b32_e32 v42, 0xffff0000, v42
	v_and_b32_e32 v35, 0xffff0000, v35
	;; [unrolled: 1-line block ×3, first 2 shown]
	v_mul_f32_e32 v36, v36, v38
	v_cndmask_b32_e32 v14, 0x7fc00000, v42, vcc_lo
	v_and_b32_e32 v34, 0xffff0000, v34
	v_cmp_o_f32_e32 vcc_lo, v13, v13
	s_delay_alu instid0(VALU_DEP_4) | instskip(NEXT) | instid1(VALU_DEP_4)
	v_bfe_u32 v38, v36, 16, 1
	v_mul_f32_e32 v35, v14, v35
	v_bfe_u32 v14, v37, 16, 1
	v_cndmask_b32_e32 v13, 0x7fc00000, v40, vcc_lo
	s_delay_alu instid0(VALU_DEP_4) | instskip(SKIP_1) | instid1(VALU_DEP_4)
	v_add3_u32 v38, v36, v38, 0x7fff
	v_cmp_o_f32_e32 vcc_lo, v37, v37
	v_add3_u32 v14, v37, v14, 0x7fff
	s_delay_alu instid0(VALU_DEP_4) | instskip(SKIP_2) | instid1(VALU_DEP_4)
	v_mul_f32_e32 v34, v13, v34
	v_bfe_u32 v13, v35, 16, 1
	v_and_b32_e32 v38, 0xffff0000, v38
	v_and_b32_e32 v14, 0xffff0000, v14
	s_delay_alu instid0(VALU_DEP_4) | instskip(NEXT) | instid1(VALU_DEP_4)
	v_bfe_u32 v39, v34, 16, 1
	v_add3_u32 v13, v35, v13, 0x7fff
	s_delay_alu instid0(VALU_DEP_3) | instskip(SKIP_1) | instid1(VALU_DEP_3)
	v_cndmask_b32_e64 v37, 0x7fc00000, |v14|, vcc_lo
	v_cmp_o_f32_e32 vcc_lo, v36, v36
	v_and_b32_e32 v40, 0xffff0000, v13
	v_add3_u32 v39, v34, v39, 0x7fff
	v_cndmask_b32_e64 v36, 0x7fc00000, |v38|, vcc_lo
	v_add_co_u32 v13, vcc_lo, s3, v15
	v_add_co_ci_u32_e32 v14, vcc_lo, s33, v16, vcc_lo
	v_cmp_o_f32_e32 vcc_lo, v35, v35
	v_and_b32_e32 v15, 0xffff0000, v39
	v_max3_f32 v4, v4, v37, v36
	v_add_co_u32 v32, s3, v32, s22
	v_cndmask_b32_e64 v16, 0x7fc00000, |v40|, vcc_lo
	v_cmp_o_f32_e32 vcc_lo, v34, v34
	v_add_co_ci_u32_e64 v33, s3, s23, v33, s3
	v_cndmask_b32_e64 v15, 0x7fc00000, |v15|, vcc_lo
	v_add_co_u32 v30, vcc_lo, v30, s22
	v_add_co_ci_u32_e32 v31, vcc_lo, s23, v31, vcc_lo
	v_cmp_ge_i64_e32 vcc_lo, v[13:14], v[9:10]
	s_delay_alu instid0(VALU_DEP_4)
	v_max3_f32 v4, v4, v15, v16
	s_or_not1_b32 s3, vcc_lo, exec_lo
	s_branch .LBB87_18
.LBB87_25:
	s_or_b32 exec_lo, exec_lo, s25
.LBB87_26:
	s_delay_alu instid0(SALU_CYCLE_1)
	s_or_b32 exec_lo, exec_lo, s13
	s_lshr_b32 s13, s27, 5
	s_ashr_i32 s17, s16, 31
	v_cvt_f32_u32_e32 v9, s13
	s_sub_i32 s8, 0, s13
	s_add_i32 s9, s16, s13
	v_lshlrev_b32_e32 v29, 2, v0
	s_add_i32 s9, s9, -1
	v_rcp_iflag_f32_e32 v9, v9
	s_abs_i32 s22, s9
	s_ashr_i32 s9, s9, 31
	ds_store_b32 v29, v4
	s_waitcnt lgkmcnt(0)
	s_barrier
	buffer_gl0_inv
	v_mul_f32_e32 v9, 0x4f7ffffe, v9
	s_delay_alu instid0(VALU_DEP_1) | instskip(NEXT) | instid1(VALU_DEP_1)
	v_cvt_u32_f32_e32 v9, v9
	v_readfirstlane_b32 s3, v9
	s_delay_alu instid0(VALU_DEP_1) | instskip(NEXT) | instid1(SALU_CYCLE_1)
	s_mul_i32 s8, s8, s3
	s_mul_hi_u32 s8, s3, s8
	s_delay_alu instid0(SALU_CYCLE_1) | instskip(NEXT) | instid1(SALU_CYCLE_1)
	s_add_i32 s3, s3, s8
	s_mul_hi_u32 s3, s22, s3
	s_delay_alu instid0(SALU_CYCLE_1) | instskip(NEXT) | instid1(SALU_CYCLE_1)
	s_mul_i32 s8, s3, s13
	s_sub_i32 s8, s22, s8
	s_add_i32 s22, s3, 1
	s_sub_i32 s23, s8, s13
	s_cmp_ge_u32 s8, s13
	s_cselect_b32 s3, s22, s3
	s_cselect_b32 s8, s23, s8
	s_add_i32 s22, s3, 1
	s_cmp_ge_u32 s8, s13
	s_cselect_b32 s3, s22, s3
	s_delay_alu instid0(SALU_CYCLE_1) | instskip(NEXT) | instid1(SALU_CYCLE_1)
	s_xor_b32 s3, s3, s9
	s_sub_i32 s8, s3, s9
	s_delay_alu instid0(SALU_CYCLE_1) | instskip(NEXT) | instid1(SALU_CYCLE_1)
	s_ashr_i32 s9, s8, 31
	v_cmp_lt_i64_e64 s3, s[8:9], 1
	s_delay_alu instid0(VALU_DEP_1)
	s_and_b32 vcc_lo, exec_lo, s3
	s_cbranch_vccnz .LBB87_46
; %bb.27:
	v_lshrrev_b32_e32 v9, 5, v0
	v_and_b32_e32 v4, 31, v0
	s_mov_b64 s[22:23], 0
	s_mov_b64 s[24:25], src_shared_base
	s_delay_alu instid0(VALU_DEP_2) | instskip(NEXT) | instid1(VALU_DEP_2)
	v_mul_lo_u32 v19, s20, v9
	v_add_co_u32 v11, s3, v4, 16
	s_delay_alu instid0(VALU_DEP_1) | instskip(SKIP_1) | instid1(VALU_DEP_1)
	v_add_co_ci_u32_e64 v12, null, 0, 0, s3
	v_add_co_u32 v13, s3, v4, 8
	v_add_co_ci_u32_e64 v14, null, 0, 0, s3
	v_add_co_u32 v15, s3, v4, 4
	v_dual_mov_b32 v10, 0 :: v_dual_lshlrev_b32 v21, 2, v19
	v_lshlrev_b32_e32 v22, 2, v4
	v_add_co_ci_u32_e64 v16, null, 0, 0, s3
	v_add_co_u32 v17, s3, v4, 2
	s_delay_alu instid0(VALU_DEP_1) | instskip(SKIP_1) | instid1(VALU_DEP_1)
	v_add_co_ci_u32_e64 v18, null, 0, 0, s3
	v_add_co_u32 v19, s3, v4, 1
	v_add_co_ci_u32_e64 v20, null, 0, 0, s3
	v_add3_u32 v30, v21, v22, 0x80
	s_mul_i32 s3, s20, s13
	s_delay_alu instid0(SALU_CYCLE_1)
	s_lshl_b32 s28, s3, 2
	s_branch .LBB87_30
.LBB87_28:                              ;   in Loop: Header=BB87_30 Depth=1
	s_or_b32 exec_lo, exec_lo, s3
	v_mov_b32_e32 v22, s25
	flat_load_b32 v21, v[21:22] glc dlc
	s_waitcnt vmcnt(0)
.LBB87_29:                              ;   in Loop: Header=BB87_30 Depth=1
	s_or_b32 exec_lo, exec_lo, s24
	s_add_u32 s22, s22, 1
	v_add_nc_u32_e32 v30, s28, v30
	s_addc_u32 s23, s23, 0
	s_delay_alu instid0(SALU_CYCLE_1)
	s_cmp_eq_u64 s[22:23], s[8:9]
	s_cbranch_scc1 .LBB87_46
.LBB87_30:                              ; =>This Loop Header: Depth=1
                                        ;     Child Loop BB87_33 Depth 2
	s_waitcnt lgkmcnt(0)
	v_mad_u64_u32 v[21:22], null, s22, s13, v[9:10]
	s_mov_b32 s24, exec_lo
	s_delay_alu instid0(VALU_DEP_1) | instskip(NEXT) | instid1(VALU_DEP_1)
	v_mad_u64_u32 v[23:24], null, s23, s13, v[22:23]
	v_mov_b32_e32 v22, v23
	s_delay_alu instid0(VALU_DEP_1)
	v_cmpx_gt_i64_e64 s[16:17], v[21:22]
	s_cbranch_execz .LBB87_29
; %bb.31:                               ;   in Loop: Header=BB87_30 Depth=1
	v_mul_lo_u32 v24, v22, s20
	v_mul_lo_u32 v25, v21, s21
	v_mad_u64_u32 v[22:23], null, v21, s20, 0
	s_delay_alu instid0(VALU_DEP_1) | instskip(NEXT) | instid1(VALU_DEP_2)
	v_add3_u32 v23, v23, v25, v24
	v_add_co_u32 v24, vcc_lo, v22, s20
	v_add_co_u32 v31, s3, v22, v4
	s_delay_alu instid0(VALU_DEP_3) | instskip(SKIP_2) | instid1(VALU_DEP_2)
	v_add_co_ci_u32_e32 v25, vcc_lo, s21, v23, vcc_lo
	v_add_co_ci_u32_e64 v21, s3, 0, v23, s3
	s_mov_b32 s3, exec_lo
	v_cmp_gt_i64_e32 vcc_lo, s[18:19], v[24:25]
	v_cndmask_b32_e32 v25, s19, v25, vcc_lo
	v_cndmask_b32_e32 v24, s18, v24, vcc_lo
	v_add_co_u32 v26, vcc_lo, v31, 32
	v_add_co_ci_u32_e32 v27, vcc_lo, 0, v21, vcc_lo
	v_lshlrev_b32_e32 v21, 2, v31
	s_delay_alu instid0(VALU_DEP_2)
	v_cmpx_lt_i64_e64 v[26:27], v[24:25]
	s_cbranch_execz .LBB87_34
; %bb.32:                               ;   in Loop: Header=BB87_30 Depth=1
	ds_load_b32 v33, v21
	v_mov_b32_e32 v32, v30
	s_mov_b32 s29, 0
.LBB87_33:                              ;   Parent Loop BB87_30 Depth=1
                                        ; =>  This Inner Loop Header: Depth=2
	ds_load_b32 v34, v32
	v_add_co_u32 v26, vcc_lo, v26, 32
	v_add_co_ci_u32_e32 v27, vcc_lo, 0, v27, vcc_lo
	s_waitcnt lgkmcnt(1)
	v_dual_max_f32 v33, v33, v33 :: v_dual_add_nc_u32 v32, 0x80, v32
	s_delay_alu instid0(VALU_DEP_2) | instskip(SKIP_3) | instid1(VALU_DEP_1)
	v_cmp_ge_i64_e32 vcc_lo, v[26:27], v[24:25]
	s_or_b32 s29, vcc_lo, s29
	s_waitcnt lgkmcnt(0)
	v_max_f32_e32 v34, v34, v34
	v_max_f32_e32 v33, v33, v34
	ds_store_b32 v21, v33
	s_and_not1_b32 exec_lo, exec_lo, s29
	s_cbranch_execnz .LBB87_33
.LBB87_34:                              ;   in Loop: Header=BB87_30 Depth=1
	s_or_b32 exec_lo, exec_lo, s3
	v_sub_co_u32 v22, vcc_lo, v24, v22
	v_sub_co_ci_u32_e32 v23, vcc_lo, v25, v23, vcc_lo
	s_mov_b32 s3, exec_lo
	s_delay_alu instid0(VALU_DEP_1) | instskip(SKIP_1) | instid1(VALU_DEP_1)
	v_cmp_gt_i64_e32 vcc_lo, 32, v[22:23]
	v_dual_cndmask_b32 v24, 0, v23 :: v_dual_cndmask_b32 v23, 32, v22
	v_cmpx_lt_i64_e64 v[11:12], v[23:24]
	s_cbranch_execz .LBB87_36
; %bb.35:                               ;   in Loop: Header=BB87_30 Depth=1
	v_dual_mov_b32 v22, s25 :: v_dual_add_nc_u32 v25, 64, v21
	v_mov_b32_e32 v26, s25
	flat_load_b32 v27, v[21:22] glc dlc
	s_waitcnt vmcnt(0)
	flat_load_b32 v25, v[25:26] glc dlc
	s_waitcnt vmcnt(0) lgkmcnt(0)
	v_dual_max_f32 v26, v27, v27 :: v_dual_max_f32 v25, v25, v25
	s_delay_alu instid0(VALU_DEP_1)
	v_max_f32_e32 v25, v26, v25
	flat_store_b32 v[21:22], v25 dlc
	s_waitcnt_vscnt null, 0x0
.LBB87_36:                              ;   in Loop: Header=BB87_30 Depth=1
	s_or_b32 exec_lo, exec_lo, s3
	s_delay_alu instid0(SALU_CYCLE_1)
	s_mov_b32 s3, exec_lo
	v_cmpx_lt_i64_e64 v[13:14], v[23:24]
	s_cbranch_execz .LBB87_38
; %bb.37:                               ;   in Loop: Header=BB87_30 Depth=1
	v_dual_mov_b32 v22, s25 :: v_dual_add_nc_u32 v25, 32, v21
	v_mov_b32_e32 v26, s25
	flat_load_b32 v27, v[21:22] glc dlc
	s_waitcnt vmcnt(0)
	flat_load_b32 v25, v[25:26] glc dlc
	s_waitcnt vmcnt(0) lgkmcnt(0)
	v_dual_max_f32 v26, v27, v27 :: v_dual_max_f32 v25, v25, v25
	s_delay_alu instid0(VALU_DEP_1)
	v_max_f32_e32 v25, v26, v25
	flat_store_b32 v[21:22], v25 dlc
	s_waitcnt_vscnt null, 0x0
.LBB87_38:                              ;   in Loop: Header=BB87_30 Depth=1
	s_or_b32 exec_lo, exec_lo, s3
	s_delay_alu instid0(SALU_CYCLE_1)
	s_mov_b32 s3, exec_lo
	v_cmpx_ge_i64_e64 v[15:16], v[23:24]
	s_xor_b32 s3, exec_lo, s3
; %bb.39:                               ;   in Loop: Header=BB87_30 Depth=1
                                        ; implicit-def: $vgpr21
; %bb.40:                               ;   in Loop: Header=BB87_30 Depth=1
	s_delay_alu instid0(SALU_CYCLE_1)
	s_and_not1_saveexec_b32 s3, s3
	s_cbranch_execz .LBB87_42
; %bb.41:                               ;   in Loop: Header=BB87_30 Depth=1
	v_dual_mov_b32 v22, s25 :: v_dual_add_nc_u32 v25, 16, v21
	v_mov_b32_e32 v26, s25
	flat_load_b32 v27, v[21:22] glc dlc
	s_waitcnt vmcnt(0)
	flat_load_b32 v25, v[25:26] glc dlc
	s_waitcnt vmcnt(0) lgkmcnt(0)
	v_dual_max_f32 v26, v27, v27 :: v_dual_max_f32 v25, v25, v25
	s_delay_alu instid0(VALU_DEP_1)
	v_max_f32_e32 v25, v26, v25
	flat_store_b32 v[21:22], v25 dlc
	s_waitcnt_vscnt null, 0x0
.LBB87_42:                              ;   in Loop: Header=BB87_30 Depth=1
	s_or_b32 exec_lo, exec_lo, s3
	v_lshlrev_b32_e32 v21, 2, v31
	s_mov_b32 s3, exec_lo
	v_cmpx_lt_i64_e64 v[17:18], v[23:24]
	s_cbranch_execz .LBB87_44
; %bb.43:                               ;   in Loop: Header=BB87_30 Depth=1
	s_delay_alu instid0(VALU_DEP_2)
	v_dual_mov_b32 v22, s25 :: v_dual_add_nc_u32 v25, 8, v21
	v_mov_b32_e32 v26, s25
	flat_load_b32 v27, v[21:22] glc dlc
	s_waitcnt vmcnt(0)
	flat_load_b32 v25, v[25:26] glc dlc
	s_waitcnt vmcnt(0) lgkmcnt(0)
	v_dual_max_f32 v26, v27, v27 :: v_dual_max_f32 v25, v25, v25
	s_delay_alu instid0(VALU_DEP_1)
	v_max_f32_e32 v25, v26, v25
	flat_store_b32 v[21:22], v25 dlc
	s_waitcnt_vscnt null, 0x0
.LBB87_44:                              ;   in Loop: Header=BB87_30 Depth=1
	s_or_b32 exec_lo, exec_lo, s3
	s_delay_alu instid0(SALU_CYCLE_1)
	s_mov_b32 s3, exec_lo
	v_cmpx_lt_i64_e64 v[19:20], v[23:24]
	s_cbranch_execz .LBB87_28
; %bb.45:                               ;   in Loop: Header=BB87_30 Depth=1
	v_dual_mov_b32 v22, s25 :: v_dual_add_nc_u32 v23, 4, v21
	v_mov_b32_e32 v24, s25
	flat_load_b32 v25, v[21:22] glc dlc
	s_waitcnt vmcnt(0)
	flat_load_b32 v23, v[23:24] glc dlc
	s_waitcnt vmcnt(0) lgkmcnt(0)
	v_dual_max_f32 v24, v25, v25 :: v_dual_max_f32 v23, v23, v23
	s_delay_alu instid0(VALU_DEP_1)
	v_max_f32_e32 v23, v24, v23
	flat_store_b32 v[21:22], v23 dlc
	s_waitcnt_vscnt null, 0x0
	s_branch .LBB87_28
.LBB87_46:
	v_cmp_lt_i64_e32 vcc_lo, v[7:8], v[5:6]
	v_cmp_eq_u32_e64 s3, 0, v3
	s_mul_i32 s13, s17, s15
	s_mul_hi_u32 s17, s16, s15
	s_mul_i32 s8, s16, s15
	s_waitcnt lgkmcnt(0)
	s_and_b32 s9, s3, vcc_lo
	s_barrier
	buffer_gl0_inv
	s_and_saveexec_b32 s3, s9
	s_cbranch_execz .LBB87_50
; %bb.47:
	s_load_b64 s[0:1], s[0:1], 0x20
	ds_load_b32 v3, v29
	s_waitcnt lgkmcnt(0)
	s_cmp_eq_u64 s[0:1], 0
	s_cbranch_scc1 .LBB87_49
; %bb.48:
	s_load_b32 s0, s[0:1], 0x0
	v_max_f32_e32 v3, v3, v3
	s_waitcnt lgkmcnt(0)
	v_max_f32_e64 v4, s0, s0
	s_delay_alu instid0(VALU_DEP_1)
	v_min_f32_e32 v3, v3, v4
.LBB87_49:
	s_delay_alu instid0(VALU_DEP_1) | instskip(SKIP_2) | instid1(VALU_DEP_2)
	v_div_scale_f32 v4, null, 0x43e00000, 0x43e00000, v3
	v_div_scale_f32 v7, vcc_lo, v3, 0x43e00000, v3
	s_add_i32 s9, s17, s13
	v_rcp_f32_e32 v5, v4
	v_lshlrev_b64 v[1:2], 2, v[1:2]
	s_lshl_b64 s[0:1], s[8:9], 2
	s_delay_alu instid0(SALU_CYCLE_1) | instskip(SKIP_3) | instid1(VALU_DEP_1)
	s_add_u32 s0, s6, s0
	s_addc_u32 s1, s7, s1
	s_waitcnt_depctr 0xfff
	v_fma_f32 v6, -v4, v5, 1.0
	v_fmac_f32_e32 v5, v6, v5
	s_delay_alu instid0(VALU_DEP_1) | instskip(NEXT) | instid1(VALU_DEP_1)
	v_mul_f32_e32 v6, v7, v5
	v_fma_f32 v8, -v4, v6, v7
	s_delay_alu instid0(VALU_DEP_1) | instskip(NEXT) | instid1(VALU_DEP_1)
	v_fmac_f32_e32 v6, v8, v5
	v_fma_f32 v4, -v4, v6, v7
	s_delay_alu instid0(VALU_DEP_1) | instskip(SKIP_2) | instid1(VALU_DEP_3)
	v_div_fmas_f32 v4, v4, v5, v6
	v_add_co_u32 v1, vcc_lo, s0, v1
	v_add_co_ci_u32_e32 v2, vcc_lo, s1, v2, vcc_lo
	v_div_fixup_f32 v3, v4, 0x43e00000, v3
	s_delay_alu instid0(VALU_DEP_1)
	v_max_f32_e32 v3, 0x36924925, v3
	global_store_b32 v[1:2], v3, off
.LBB87_50:
	s_or_b32 exec_lo, exec_lo, s3
	s_waitcnt_vscnt null, 0x0
	s_barrier
	buffer_gl0_inv
	s_and_saveexec_b32 s0, s2
	s_cbranch_execz .LBB87_155
; %bb.51:
	s_mul_i32 s0, s19, s15
	s_mul_hi_u32 s1, s18, s15
	s_mul_i32 s2, s18, s15
	s_add_i32 s1, s1, s0
	s_add_u32 s2, s4, s2
	s_addc_u32 s3, s5, s1
	s_add_i32 s9, s17, s13
	v_mov_b32_e32 v1, 0
	s_lshl_b64 s[0:1], s[8:9], 2
	s_mul_i32 s4, s27, 3
	s_add_u32 s0, s6, s0
	s_addc_u32 s1, s7, s1
	s_lshl_b32 s5, s27, 1
	s_mov_b32 s6, 0
	s_mov_b32 s7, 0x43e00000
	s_add_i32 s8, s27, s27
	s_branch .LBB87_57
.LBB87_52:                              ;   in Loop: Header=BB87_57 Depth=1
	s_or_b32 exec_lo, exec_lo, s17
.LBB87_53:                              ;   in Loop: Header=BB87_57 Depth=1
	s_delay_alu instid0(SALU_CYCLE_1)
	s_or_b32 exec_lo, exec_lo, s16
	v_lshrrev_b32_e32 v6, 24, v12
	v_lshrrev_b32_e32 v10, 24, v11
	v_and_b32_e32 v11, 0x80000000, v4
	v_lshrrev_b32_e32 v9, 24, v9
	v_and_b32_e32 v8, 0xff, v8
	v_and_b32_e32 v6, 0x80, v6
	;; [unrolled: 1-line block ×3, first 2 shown]
	s_delay_alu instid0(VALU_DEP_3) | instskip(NEXT) | instid1(VALU_DEP_3)
	v_and_or_b32 v8, 0x80, v9, v8
	v_and_or_b32 v5, 0xff, v5, v6
	v_lshlrev_b32_e32 v6, 24, v3
	v_lshlrev_b64 v[3:4], 2, v[0:1]
	v_and_or_b32 v7, 0xff, v7, v10
	v_add3_u32 v0, s8, s27, v2
	v_lshlrev_b32_e32 v5, 16, v5
	s_delay_alu instid0(VALU_DEP_3) | instskip(SKIP_1) | instid1(VALU_DEP_3)
	v_lshlrev_b32_e32 v7, 8, v7
	v_add_co_u32 v2, vcc_lo, s2, v3
	v_or3_b32 v5, v11, v6, v5
	v_add_co_ci_u32_e32 v3, vcc_lo, s3, v4, vcc_lo
	v_cmp_le_u32_e32 vcc_lo, s12, v0
	s_delay_alu instid0(VALU_DEP_3)
	v_or3_b32 v4, v5, v7, v8
	s_or_not1_b32 s16, vcc_lo, exec_lo
	global_store_b32 v[2:3], v4, off
.LBB87_54:                              ;   in Loop: Header=BB87_57 Depth=1
	s_or_b32 exec_lo, exec_lo, s15
	s_delay_alu instid0(SALU_CYCLE_1)
	s_or_not1_b32 s15, s16, exec_lo
.LBB87_55:                              ;   in Loop: Header=BB87_57 Depth=1
	s_or_b32 exec_lo, exec_lo, s13
	s_delay_alu instid0(SALU_CYCLE_1)
	s_or_not1_b32 s13, s15, exec_lo
.LBB87_56:                              ;   in Loop: Header=BB87_57 Depth=1
	s_or_b32 exec_lo, exec_lo, s9
	s_delay_alu instid0(SALU_CYCLE_1) | instskip(NEXT) | instid1(SALU_CYCLE_1)
	s_and_b32 s9, exec_lo, s13
	s_or_b32 s6, s9, s6
	s_delay_alu instid0(SALU_CYCLE_1)
	s_and_not1_b32 exec_lo, exec_lo, s6
	s_cbranch_execz .LBB87_155
.LBB87_57:                              ; =>This Inner Loop Header: Depth=1
	v_lshlrev_b64 v[2:3], 3, v[0:1]
	v_lshrrev_b32_e32 v6, 2, v0
	s_mov_b32 s9, exec_lo
	s_delay_alu instid0(VALU_DEP_1) | instskip(NEXT) | instid1(VALU_DEP_3)
	v_and_b32_e32 v6, 0xffffffc, v6
	v_add_co_u32 v4, vcc_lo, s14, v2
	s_delay_alu instid0(VALU_DEP_4)
	v_add_co_ci_u32_e32 v5, vcc_lo, s26, v3, vcc_lo
	v_add_co_u32 v2, vcc_lo, s10, v2
	v_add_co_ci_u32_e32 v3, vcc_lo, s11, v3, vcc_lo
	global_load_b64 v[4:5], v[4:5], off
	global_load_b32 v9, v6, s[0:1]
	global_load_b64 v[2:3], v[2:3], off
	s_waitcnt vmcnt(2)
	v_lshlrev_b32_e32 v6, 16, v4
	s_waitcnt vmcnt(0)
	v_lshlrev_b32_e32 v8, 16, v2
	s_delay_alu instid0(VALU_DEP_2) | instskip(NEXT) | instid1(VALU_DEP_1)
	v_mul_f32_e32 v6, v28, v6
	v_bfe_u32 v7, v6, 16, 1
	s_delay_alu instid0(VALU_DEP_1) | instskip(NEXT) | instid1(VALU_DEP_1)
	v_add3_u32 v7, v6, v7, 0x7fff
	v_and_b32_e32 v7, 0xffff0000, v7
	v_cmp_o_f32_e32 vcc_lo, v6, v6
	s_delay_alu instid0(VALU_DEP_2) | instskip(NEXT) | instid1(VALU_DEP_1)
	v_cndmask_b32_e32 v6, 0x7fc00000, v7, vcc_lo
	v_mul_f32_e32 v6, v6, v8
	s_delay_alu instid0(VALU_DEP_1) | instskip(NEXT) | instid1(VALU_DEP_1)
	v_bfe_u32 v7, v6, 16, 1
	v_add3_u32 v7, v6, v7, 0x7fff
	s_delay_alu instid0(VALU_DEP_1) | instskip(SKIP_1) | instid1(VALU_DEP_2)
	v_and_b32_e32 v7, 0xffff0000, v7
	v_cmp_o_f32_e32 vcc_lo, v6, v6
	v_cndmask_b32_e32 v6, 0x7fc00000, v7, vcc_lo
	s_delay_alu instid0(VALU_DEP_1) | instskip(SKIP_1) | instid1(VALU_DEP_2)
	v_div_scale_f32 v7, null, v9, v9, v6
	v_div_scale_f32 v11, vcc_lo, v6, v9, v6
	v_rcp_f32_e32 v8, v7
	s_waitcnt_depctr 0xfff
	v_fma_f32 v10, -v7, v8, 1.0
	s_delay_alu instid0(VALU_DEP_1) | instskip(NEXT) | instid1(VALU_DEP_1)
	v_fmac_f32_e32 v8, v10, v8
	v_mul_f32_e32 v10, v11, v8
	s_delay_alu instid0(VALU_DEP_1) | instskip(NEXT) | instid1(VALU_DEP_1)
	v_fma_f32 v12, -v7, v10, v11
	v_fmac_f32_e32 v10, v12, v8
	s_delay_alu instid0(VALU_DEP_1) | instskip(NEXT) | instid1(VALU_DEP_1)
	v_fma_f32 v7, -v7, v10, v11
	v_div_fmas_f32 v7, v7, v8, v10
	s_delay_alu instid0(VALU_DEP_1) | instskip(SKIP_1) | instid1(VALU_DEP_2)
	v_div_fixup_f32 v6, v7, v9, v6
	v_mov_b32_e32 v7, 0x7f
	v_minmax_f32 v8, v6, s7, 0xc3e00000
	v_mov_b32_e32 v6, 0x7f
	s_delay_alu instid0(VALU_DEP_2) | instskip(NEXT) | instid1(VALU_DEP_1)
	v_and_b32_e32 v10, 0x7fffffff, v8
	v_cmpx_gt_u32_e32 0x43f00000, v10
	s_cbranch_execz .LBB87_63
; %bb.58:                               ;   in Loop: Header=BB87_57 Depth=1
	s_mov_b32 s13, exec_lo
                                        ; implicit-def: $vgpr7
	v_cmpx_lt_u32_e32 0x3c7fffff, v10
	s_xor_b32 s13, exec_lo, s13
; %bb.59:                               ;   in Loop: Header=BB87_57 Depth=1
	v_bfe_u32 v7, v8, 20, 1
	s_delay_alu instid0(VALU_DEP_1) | instskip(NEXT) | instid1(VALU_DEP_1)
	v_add3_u32 v7, v8, v7, 0x407ffff
	v_lshrrev_b32_e32 v7, 20, v7
; %bb.60:                               ;   in Loop: Header=BB87_57 Depth=1
	s_and_not1_saveexec_b32 s13, s13
; %bb.61:                               ;   in Loop: Header=BB87_57 Depth=1
	v_add_f32_e64 v7, 0x46800000, |v8|
; %bb.62:                               ;   in Loop: Header=BB87_57 Depth=1
	s_or_b32 exec_lo, exec_lo, s13
.LBB87_63:                              ;   in Loop: Header=BB87_57 Depth=1
	s_delay_alu instid0(SALU_CYCLE_1) | instskip(SKIP_3) | instid1(VALU_DEP_2)
	s_or_b32 exec_lo, exec_lo, s9
	v_and_b32_e32 v10, 0xffff0000, v4
	v_and_b32_e32 v12, 0xffff0000, v2
	s_mov_b32 s9, exec_lo
	v_mul_f32_e32 v10, v28, v10
	s_delay_alu instid0(VALU_DEP_1) | instskip(NEXT) | instid1(VALU_DEP_1)
	v_bfe_u32 v11, v10, 16, 1
	v_add3_u32 v11, v10, v11, 0x7fff
	s_delay_alu instid0(VALU_DEP_1) | instskip(SKIP_1) | instid1(VALU_DEP_2)
	v_and_b32_e32 v11, 0xffff0000, v11
	v_cmp_o_f32_e32 vcc_lo, v10, v10
	v_cndmask_b32_e32 v10, 0x7fc00000, v11, vcc_lo
	s_delay_alu instid0(VALU_DEP_1) | instskip(NEXT) | instid1(VALU_DEP_1)
	v_mul_f32_e32 v10, v10, v12
	v_bfe_u32 v11, v10, 16, 1
	s_delay_alu instid0(VALU_DEP_1) | instskip(NEXT) | instid1(VALU_DEP_1)
	v_add3_u32 v11, v10, v11, 0x7fff
	v_and_b32_e32 v11, 0xffff0000, v11
	v_cmp_o_f32_e32 vcc_lo, v10, v10
	s_delay_alu instid0(VALU_DEP_2) | instskip(NEXT) | instid1(VALU_DEP_1)
	v_cndmask_b32_e32 v10, 0x7fc00000, v11, vcc_lo
	v_div_scale_f32 v11, null, v9, v9, v10
	s_delay_alu instid0(VALU_DEP_1) | instskip(SKIP_2) | instid1(VALU_DEP_1)
	v_rcp_f32_e32 v12, v11
	s_waitcnt_depctr 0xfff
	v_fma_f32 v13, -v11, v12, 1.0
	v_fmac_f32_e32 v12, v13, v12
	v_div_scale_f32 v13, vcc_lo, v10, v9, v10
	s_delay_alu instid0(VALU_DEP_1) | instskip(NEXT) | instid1(VALU_DEP_1)
	v_mul_f32_e32 v14, v13, v12
	v_fma_f32 v15, -v11, v14, v13
	s_delay_alu instid0(VALU_DEP_1) | instskip(NEXT) | instid1(VALU_DEP_1)
	v_fmac_f32_e32 v14, v15, v12
	v_fma_f32 v11, -v11, v14, v13
	s_delay_alu instid0(VALU_DEP_1) | instskip(NEXT) | instid1(VALU_DEP_1)
	v_div_fmas_f32 v11, v11, v12, v14
	v_div_fixup_f32 v10, v11, v9, v10
	s_delay_alu instid0(VALU_DEP_1) | instskip(NEXT) | instid1(VALU_DEP_1)
	v_minmax_f32 v10, v10, s7, 0xc3e00000
	v_and_b32_e32 v11, 0x7fffffff, v10
	s_delay_alu instid0(VALU_DEP_1)
	v_cmpx_gt_u32_e32 0x43f00000, v11
	s_cbranch_execz .LBB87_69
; %bb.64:                               ;   in Loop: Header=BB87_57 Depth=1
	s_mov_b32 s13, exec_lo
                                        ; implicit-def: $vgpr6
	v_cmpx_lt_u32_e32 0x3c7fffff, v11
	s_xor_b32 s13, exec_lo, s13
; %bb.65:                               ;   in Loop: Header=BB87_57 Depth=1
	v_bfe_u32 v6, v10, 20, 1
	s_delay_alu instid0(VALU_DEP_1) | instskip(NEXT) | instid1(VALU_DEP_1)
	v_add3_u32 v6, v10, v6, 0x407ffff
	v_lshrrev_b32_e32 v6, 20, v6
; %bb.66:                               ;   in Loop: Header=BB87_57 Depth=1
	s_and_not1_saveexec_b32 s13, s13
; %bb.67:                               ;   in Loop: Header=BB87_57 Depth=1
	v_add_f32_e64 v6, 0x46800000, |v10|
; %bb.68:                               ;   in Loop: Header=BB87_57 Depth=1
	s_or_b32 exec_lo, exec_lo, s13
.LBB87_69:                              ;   in Loop: Header=BB87_57 Depth=1
	s_delay_alu instid0(SALU_CYCLE_1) | instskip(SKIP_3) | instid1(VALU_DEP_2)
	s_or_b32 exec_lo, exec_lo, s9
	v_alignbit_b32 v4, v5, v4, 16
	v_alignbit_b32 v2, v3, v2, 16
	s_mov_b32 s9, exec_lo
	v_and_b32_e32 v4, 0xffff0000, v4
	s_delay_alu instid0(VALU_DEP_2) | instskip(NEXT) | instid1(VALU_DEP_2)
	v_and_b32_e32 v2, 0xffff0000, v2
	v_mul_f32_e32 v4, v28, v4
	s_delay_alu instid0(VALU_DEP_1) | instskip(NEXT) | instid1(VALU_DEP_1)
	v_bfe_u32 v11, v4, 16, 1
	v_add3_u32 v11, v4, v11, 0x7fff
	s_delay_alu instid0(VALU_DEP_1) | instskip(SKIP_1) | instid1(VALU_DEP_2)
	v_and_b32_e32 v11, 0xffff0000, v11
	v_cmp_o_f32_e32 vcc_lo, v4, v4
	v_cndmask_b32_e32 v4, 0x7fc00000, v11, vcc_lo
	s_delay_alu instid0(VALU_DEP_1) | instskip(NEXT) | instid1(VALU_DEP_1)
	v_mul_f32_e32 v2, v4, v2
	v_bfe_u32 v4, v2, 16, 1
	v_cmp_o_f32_e32 vcc_lo, v2, v2
	s_delay_alu instid0(VALU_DEP_2) | instskip(NEXT) | instid1(VALU_DEP_1)
	v_add3_u32 v4, v2, v4, 0x7fff
	v_and_b32_e32 v4, 0xffff0000, v4
	s_delay_alu instid0(VALU_DEP_1) | instskip(NEXT) | instid1(VALU_DEP_1)
	v_cndmask_b32_e32 v2, 0x7fc00000, v4, vcc_lo
	v_div_scale_f32 v4, null, v9, v9, v2
	v_div_scale_f32 v13, vcc_lo, v2, v9, v2
	s_delay_alu instid0(VALU_DEP_2) | instskip(SKIP_2) | instid1(VALU_DEP_1)
	v_rcp_f32_e32 v11, v4
	s_waitcnt_depctr 0xfff
	v_fma_f32 v12, -v4, v11, 1.0
	v_fmac_f32_e32 v11, v12, v11
	s_delay_alu instid0(VALU_DEP_1) | instskip(NEXT) | instid1(VALU_DEP_1)
	v_mul_f32_e32 v12, v13, v11
	v_fma_f32 v14, -v4, v12, v13
	s_delay_alu instid0(VALU_DEP_1) | instskip(NEXT) | instid1(VALU_DEP_1)
	v_fmac_f32_e32 v12, v14, v11
	v_fma_f32 v4, -v4, v12, v13
	s_delay_alu instid0(VALU_DEP_1) | instskip(NEXT) | instid1(VALU_DEP_1)
	v_div_fmas_f32 v4, v4, v11, v12
	v_div_fixup_f32 v2, v4, v9, v2
	v_mov_b32_e32 v4, 0x7f
	s_delay_alu instid0(VALU_DEP_2) | instskip(SKIP_1) | instid1(VALU_DEP_2)
	v_minmax_f32 v11, v2, s7, 0xc3e00000
	v_mov_b32_e32 v2, 0x7f
	v_and_b32_e32 v12, 0x7fffffff, v11
	s_delay_alu instid0(VALU_DEP_1)
	v_cmpx_gt_u32_e32 0x43f00000, v12
	s_cbranch_execz .LBB87_75
; %bb.70:                               ;   in Loop: Header=BB87_57 Depth=1
	s_mov_b32 s13, exec_lo
                                        ; implicit-def: $vgpr4
	v_cmpx_lt_u32_e32 0x3c7fffff, v12
	s_xor_b32 s13, exec_lo, s13
; %bb.71:                               ;   in Loop: Header=BB87_57 Depth=1
	v_bfe_u32 v4, v11, 20, 1
	s_delay_alu instid0(VALU_DEP_1) | instskip(NEXT) | instid1(VALU_DEP_1)
	v_add3_u32 v4, v11, v4, 0x407ffff
	v_lshrrev_b32_e32 v4, 20, v4
; %bb.72:                               ;   in Loop: Header=BB87_57 Depth=1
	s_and_not1_saveexec_b32 s13, s13
; %bb.73:                               ;   in Loop: Header=BB87_57 Depth=1
	v_add_f32_e64 v4, 0x46800000, |v11|
; %bb.74:                               ;   in Loop: Header=BB87_57 Depth=1
	s_or_b32 exec_lo, exec_lo, s13
.LBB87_75:                              ;   in Loop: Header=BB87_57 Depth=1
	s_delay_alu instid0(SALU_CYCLE_1) | instskip(SKIP_3) | instid1(VALU_DEP_2)
	s_or_b32 exec_lo, exec_lo, s9
	v_and_b32_e32 v5, 0xffff0000, v5
	v_and_b32_e32 v3, 0xffff0000, v3
	s_mov_b32 s9, exec_lo
	v_mul_f32_e32 v5, v28, v5
	s_delay_alu instid0(VALU_DEP_1) | instskip(NEXT) | instid1(VALU_DEP_1)
	v_bfe_u32 v12, v5, 16, 1
	v_add3_u32 v12, v5, v12, 0x7fff
	s_delay_alu instid0(VALU_DEP_1) | instskip(SKIP_1) | instid1(VALU_DEP_2)
	v_and_b32_e32 v12, 0xffff0000, v12
	v_cmp_o_f32_e32 vcc_lo, v5, v5
	v_cndmask_b32_e32 v5, 0x7fc00000, v12, vcc_lo
	s_delay_alu instid0(VALU_DEP_1) | instskip(NEXT) | instid1(VALU_DEP_1)
	v_mul_f32_e32 v3, v5, v3
	v_bfe_u32 v5, v3, 16, 1
	v_cmp_o_f32_e32 vcc_lo, v3, v3
	s_delay_alu instid0(VALU_DEP_2) | instskip(NEXT) | instid1(VALU_DEP_1)
	v_add3_u32 v5, v3, v5, 0x7fff
	v_and_b32_e32 v5, 0xffff0000, v5
	s_delay_alu instid0(VALU_DEP_1) | instskip(NEXT) | instid1(VALU_DEP_1)
	v_cndmask_b32_e32 v3, 0x7fc00000, v5, vcc_lo
	v_div_scale_f32 v5, null, v9, v9, v3
	s_delay_alu instid0(VALU_DEP_1) | instskip(SKIP_2) | instid1(VALU_DEP_1)
	v_rcp_f32_e32 v12, v5
	s_waitcnt_depctr 0xfff
	v_fma_f32 v13, -v5, v12, 1.0
	v_fmac_f32_e32 v12, v13, v12
	v_div_scale_f32 v13, vcc_lo, v3, v9, v3
	s_delay_alu instid0(VALU_DEP_1) | instskip(NEXT) | instid1(VALU_DEP_1)
	v_mul_f32_e32 v14, v13, v12
	v_fma_f32 v15, -v5, v14, v13
	s_delay_alu instid0(VALU_DEP_1) | instskip(NEXT) | instid1(VALU_DEP_1)
	v_fmac_f32_e32 v14, v15, v12
	v_fma_f32 v5, -v5, v14, v13
	s_delay_alu instid0(VALU_DEP_1) | instskip(NEXT) | instid1(VALU_DEP_1)
	v_div_fmas_f32 v5, v5, v12, v14
	v_div_fixup_f32 v3, v5, v9, v3
	s_delay_alu instid0(VALU_DEP_1) | instskip(NEXT) | instid1(VALU_DEP_1)
	v_minmax_f32 v3, v3, s7, 0xc3e00000
	v_and_b32_e32 v5, 0x7fffffff, v3
	s_delay_alu instid0(VALU_DEP_1)
	v_cmpx_gt_u32_e32 0x43f00000, v5
	s_cbranch_execz .LBB87_81
; %bb.76:                               ;   in Loop: Header=BB87_57 Depth=1
	s_mov_b32 s13, exec_lo
                                        ; implicit-def: $vgpr2
	v_cmpx_lt_u32_e32 0x3c7fffff, v5
	s_xor_b32 s13, exec_lo, s13
; %bb.77:                               ;   in Loop: Header=BB87_57 Depth=1
	v_bfe_u32 v2, v3, 20, 1
	s_delay_alu instid0(VALU_DEP_1) | instskip(NEXT) | instid1(VALU_DEP_1)
	v_add3_u32 v2, v3, v2, 0x407ffff
	v_lshrrev_b32_e32 v2, 20, v2
; %bb.78:                               ;   in Loop: Header=BB87_57 Depth=1
	s_and_not1_saveexec_b32 s13, s13
; %bb.79:                               ;   in Loop: Header=BB87_57 Depth=1
	v_add_f32_e64 v2, 0x46800000, |v3|
; %bb.80:                               ;   in Loop: Header=BB87_57 Depth=1
	s_or_b32 exec_lo, exec_lo, s13
.LBB87_81:                              ;   in Loop: Header=BB87_57 Depth=1
	s_delay_alu instid0(SALU_CYCLE_1)
	s_or_b32 exec_lo, exec_lo, s9
	v_lshrrev_b32_e32 v5, 24, v11
	v_lshrrev_b32_e32 v9, 24, v10
	;; [unrolled: 1-line block ×3, first 2 shown]
	v_lshlrev_b32_e32 v2, 24, v2
	v_and_b32_e32 v7, 0xff, v7
	v_and_b32_e32 v5, 0x80, v5
	;; [unrolled: 1-line block ×3, first 2 shown]
	s_mov_b32 s13, -1
	s_mov_b32 s9, exec_lo
	v_and_or_b32 v7, 0x80, v8, v7
	v_and_or_b32 v4, 0xff, v4, v5
	v_and_b32_e32 v5, 0x80000000, v3
	v_and_or_b32 v6, 0xff, v6, v9
	s_delay_alu instid0(VALU_DEP_3) | instskip(SKIP_1) | instid1(VALU_DEP_3)
	v_lshlrev_b32_e32 v9, 16, v4
	v_lshlrev_b64 v[3:4], 2, v[0:1]
	v_lshlrev_b32_e32 v6, 8, v6
	s_delay_alu instid0(VALU_DEP_3) | instskip(SKIP_1) | instid1(VALU_DEP_4)
	v_or3_b32 v5, v5, v2, v9
	v_add_nc_u32_e32 v2, s27, v0
	v_add_co_u32 v3, vcc_lo, s2, v3
	v_add_co_ci_u32_e32 v4, vcc_lo, s3, v4, vcc_lo
	s_delay_alu instid0(VALU_DEP_4)
	v_or3_b32 v5, v5, v6, v7
	global_store_b32 v[3:4], v5, off
	v_cmpx_gt_u32_e64 s12, v2
	s_cbranch_execz .LBB87_56
; %bb.82:                               ;   in Loop: Header=BB87_57 Depth=1
	v_lshrrev_b32_e32 v8, 2, v2
	v_mov_b32_e32 v3, v1
	s_mov_b32 s13, exec_lo
	s_delay_alu instid0(VALU_DEP_2) | instskip(NEXT) | instid1(VALU_DEP_2)
	v_and_b32_e32 v8, 0xffffffc, v8
	v_lshlrev_b64 v[4:5], 3, v[2:3]
	global_load_b32 v11, v8, s[0:1]
	v_add_co_u32 v6, vcc_lo, s14, v4
	v_add_co_ci_u32_e32 v7, vcc_lo, s26, v5, vcc_lo
	v_add_co_u32 v4, vcc_lo, s10, v4
	v_add_co_ci_u32_e32 v5, vcc_lo, s11, v5, vcc_lo
	global_load_b64 v[6:7], v[6:7], off
	global_load_b64 v[4:5], v[4:5], off
	s_waitcnt vmcnt(1)
	v_lshlrev_b32_e32 v8, 16, v6
	s_waitcnt vmcnt(0)
	v_lshlrev_b32_e32 v10, 16, v4
	s_delay_alu instid0(VALU_DEP_2) | instskip(NEXT) | instid1(VALU_DEP_1)
	v_mul_f32_e32 v8, v28, v8
	v_bfe_u32 v9, v8, 16, 1
	s_delay_alu instid0(VALU_DEP_1) | instskip(NEXT) | instid1(VALU_DEP_1)
	v_add3_u32 v9, v8, v9, 0x7fff
	v_and_b32_e32 v9, 0xffff0000, v9
	v_cmp_o_f32_e32 vcc_lo, v8, v8
	s_delay_alu instid0(VALU_DEP_2) | instskip(NEXT) | instid1(VALU_DEP_1)
	v_cndmask_b32_e32 v8, 0x7fc00000, v9, vcc_lo
	v_mul_f32_e32 v8, v8, v10
	s_delay_alu instid0(VALU_DEP_1) | instskip(NEXT) | instid1(VALU_DEP_1)
	v_bfe_u32 v9, v8, 16, 1
	v_add3_u32 v9, v8, v9, 0x7fff
	s_delay_alu instid0(VALU_DEP_1) | instskip(SKIP_1) | instid1(VALU_DEP_2)
	v_and_b32_e32 v9, 0xffff0000, v9
	v_cmp_o_f32_e32 vcc_lo, v8, v8
	v_cndmask_b32_e32 v8, 0x7fc00000, v9, vcc_lo
	s_delay_alu instid0(VALU_DEP_1) | instskip(SKIP_1) | instid1(VALU_DEP_2)
	v_div_scale_f32 v9, null, v11, v11, v8
	v_div_scale_f32 v13, vcc_lo, v8, v11, v8
	v_rcp_f32_e32 v10, v9
	s_waitcnt_depctr 0xfff
	v_fma_f32 v12, -v9, v10, 1.0
	s_delay_alu instid0(VALU_DEP_1) | instskip(NEXT) | instid1(VALU_DEP_1)
	v_fmac_f32_e32 v10, v12, v10
	v_mul_f32_e32 v12, v13, v10
	s_delay_alu instid0(VALU_DEP_1) | instskip(NEXT) | instid1(VALU_DEP_1)
	v_fma_f32 v14, -v9, v12, v13
	v_fmac_f32_e32 v12, v14, v10
	s_delay_alu instid0(VALU_DEP_1) | instskip(NEXT) | instid1(VALU_DEP_1)
	v_fma_f32 v9, -v9, v12, v13
	v_div_fmas_f32 v9, v9, v10, v12
	s_delay_alu instid0(VALU_DEP_1) | instskip(SKIP_1) | instid1(VALU_DEP_2)
	v_div_fixup_f32 v8, v9, v11, v8
	v_mov_b32_e32 v9, 0x7f
	v_minmax_f32 v10, v8, s7, 0xc3e00000
	v_mov_b32_e32 v8, 0x7f
	s_delay_alu instid0(VALU_DEP_2) | instskip(NEXT) | instid1(VALU_DEP_1)
	v_and_b32_e32 v12, 0x7fffffff, v10
	v_cmpx_gt_u32_e32 0x43f00000, v12
	s_cbranch_execz .LBB87_88
; %bb.83:                               ;   in Loop: Header=BB87_57 Depth=1
	s_mov_b32 s15, exec_lo
                                        ; implicit-def: $vgpr9
	v_cmpx_lt_u32_e32 0x3c7fffff, v12
	s_xor_b32 s15, exec_lo, s15
; %bb.84:                               ;   in Loop: Header=BB87_57 Depth=1
	v_bfe_u32 v9, v10, 20, 1
	s_delay_alu instid0(VALU_DEP_1) | instskip(NEXT) | instid1(VALU_DEP_1)
	v_add3_u32 v9, v10, v9, 0x407ffff
	v_lshrrev_b32_e32 v9, 20, v9
; %bb.85:                               ;   in Loop: Header=BB87_57 Depth=1
	s_and_not1_saveexec_b32 s15, s15
; %bb.86:                               ;   in Loop: Header=BB87_57 Depth=1
	v_add_f32_e64 v9, 0x46800000, |v10|
; %bb.87:                               ;   in Loop: Header=BB87_57 Depth=1
	s_or_b32 exec_lo, exec_lo, s15
.LBB87_88:                              ;   in Loop: Header=BB87_57 Depth=1
	s_delay_alu instid0(SALU_CYCLE_1) | instskip(SKIP_3) | instid1(VALU_DEP_2)
	s_or_b32 exec_lo, exec_lo, s13
	v_and_b32_e32 v12, 0xffff0000, v6
	v_and_b32_e32 v14, 0xffff0000, v4
	s_mov_b32 s13, exec_lo
	v_mul_f32_e32 v12, v28, v12
	s_delay_alu instid0(VALU_DEP_1) | instskip(NEXT) | instid1(VALU_DEP_1)
	v_bfe_u32 v13, v12, 16, 1
	v_add3_u32 v13, v12, v13, 0x7fff
	s_delay_alu instid0(VALU_DEP_1) | instskip(SKIP_1) | instid1(VALU_DEP_2)
	v_and_b32_e32 v13, 0xffff0000, v13
	v_cmp_o_f32_e32 vcc_lo, v12, v12
	v_cndmask_b32_e32 v12, 0x7fc00000, v13, vcc_lo
	s_delay_alu instid0(VALU_DEP_1) | instskip(NEXT) | instid1(VALU_DEP_1)
	v_mul_f32_e32 v12, v12, v14
	v_bfe_u32 v13, v12, 16, 1
	s_delay_alu instid0(VALU_DEP_1) | instskip(NEXT) | instid1(VALU_DEP_1)
	v_add3_u32 v13, v12, v13, 0x7fff
	v_and_b32_e32 v13, 0xffff0000, v13
	v_cmp_o_f32_e32 vcc_lo, v12, v12
	s_delay_alu instid0(VALU_DEP_2) | instskip(NEXT) | instid1(VALU_DEP_1)
	v_cndmask_b32_e32 v12, 0x7fc00000, v13, vcc_lo
	v_div_scale_f32 v13, null, v11, v11, v12
	s_delay_alu instid0(VALU_DEP_1) | instskip(SKIP_2) | instid1(VALU_DEP_1)
	v_rcp_f32_e32 v14, v13
	s_waitcnt_depctr 0xfff
	v_fma_f32 v15, -v13, v14, 1.0
	v_fmac_f32_e32 v14, v15, v14
	v_div_scale_f32 v15, vcc_lo, v12, v11, v12
	s_delay_alu instid0(VALU_DEP_1) | instskip(NEXT) | instid1(VALU_DEP_1)
	v_mul_f32_e32 v16, v15, v14
	v_fma_f32 v17, -v13, v16, v15
	s_delay_alu instid0(VALU_DEP_1) | instskip(NEXT) | instid1(VALU_DEP_1)
	v_fmac_f32_e32 v16, v17, v14
	v_fma_f32 v13, -v13, v16, v15
	s_delay_alu instid0(VALU_DEP_1) | instskip(NEXT) | instid1(VALU_DEP_1)
	v_div_fmas_f32 v13, v13, v14, v16
	v_div_fixup_f32 v12, v13, v11, v12
	s_delay_alu instid0(VALU_DEP_1) | instskip(NEXT) | instid1(VALU_DEP_1)
	v_minmax_f32 v12, v12, s7, 0xc3e00000
	v_and_b32_e32 v13, 0x7fffffff, v12
	s_delay_alu instid0(VALU_DEP_1)
	v_cmpx_gt_u32_e32 0x43f00000, v13
	s_cbranch_execz .LBB87_94
; %bb.89:                               ;   in Loop: Header=BB87_57 Depth=1
	s_mov_b32 s15, exec_lo
                                        ; implicit-def: $vgpr8
	v_cmpx_lt_u32_e32 0x3c7fffff, v13
	s_xor_b32 s15, exec_lo, s15
; %bb.90:                               ;   in Loop: Header=BB87_57 Depth=1
	v_bfe_u32 v8, v12, 20, 1
	s_delay_alu instid0(VALU_DEP_1) | instskip(NEXT) | instid1(VALU_DEP_1)
	v_add3_u32 v8, v12, v8, 0x407ffff
	v_lshrrev_b32_e32 v8, 20, v8
; %bb.91:                               ;   in Loop: Header=BB87_57 Depth=1
	s_and_not1_saveexec_b32 s15, s15
; %bb.92:                               ;   in Loop: Header=BB87_57 Depth=1
	v_add_f32_e64 v8, 0x46800000, |v12|
; %bb.93:                               ;   in Loop: Header=BB87_57 Depth=1
	s_or_b32 exec_lo, exec_lo, s15
.LBB87_94:                              ;   in Loop: Header=BB87_57 Depth=1
	s_delay_alu instid0(SALU_CYCLE_1) | instskip(SKIP_3) | instid1(VALU_DEP_2)
	s_or_b32 exec_lo, exec_lo, s13
	v_alignbit_b32 v6, v7, v6, 16
	v_alignbit_b32 v4, v5, v4, 16
	s_mov_b32 s13, exec_lo
	v_and_b32_e32 v6, 0xffff0000, v6
	s_delay_alu instid0(VALU_DEP_2) | instskip(NEXT) | instid1(VALU_DEP_2)
	v_and_b32_e32 v4, 0xffff0000, v4
	v_mul_f32_e32 v6, v28, v6
	s_delay_alu instid0(VALU_DEP_1) | instskip(NEXT) | instid1(VALU_DEP_1)
	v_bfe_u32 v13, v6, 16, 1
	v_add3_u32 v13, v6, v13, 0x7fff
	s_delay_alu instid0(VALU_DEP_1) | instskip(SKIP_1) | instid1(VALU_DEP_2)
	v_and_b32_e32 v13, 0xffff0000, v13
	v_cmp_o_f32_e32 vcc_lo, v6, v6
	v_cndmask_b32_e32 v6, 0x7fc00000, v13, vcc_lo
	s_delay_alu instid0(VALU_DEP_1) | instskip(NEXT) | instid1(VALU_DEP_1)
	v_mul_f32_e32 v4, v6, v4
	v_bfe_u32 v6, v4, 16, 1
	v_cmp_o_f32_e32 vcc_lo, v4, v4
	s_delay_alu instid0(VALU_DEP_2) | instskip(NEXT) | instid1(VALU_DEP_1)
	v_add3_u32 v6, v4, v6, 0x7fff
	v_and_b32_e32 v6, 0xffff0000, v6
	s_delay_alu instid0(VALU_DEP_1) | instskip(NEXT) | instid1(VALU_DEP_1)
	v_cndmask_b32_e32 v4, 0x7fc00000, v6, vcc_lo
	v_div_scale_f32 v6, null, v11, v11, v4
	v_div_scale_f32 v15, vcc_lo, v4, v11, v4
	s_delay_alu instid0(VALU_DEP_2) | instskip(SKIP_2) | instid1(VALU_DEP_1)
	v_rcp_f32_e32 v13, v6
	s_waitcnt_depctr 0xfff
	v_fma_f32 v14, -v6, v13, 1.0
	v_fmac_f32_e32 v13, v14, v13
	s_delay_alu instid0(VALU_DEP_1) | instskip(NEXT) | instid1(VALU_DEP_1)
	v_mul_f32_e32 v14, v15, v13
	v_fma_f32 v16, -v6, v14, v15
	s_delay_alu instid0(VALU_DEP_1) | instskip(NEXT) | instid1(VALU_DEP_1)
	v_fmac_f32_e32 v14, v16, v13
	v_fma_f32 v6, -v6, v14, v15
	s_delay_alu instid0(VALU_DEP_1) | instskip(NEXT) | instid1(VALU_DEP_1)
	v_div_fmas_f32 v6, v6, v13, v14
	v_div_fixup_f32 v4, v6, v11, v4
	v_mov_b32_e32 v6, 0x7f
	s_delay_alu instid0(VALU_DEP_2) | instskip(SKIP_1) | instid1(VALU_DEP_2)
	v_minmax_f32 v13, v4, s7, 0xc3e00000
	v_mov_b32_e32 v4, 0x7f
	v_and_b32_e32 v14, 0x7fffffff, v13
	s_delay_alu instid0(VALU_DEP_1)
	v_cmpx_gt_u32_e32 0x43f00000, v14
	s_cbranch_execz .LBB87_100
; %bb.95:                               ;   in Loop: Header=BB87_57 Depth=1
	s_mov_b32 s15, exec_lo
                                        ; implicit-def: $vgpr6
	v_cmpx_lt_u32_e32 0x3c7fffff, v14
	s_xor_b32 s15, exec_lo, s15
; %bb.96:                               ;   in Loop: Header=BB87_57 Depth=1
	v_bfe_u32 v6, v13, 20, 1
	s_delay_alu instid0(VALU_DEP_1) | instskip(NEXT) | instid1(VALU_DEP_1)
	v_add3_u32 v6, v13, v6, 0x407ffff
	v_lshrrev_b32_e32 v6, 20, v6
; %bb.97:                               ;   in Loop: Header=BB87_57 Depth=1
	s_and_not1_saveexec_b32 s15, s15
; %bb.98:                               ;   in Loop: Header=BB87_57 Depth=1
	v_add_f32_e64 v6, 0x46800000, |v13|
; %bb.99:                               ;   in Loop: Header=BB87_57 Depth=1
	s_or_b32 exec_lo, exec_lo, s15
.LBB87_100:                             ;   in Loop: Header=BB87_57 Depth=1
	s_delay_alu instid0(SALU_CYCLE_1) | instskip(SKIP_3) | instid1(VALU_DEP_2)
	s_or_b32 exec_lo, exec_lo, s13
	v_and_b32_e32 v7, 0xffff0000, v7
	v_and_b32_e32 v5, 0xffff0000, v5
	s_mov_b32 s13, exec_lo
	v_mul_f32_e32 v7, v28, v7
	s_delay_alu instid0(VALU_DEP_1) | instskip(NEXT) | instid1(VALU_DEP_1)
	v_bfe_u32 v14, v7, 16, 1
	v_add3_u32 v14, v7, v14, 0x7fff
	s_delay_alu instid0(VALU_DEP_1) | instskip(SKIP_1) | instid1(VALU_DEP_2)
	v_and_b32_e32 v14, 0xffff0000, v14
	v_cmp_o_f32_e32 vcc_lo, v7, v7
	v_cndmask_b32_e32 v7, 0x7fc00000, v14, vcc_lo
	s_delay_alu instid0(VALU_DEP_1) | instskip(NEXT) | instid1(VALU_DEP_1)
	v_mul_f32_e32 v5, v7, v5
	v_bfe_u32 v7, v5, 16, 1
	v_cmp_o_f32_e32 vcc_lo, v5, v5
	s_delay_alu instid0(VALU_DEP_2) | instskip(NEXT) | instid1(VALU_DEP_1)
	v_add3_u32 v7, v5, v7, 0x7fff
	v_and_b32_e32 v7, 0xffff0000, v7
	s_delay_alu instid0(VALU_DEP_1) | instskip(NEXT) | instid1(VALU_DEP_1)
	v_cndmask_b32_e32 v5, 0x7fc00000, v7, vcc_lo
	v_div_scale_f32 v7, null, v11, v11, v5
	s_delay_alu instid0(VALU_DEP_1) | instskip(SKIP_2) | instid1(VALU_DEP_1)
	v_rcp_f32_e32 v14, v7
	s_waitcnt_depctr 0xfff
	v_fma_f32 v15, -v7, v14, 1.0
	v_fmac_f32_e32 v14, v15, v14
	v_div_scale_f32 v15, vcc_lo, v5, v11, v5
	s_delay_alu instid0(VALU_DEP_1) | instskip(NEXT) | instid1(VALU_DEP_1)
	v_mul_f32_e32 v16, v15, v14
	v_fma_f32 v17, -v7, v16, v15
	s_delay_alu instid0(VALU_DEP_1) | instskip(NEXT) | instid1(VALU_DEP_1)
	v_fmac_f32_e32 v16, v17, v14
	v_fma_f32 v7, -v7, v16, v15
	s_delay_alu instid0(VALU_DEP_1) | instskip(NEXT) | instid1(VALU_DEP_1)
	v_div_fmas_f32 v7, v7, v14, v16
	v_div_fixup_f32 v5, v7, v11, v5
	s_delay_alu instid0(VALU_DEP_1) | instskip(NEXT) | instid1(VALU_DEP_1)
	v_minmax_f32 v5, v5, s7, 0xc3e00000
	v_and_b32_e32 v7, 0x7fffffff, v5
	s_delay_alu instid0(VALU_DEP_1)
	v_cmpx_gt_u32_e32 0x43f00000, v7
	s_cbranch_execz .LBB87_106
; %bb.101:                              ;   in Loop: Header=BB87_57 Depth=1
	s_mov_b32 s15, exec_lo
                                        ; implicit-def: $vgpr4
	v_cmpx_lt_u32_e32 0x3c7fffff, v7
	s_xor_b32 s15, exec_lo, s15
; %bb.102:                              ;   in Loop: Header=BB87_57 Depth=1
	v_bfe_u32 v4, v5, 20, 1
	s_delay_alu instid0(VALU_DEP_1) | instskip(NEXT) | instid1(VALU_DEP_1)
	v_add3_u32 v4, v5, v4, 0x407ffff
	v_lshrrev_b32_e32 v4, 20, v4
; %bb.103:                              ;   in Loop: Header=BB87_57 Depth=1
	s_and_not1_saveexec_b32 s15, s15
; %bb.104:                              ;   in Loop: Header=BB87_57 Depth=1
	v_add_f32_e64 v4, 0x46800000, |v5|
; %bb.105:                              ;   in Loop: Header=BB87_57 Depth=1
	s_or_b32 exec_lo, exec_lo, s15
.LBB87_106:                             ;   in Loop: Header=BB87_57 Depth=1
	s_delay_alu instid0(SALU_CYCLE_1)
	s_or_b32 exec_lo, exec_lo, s13
	v_lshrrev_b32_e32 v7, 24, v13
	v_lshrrev_b32_e32 v11, 24, v12
	;; [unrolled: 1-line block ×3, first 2 shown]
	v_and_b32_e32 v12, 0x80000000, v5
	v_and_b32_e32 v9, 0xff, v9
	;; [unrolled: 1-line block ×4, first 2 shown]
	s_mov_b32 s15, -1
	s_mov_b32 s13, exec_lo
	v_and_or_b32 v9, 0x80, v10, v9
	v_and_or_b32 v6, 0xff, v6, v7
	v_lshlrev_b32_e32 v7, 24, v4
	v_and_or_b32 v8, 0xff, v8, v11
	v_lshlrev_b64 v[4:5], 2, v[2:3]
	v_add_nc_u32_e32 v3, s5, v0
	v_lshlrev_b32_e32 v6, 16, v6
	s_delay_alu instid0(VALU_DEP_4) | instskip(NEXT) | instid1(VALU_DEP_4)
	v_lshlrev_b32_e32 v8, 8, v8
	v_add_co_u32 v4, vcc_lo, s2, v4
	s_delay_alu instid0(VALU_DEP_3) | instskip(SKIP_1) | instid1(VALU_DEP_2)
	v_or3_b32 v6, v12, v7, v6
	v_add_co_ci_u32_e32 v5, vcc_lo, s3, v5, vcc_lo
	v_or3_b32 v6, v6, v8, v9
	global_store_b32 v[4:5], v6, off
	v_cmpx_gt_u32_e64 s12, v3
	s_cbranch_execz .LBB87_55
; %bb.107:                              ;   in Loop: Header=BB87_57 Depth=1
	v_lshrrev_b32_e32 v9, 2, v3
	v_mov_b32_e32 v4, v1
	s_mov_b32 s15, exec_lo
	s_delay_alu instid0(VALU_DEP_2) | instskip(NEXT) | instid1(VALU_DEP_2)
	v_and_b32_e32 v9, 0xffffffc, v9
	v_lshlrev_b64 v[5:6], 3, v[3:4]
	global_load_b32 v12, v9, s[0:1]
	v_add_co_u32 v7, vcc_lo, s14, v5
	v_add_co_ci_u32_e32 v8, vcc_lo, s26, v6, vcc_lo
	v_add_co_u32 v5, vcc_lo, s10, v5
	v_add_co_ci_u32_e32 v6, vcc_lo, s11, v6, vcc_lo
	global_load_b64 v[7:8], v[7:8], off
	global_load_b64 v[5:6], v[5:6], off
	s_waitcnt vmcnt(1)
	v_lshlrev_b32_e32 v9, 16, v7
	s_waitcnt vmcnt(0)
	v_lshlrev_b32_e32 v11, 16, v5
	s_delay_alu instid0(VALU_DEP_2) | instskip(NEXT) | instid1(VALU_DEP_1)
	v_mul_f32_e32 v9, v28, v9
	v_bfe_u32 v10, v9, 16, 1
	s_delay_alu instid0(VALU_DEP_1) | instskip(NEXT) | instid1(VALU_DEP_1)
	v_add3_u32 v10, v9, v10, 0x7fff
	v_and_b32_e32 v10, 0xffff0000, v10
	v_cmp_o_f32_e32 vcc_lo, v9, v9
	s_delay_alu instid0(VALU_DEP_2) | instskip(NEXT) | instid1(VALU_DEP_1)
	v_cndmask_b32_e32 v9, 0x7fc00000, v10, vcc_lo
	v_mul_f32_e32 v9, v9, v11
	s_delay_alu instid0(VALU_DEP_1) | instskip(NEXT) | instid1(VALU_DEP_1)
	v_bfe_u32 v10, v9, 16, 1
	v_add3_u32 v10, v9, v10, 0x7fff
	s_delay_alu instid0(VALU_DEP_1) | instskip(SKIP_1) | instid1(VALU_DEP_2)
	v_and_b32_e32 v10, 0xffff0000, v10
	v_cmp_o_f32_e32 vcc_lo, v9, v9
	v_cndmask_b32_e32 v9, 0x7fc00000, v10, vcc_lo
	s_delay_alu instid0(VALU_DEP_1) | instskip(SKIP_1) | instid1(VALU_DEP_2)
	v_div_scale_f32 v10, null, v12, v12, v9
	v_div_scale_f32 v14, vcc_lo, v9, v12, v9
	v_rcp_f32_e32 v11, v10
	s_waitcnt_depctr 0xfff
	v_fma_f32 v13, -v10, v11, 1.0
	s_delay_alu instid0(VALU_DEP_1) | instskip(NEXT) | instid1(VALU_DEP_1)
	v_fmac_f32_e32 v11, v13, v11
	v_mul_f32_e32 v13, v14, v11
	s_delay_alu instid0(VALU_DEP_1) | instskip(NEXT) | instid1(VALU_DEP_1)
	v_fma_f32 v15, -v10, v13, v14
	v_fmac_f32_e32 v13, v15, v11
	s_delay_alu instid0(VALU_DEP_1) | instskip(NEXT) | instid1(VALU_DEP_1)
	v_fma_f32 v10, -v10, v13, v14
	v_div_fmas_f32 v10, v10, v11, v13
	s_delay_alu instid0(VALU_DEP_1) | instskip(SKIP_1) | instid1(VALU_DEP_2)
	v_div_fixup_f32 v9, v10, v12, v9
	v_mov_b32_e32 v10, 0x7f
	v_minmax_f32 v11, v9, s7, 0xc3e00000
	v_mov_b32_e32 v9, 0x7f
	s_delay_alu instid0(VALU_DEP_2) | instskip(NEXT) | instid1(VALU_DEP_1)
	v_and_b32_e32 v13, 0x7fffffff, v11
	v_cmpx_gt_u32_e32 0x43f00000, v13
	s_cbranch_execz .LBB87_113
; %bb.108:                              ;   in Loop: Header=BB87_57 Depth=1
	s_mov_b32 s16, exec_lo
                                        ; implicit-def: $vgpr10
	v_cmpx_lt_u32_e32 0x3c7fffff, v13
	s_xor_b32 s16, exec_lo, s16
; %bb.109:                              ;   in Loop: Header=BB87_57 Depth=1
	v_bfe_u32 v10, v11, 20, 1
	s_delay_alu instid0(VALU_DEP_1) | instskip(NEXT) | instid1(VALU_DEP_1)
	v_add3_u32 v10, v11, v10, 0x407ffff
	v_lshrrev_b32_e32 v10, 20, v10
; %bb.110:                              ;   in Loop: Header=BB87_57 Depth=1
	s_and_not1_saveexec_b32 s16, s16
; %bb.111:                              ;   in Loop: Header=BB87_57 Depth=1
	v_add_f32_e64 v10, 0x46800000, |v11|
; %bb.112:                              ;   in Loop: Header=BB87_57 Depth=1
	s_or_b32 exec_lo, exec_lo, s16
.LBB87_113:                             ;   in Loop: Header=BB87_57 Depth=1
	s_delay_alu instid0(SALU_CYCLE_1) | instskip(SKIP_3) | instid1(VALU_DEP_2)
	s_or_b32 exec_lo, exec_lo, s15
	v_and_b32_e32 v13, 0xffff0000, v7
	v_and_b32_e32 v15, 0xffff0000, v5
	s_mov_b32 s15, exec_lo
	v_mul_f32_e32 v13, v28, v13
	s_delay_alu instid0(VALU_DEP_1) | instskip(NEXT) | instid1(VALU_DEP_1)
	v_bfe_u32 v14, v13, 16, 1
	v_add3_u32 v14, v13, v14, 0x7fff
	s_delay_alu instid0(VALU_DEP_1) | instskip(SKIP_1) | instid1(VALU_DEP_2)
	v_and_b32_e32 v14, 0xffff0000, v14
	v_cmp_o_f32_e32 vcc_lo, v13, v13
	v_cndmask_b32_e32 v13, 0x7fc00000, v14, vcc_lo
	s_delay_alu instid0(VALU_DEP_1) | instskip(NEXT) | instid1(VALU_DEP_1)
	v_mul_f32_e32 v13, v13, v15
	v_bfe_u32 v14, v13, 16, 1
	s_delay_alu instid0(VALU_DEP_1) | instskip(NEXT) | instid1(VALU_DEP_1)
	v_add3_u32 v14, v13, v14, 0x7fff
	v_and_b32_e32 v14, 0xffff0000, v14
	v_cmp_o_f32_e32 vcc_lo, v13, v13
	s_delay_alu instid0(VALU_DEP_2) | instskip(NEXT) | instid1(VALU_DEP_1)
	v_cndmask_b32_e32 v13, 0x7fc00000, v14, vcc_lo
	v_div_scale_f32 v14, null, v12, v12, v13
	s_delay_alu instid0(VALU_DEP_1) | instskip(SKIP_2) | instid1(VALU_DEP_1)
	v_rcp_f32_e32 v15, v14
	s_waitcnt_depctr 0xfff
	v_fma_f32 v16, -v14, v15, 1.0
	v_fmac_f32_e32 v15, v16, v15
	v_div_scale_f32 v16, vcc_lo, v13, v12, v13
	s_delay_alu instid0(VALU_DEP_1) | instskip(NEXT) | instid1(VALU_DEP_1)
	v_mul_f32_e32 v17, v16, v15
	v_fma_f32 v18, -v14, v17, v16
	s_delay_alu instid0(VALU_DEP_1) | instskip(NEXT) | instid1(VALU_DEP_1)
	v_fmac_f32_e32 v17, v18, v15
	v_fma_f32 v14, -v14, v17, v16
	s_delay_alu instid0(VALU_DEP_1) | instskip(NEXT) | instid1(VALU_DEP_1)
	v_div_fmas_f32 v14, v14, v15, v17
	v_div_fixup_f32 v13, v14, v12, v13
	s_delay_alu instid0(VALU_DEP_1) | instskip(NEXT) | instid1(VALU_DEP_1)
	v_minmax_f32 v13, v13, s7, 0xc3e00000
	v_and_b32_e32 v14, 0x7fffffff, v13
	s_delay_alu instid0(VALU_DEP_1)
	v_cmpx_gt_u32_e32 0x43f00000, v14
	s_cbranch_execz .LBB87_119
; %bb.114:                              ;   in Loop: Header=BB87_57 Depth=1
	s_mov_b32 s16, exec_lo
                                        ; implicit-def: $vgpr9
	v_cmpx_lt_u32_e32 0x3c7fffff, v14
	s_xor_b32 s16, exec_lo, s16
; %bb.115:                              ;   in Loop: Header=BB87_57 Depth=1
	v_bfe_u32 v9, v13, 20, 1
	s_delay_alu instid0(VALU_DEP_1) | instskip(NEXT) | instid1(VALU_DEP_1)
	v_add3_u32 v9, v13, v9, 0x407ffff
	v_lshrrev_b32_e32 v9, 20, v9
; %bb.116:                              ;   in Loop: Header=BB87_57 Depth=1
	s_and_not1_saveexec_b32 s16, s16
; %bb.117:                              ;   in Loop: Header=BB87_57 Depth=1
	v_add_f32_e64 v9, 0x46800000, |v13|
; %bb.118:                              ;   in Loop: Header=BB87_57 Depth=1
	s_or_b32 exec_lo, exec_lo, s16
.LBB87_119:                             ;   in Loop: Header=BB87_57 Depth=1
	s_delay_alu instid0(SALU_CYCLE_1) | instskip(SKIP_3) | instid1(VALU_DEP_2)
	s_or_b32 exec_lo, exec_lo, s15
	v_alignbit_b32 v7, v8, v7, 16
	v_alignbit_b32 v5, v6, v5, 16
	s_mov_b32 s15, exec_lo
	v_and_b32_e32 v7, 0xffff0000, v7
	s_delay_alu instid0(VALU_DEP_2) | instskip(NEXT) | instid1(VALU_DEP_2)
	v_and_b32_e32 v5, 0xffff0000, v5
	v_mul_f32_e32 v7, v28, v7
	s_delay_alu instid0(VALU_DEP_1) | instskip(NEXT) | instid1(VALU_DEP_1)
	v_bfe_u32 v14, v7, 16, 1
	v_add3_u32 v14, v7, v14, 0x7fff
	s_delay_alu instid0(VALU_DEP_1) | instskip(SKIP_1) | instid1(VALU_DEP_2)
	v_and_b32_e32 v14, 0xffff0000, v14
	v_cmp_o_f32_e32 vcc_lo, v7, v7
	v_cndmask_b32_e32 v7, 0x7fc00000, v14, vcc_lo
	s_delay_alu instid0(VALU_DEP_1) | instskip(NEXT) | instid1(VALU_DEP_1)
	v_mul_f32_e32 v5, v7, v5
	v_bfe_u32 v7, v5, 16, 1
	v_cmp_o_f32_e32 vcc_lo, v5, v5
	s_delay_alu instid0(VALU_DEP_2) | instskip(NEXT) | instid1(VALU_DEP_1)
	v_add3_u32 v7, v5, v7, 0x7fff
	v_and_b32_e32 v7, 0xffff0000, v7
	s_delay_alu instid0(VALU_DEP_1) | instskip(NEXT) | instid1(VALU_DEP_1)
	v_cndmask_b32_e32 v5, 0x7fc00000, v7, vcc_lo
	v_div_scale_f32 v7, null, v12, v12, v5
	v_div_scale_f32 v16, vcc_lo, v5, v12, v5
	s_delay_alu instid0(VALU_DEP_2) | instskip(SKIP_2) | instid1(VALU_DEP_1)
	v_rcp_f32_e32 v14, v7
	s_waitcnt_depctr 0xfff
	v_fma_f32 v15, -v7, v14, 1.0
	v_fmac_f32_e32 v14, v15, v14
	s_delay_alu instid0(VALU_DEP_1) | instskip(NEXT) | instid1(VALU_DEP_1)
	v_mul_f32_e32 v15, v16, v14
	v_fma_f32 v17, -v7, v15, v16
	s_delay_alu instid0(VALU_DEP_1) | instskip(NEXT) | instid1(VALU_DEP_1)
	v_fmac_f32_e32 v15, v17, v14
	v_fma_f32 v7, -v7, v15, v16
	s_delay_alu instid0(VALU_DEP_1) | instskip(NEXT) | instid1(VALU_DEP_1)
	v_div_fmas_f32 v7, v7, v14, v15
	v_div_fixup_f32 v5, v7, v12, v5
	v_mov_b32_e32 v7, 0x7f
	s_delay_alu instid0(VALU_DEP_2) | instskip(SKIP_1) | instid1(VALU_DEP_2)
	v_minmax_f32 v14, v5, s7, 0xc3e00000
	v_mov_b32_e32 v5, 0x7f
	v_and_b32_e32 v15, 0x7fffffff, v14
	s_delay_alu instid0(VALU_DEP_1)
	v_cmpx_gt_u32_e32 0x43f00000, v15
	s_cbranch_execz .LBB87_125
; %bb.120:                              ;   in Loop: Header=BB87_57 Depth=1
	s_mov_b32 s16, exec_lo
                                        ; implicit-def: $vgpr7
	v_cmpx_lt_u32_e32 0x3c7fffff, v15
	s_xor_b32 s16, exec_lo, s16
; %bb.121:                              ;   in Loop: Header=BB87_57 Depth=1
	v_bfe_u32 v7, v14, 20, 1
	s_delay_alu instid0(VALU_DEP_1) | instskip(NEXT) | instid1(VALU_DEP_1)
	v_add3_u32 v7, v14, v7, 0x407ffff
	v_lshrrev_b32_e32 v7, 20, v7
; %bb.122:                              ;   in Loop: Header=BB87_57 Depth=1
	s_and_not1_saveexec_b32 s16, s16
; %bb.123:                              ;   in Loop: Header=BB87_57 Depth=1
	v_add_f32_e64 v7, 0x46800000, |v14|
; %bb.124:                              ;   in Loop: Header=BB87_57 Depth=1
	s_or_b32 exec_lo, exec_lo, s16
.LBB87_125:                             ;   in Loop: Header=BB87_57 Depth=1
	s_delay_alu instid0(SALU_CYCLE_1) | instskip(SKIP_3) | instid1(VALU_DEP_2)
	s_or_b32 exec_lo, exec_lo, s15
	v_and_b32_e32 v8, 0xffff0000, v8
	v_and_b32_e32 v6, 0xffff0000, v6
	s_mov_b32 s15, exec_lo
	v_mul_f32_e32 v8, v28, v8
	s_delay_alu instid0(VALU_DEP_1) | instskip(NEXT) | instid1(VALU_DEP_1)
	v_bfe_u32 v15, v8, 16, 1
	v_add3_u32 v15, v8, v15, 0x7fff
	s_delay_alu instid0(VALU_DEP_1) | instskip(SKIP_1) | instid1(VALU_DEP_2)
	v_and_b32_e32 v15, 0xffff0000, v15
	v_cmp_o_f32_e32 vcc_lo, v8, v8
	v_cndmask_b32_e32 v8, 0x7fc00000, v15, vcc_lo
	s_delay_alu instid0(VALU_DEP_1) | instskip(NEXT) | instid1(VALU_DEP_1)
	v_mul_f32_e32 v6, v8, v6
	v_bfe_u32 v8, v6, 16, 1
	v_cmp_o_f32_e32 vcc_lo, v6, v6
	s_delay_alu instid0(VALU_DEP_2) | instskip(NEXT) | instid1(VALU_DEP_1)
	v_add3_u32 v8, v6, v8, 0x7fff
	v_and_b32_e32 v8, 0xffff0000, v8
	s_delay_alu instid0(VALU_DEP_1) | instskip(NEXT) | instid1(VALU_DEP_1)
	v_cndmask_b32_e32 v6, 0x7fc00000, v8, vcc_lo
	v_div_scale_f32 v8, null, v12, v12, v6
	s_delay_alu instid0(VALU_DEP_1) | instskip(SKIP_2) | instid1(VALU_DEP_1)
	v_rcp_f32_e32 v15, v8
	s_waitcnt_depctr 0xfff
	v_fma_f32 v16, -v8, v15, 1.0
	v_fmac_f32_e32 v15, v16, v15
	v_div_scale_f32 v16, vcc_lo, v6, v12, v6
	s_delay_alu instid0(VALU_DEP_1) | instskip(NEXT) | instid1(VALU_DEP_1)
	v_mul_f32_e32 v17, v16, v15
	v_fma_f32 v18, -v8, v17, v16
	s_delay_alu instid0(VALU_DEP_1) | instskip(NEXT) | instid1(VALU_DEP_1)
	v_fmac_f32_e32 v17, v18, v15
	v_fma_f32 v8, -v8, v17, v16
	s_delay_alu instid0(VALU_DEP_1) | instskip(NEXT) | instid1(VALU_DEP_1)
	v_div_fmas_f32 v8, v8, v15, v17
	v_div_fixup_f32 v6, v8, v12, v6
	s_delay_alu instid0(VALU_DEP_1) | instskip(NEXT) | instid1(VALU_DEP_1)
	v_minmax_f32 v6, v6, s7, 0xc3e00000
	v_and_b32_e32 v8, 0x7fffffff, v6
	s_delay_alu instid0(VALU_DEP_1)
	v_cmpx_gt_u32_e32 0x43f00000, v8
	s_cbranch_execz .LBB87_131
; %bb.126:                              ;   in Loop: Header=BB87_57 Depth=1
	s_mov_b32 s16, exec_lo
                                        ; implicit-def: $vgpr5
	v_cmpx_lt_u32_e32 0x3c7fffff, v8
	s_xor_b32 s16, exec_lo, s16
; %bb.127:                              ;   in Loop: Header=BB87_57 Depth=1
	v_bfe_u32 v5, v6, 20, 1
	s_delay_alu instid0(VALU_DEP_1) | instskip(NEXT) | instid1(VALU_DEP_1)
	v_add3_u32 v5, v6, v5, 0x407ffff
	v_lshrrev_b32_e32 v5, 20, v5
; %bb.128:                              ;   in Loop: Header=BB87_57 Depth=1
	s_and_not1_saveexec_b32 s16, s16
; %bb.129:                              ;   in Loop: Header=BB87_57 Depth=1
	v_add_f32_e64 v5, 0x46800000, |v6|
; %bb.130:                              ;   in Loop: Header=BB87_57 Depth=1
	s_or_b32 exec_lo, exec_lo, s16
.LBB87_131:                             ;   in Loop: Header=BB87_57 Depth=1
	s_delay_alu instid0(SALU_CYCLE_1)
	s_or_b32 exec_lo, exec_lo, s15
	v_lshrrev_b32_e32 v8, 24, v14
	v_lshrrev_b32_e32 v12, 24, v13
	;; [unrolled: 1-line block ×3, first 2 shown]
	v_lshlrev_b32_e32 v5, 24, v5
	v_and_b32_e32 v6, 0x80000000, v6
	v_and_b32_e32 v8, 0x80, v8
	;; [unrolled: 1-line block ×3, first 2 shown]
	v_lshlrev_b64 v[3:4], 2, v[3:4]
	v_add_nc_u32_e32 v0, s4, v0
	s_mov_b32 s16, -1
	v_and_or_b32 v7, 0xff, v7, v8
	v_and_b32_e32 v8, 0xff, v10
	v_and_or_b32 v9, 0xff, v9, v12
	v_add_co_u32 v3, vcc_lo, s2, v3
	s_delay_alu instid0(VALU_DEP_4) | instskip(NEXT) | instid1(VALU_DEP_4)
	v_lshlrev_b32_e32 v7, 16, v7
	v_and_or_b32 v8, 0x80, v11, v8
	s_delay_alu instid0(VALU_DEP_4) | instskip(SKIP_1) | instid1(VALU_DEP_4)
	v_lshlrev_b32_e32 v9, 8, v9
	v_add_co_ci_u32_e32 v4, vcc_lo, s3, v4, vcc_lo
	v_or3_b32 v5, v6, v5, v7
	s_mov_b32 s15, exec_lo
	s_delay_alu instid0(VALU_DEP_1)
	v_or3_b32 v5, v5, v9, v8
	global_store_b32 v[3:4], v5, off
	v_cmpx_gt_u32_e64 s12, v0
	s_cbranch_execz .LBB87_54
; %bb.132:                              ;   in Loop: Header=BB87_57 Depth=1
	v_lshlrev_b64 v[3:4], 3, v[0:1]
	v_lshrrev_b32_e32 v7, 2, v0
	s_mov_b32 s16, exec_lo
	s_delay_alu instid0(VALU_DEP_1) | instskip(NEXT) | instid1(VALU_DEP_3)
	v_and_b32_e32 v7, 0xffffffc, v7
	v_add_co_u32 v5, vcc_lo, s14, v3
	s_delay_alu instid0(VALU_DEP_4)
	v_add_co_ci_u32_e32 v6, vcc_lo, s26, v4, vcc_lo
	v_add_co_u32 v3, vcc_lo, s10, v3
	v_add_co_ci_u32_e32 v4, vcc_lo, s11, v4, vcc_lo
	global_load_b64 v[5:6], v[5:6], off
	global_load_b32 v10, v7, s[0:1]
	global_load_b64 v[3:4], v[3:4], off
	s_waitcnt vmcnt(2)
	v_lshlrev_b32_e32 v7, 16, v5
	s_waitcnt vmcnt(0)
	v_lshlrev_b32_e32 v9, 16, v3
	s_delay_alu instid0(VALU_DEP_2) | instskip(NEXT) | instid1(VALU_DEP_1)
	v_mul_f32_e32 v7, v28, v7
	v_bfe_u32 v8, v7, 16, 1
	s_delay_alu instid0(VALU_DEP_1) | instskip(NEXT) | instid1(VALU_DEP_1)
	v_add3_u32 v8, v7, v8, 0x7fff
	v_and_b32_e32 v8, 0xffff0000, v8
	v_cmp_o_f32_e32 vcc_lo, v7, v7
	s_delay_alu instid0(VALU_DEP_2) | instskip(NEXT) | instid1(VALU_DEP_1)
	v_cndmask_b32_e32 v7, 0x7fc00000, v8, vcc_lo
	v_mul_f32_e32 v7, v7, v9
	s_delay_alu instid0(VALU_DEP_1) | instskip(NEXT) | instid1(VALU_DEP_1)
	v_bfe_u32 v8, v7, 16, 1
	v_add3_u32 v8, v7, v8, 0x7fff
	s_delay_alu instid0(VALU_DEP_1) | instskip(SKIP_1) | instid1(VALU_DEP_2)
	v_and_b32_e32 v8, 0xffff0000, v8
	v_cmp_o_f32_e32 vcc_lo, v7, v7
	v_cndmask_b32_e32 v7, 0x7fc00000, v8, vcc_lo
	s_delay_alu instid0(VALU_DEP_1) | instskip(SKIP_1) | instid1(VALU_DEP_2)
	v_div_scale_f32 v8, null, v10, v10, v7
	v_div_scale_f32 v12, vcc_lo, v7, v10, v7
	v_rcp_f32_e32 v9, v8
	s_waitcnt_depctr 0xfff
	v_fma_f32 v11, -v8, v9, 1.0
	s_delay_alu instid0(VALU_DEP_1) | instskip(NEXT) | instid1(VALU_DEP_1)
	v_fmac_f32_e32 v9, v11, v9
	v_mul_f32_e32 v11, v12, v9
	s_delay_alu instid0(VALU_DEP_1) | instskip(NEXT) | instid1(VALU_DEP_1)
	v_fma_f32 v13, -v8, v11, v12
	v_fmac_f32_e32 v11, v13, v9
	s_delay_alu instid0(VALU_DEP_1) | instskip(NEXT) | instid1(VALU_DEP_1)
	v_fma_f32 v8, -v8, v11, v12
	v_div_fmas_f32 v8, v8, v9, v11
	s_delay_alu instid0(VALU_DEP_1) | instskip(SKIP_1) | instid1(VALU_DEP_2)
	v_div_fixup_f32 v7, v8, v10, v7
	v_mov_b32_e32 v8, 0x7f
	v_minmax_f32 v9, v7, s7, 0xc3e00000
	v_mov_b32_e32 v7, 0x7f
	s_delay_alu instid0(VALU_DEP_2) | instskip(NEXT) | instid1(VALU_DEP_1)
	v_and_b32_e32 v11, 0x7fffffff, v9
	v_cmpx_gt_u32_e32 0x43f00000, v11
	s_cbranch_execz .LBB87_138
; %bb.133:                              ;   in Loop: Header=BB87_57 Depth=1
	s_mov_b32 s17, exec_lo
                                        ; implicit-def: $vgpr8
	v_cmpx_lt_u32_e32 0x3c7fffff, v11
	s_xor_b32 s17, exec_lo, s17
; %bb.134:                              ;   in Loop: Header=BB87_57 Depth=1
	v_bfe_u32 v8, v9, 20, 1
	s_delay_alu instid0(VALU_DEP_1) | instskip(NEXT) | instid1(VALU_DEP_1)
	v_add3_u32 v8, v9, v8, 0x407ffff
	v_lshrrev_b32_e32 v8, 20, v8
; %bb.135:                              ;   in Loop: Header=BB87_57 Depth=1
	s_and_not1_saveexec_b32 s17, s17
; %bb.136:                              ;   in Loop: Header=BB87_57 Depth=1
	v_add_f32_e64 v8, 0x46800000, |v9|
; %bb.137:                              ;   in Loop: Header=BB87_57 Depth=1
	s_or_b32 exec_lo, exec_lo, s17
.LBB87_138:                             ;   in Loop: Header=BB87_57 Depth=1
	s_delay_alu instid0(SALU_CYCLE_1) | instskip(SKIP_3) | instid1(VALU_DEP_2)
	s_or_b32 exec_lo, exec_lo, s16
	v_and_b32_e32 v11, 0xffff0000, v5
	v_and_b32_e32 v13, 0xffff0000, v3
	s_mov_b32 s16, exec_lo
	v_mul_f32_e32 v11, v28, v11
	s_delay_alu instid0(VALU_DEP_1) | instskip(NEXT) | instid1(VALU_DEP_1)
	v_bfe_u32 v12, v11, 16, 1
	v_add3_u32 v12, v11, v12, 0x7fff
	s_delay_alu instid0(VALU_DEP_1) | instskip(SKIP_1) | instid1(VALU_DEP_2)
	v_and_b32_e32 v12, 0xffff0000, v12
	v_cmp_o_f32_e32 vcc_lo, v11, v11
	v_cndmask_b32_e32 v11, 0x7fc00000, v12, vcc_lo
	s_delay_alu instid0(VALU_DEP_1) | instskip(NEXT) | instid1(VALU_DEP_1)
	v_mul_f32_e32 v11, v11, v13
	v_bfe_u32 v12, v11, 16, 1
	s_delay_alu instid0(VALU_DEP_1) | instskip(NEXT) | instid1(VALU_DEP_1)
	v_add3_u32 v12, v11, v12, 0x7fff
	v_and_b32_e32 v12, 0xffff0000, v12
	v_cmp_o_f32_e32 vcc_lo, v11, v11
	s_delay_alu instid0(VALU_DEP_2) | instskip(NEXT) | instid1(VALU_DEP_1)
	v_cndmask_b32_e32 v11, 0x7fc00000, v12, vcc_lo
	v_div_scale_f32 v12, null, v10, v10, v11
	s_delay_alu instid0(VALU_DEP_1) | instskip(SKIP_2) | instid1(VALU_DEP_1)
	v_rcp_f32_e32 v13, v12
	s_waitcnt_depctr 0xfff
	v_fma_f32 v14, -v12, v13, 1.0
	v_fmac_f32_e32 v13, v14, v13
	v_div_scale_f32 v14, vcc_lo, v11, v10, v11
	s_delay_alu instid0(VALU_DEP_1) | instskip(NEXT) | instid1(VALU_DEP_1)
	v_mul_f32_e32 v15, v14, v13
	v_fma_f32 v16, -v12, v15, v14
	s_delay_alu instid0(VALU_DEP_1) | instskip(NEXT) | instid1(VALU_DEP_1)
	v_fmac_f32_e32 v15, v16, v13
	v_fma_f32 v12, -v12, v15, v14
	s_delay_alu instid0(VALU_DEP_1) | instskip(NEXT) | instid1(VALU_DEP_1)
	v_div_fmas_f32 v12, v12, v13, v15
	v_div_fixup_f32 v11, v12, v10, v11
	s_delay_alu instid0(VALU_DEP_1) | instskip(NEXT) | instid1(VALU_DEP_1)
	v_minmax_f32 v11, v11, s7, 0xc3e00000
	v_and_b32_e32 v12, 0x7fffffff, v11
	s_delay_alu instid0(VALU_DEP_1)
	v_cmpx_gt_u32_e32 0x43f00000, v12
	s_cbranch_execz .LBB87_144
; %bb.139:                              ;   in Loop: Header=BB87_57 Depth=1
	s_mov_b32 s17, exec_lo
                                        ; implicit-def: $vgpr7
	v_cmpx_lt_u32_e32 0x3c7fffff, v12
	s_xor_b32 s17, exec_lo, s17
; %bb.140:                              ;   in Loop: Header=BB87_57 Depth=1
	v_bfe_u32 v7, v11, 20, 1
	s_delay_alu instid0(VALU_DEP_1) | instskip(NEXT) | instid1(VALU_DEP_1)
	v_add3_u32 v7, v11, v7, 0x407ffff
	v_lshrrev_b32_e32 v7, 20, v7
; %bb.141:                              ;   in Loop: Header=BB87_57 Depth=1
	s_and_not1_saveexec_b32 s17, s17
; %bb.142:                              ;   in Loop: Header=BB87_57 Depth=1
	v_add_f32_e64 v7, 0x46800000, |v11|
; %bb.143:                              ;   in Loop: Header=BB87_57 Depth=1
	s_or_b32 exec_lo, exec_lo, s17
.LBB87_144:                             ;   in Loop: Header=BB87_57 Depth=1
	s_delay_alu instid0(SALU_CYCLE_1) | instskip(SKIP_3) | instid1(VALU_DEP_2)
	s_or_b32 exec_lo, exec_lo, s16
	v_alignbit_b32 v5, v6, v5, 16
	v_alignbit_b32 v3, v4, v3, 16
	s_mov_b32 s16, exec_lo
	v_and_b32_e32 v5, 0xffff0000, v5
	s_delay_alu instid0(VALU_DEP_2) | instskip(NEXT) | instid1(VALU_DEP_2)
	v_and_b32_e32 v3, 0xffff0000, v3
	v_mul_f32_e32 v5, v28, v5
	s_delay_alu instid0(VALU_DEP_1) | instskip(NEXT) | instid1(VALU_DEP_1)
	v_bfe_u32 v12, v5, 16, 1
	v_add3_u32 v12, v5, v12, 0x7fff
	s_delay_alu instid0(VALU_DEP_1) | instskip(SKIP_1) | instid1(VALU_DEP_2)
	v_and_b32_e32 v12, 0xffff0000, v12
	v_cmp_o_f32_e32 vcc_lo, v5, v5
	v_cndmask_b32_e32 v5, 0x7fc00000, v12, vcc_lo
	s_delay_alu instid0(VALU_DEP_1) | instskip(NEXT) | instid1(VALU_DEP_1)
	v_mul_f32_e32 v3, v5, v3
	v_bfe_u32 v5, v3, 16, 1
	v_cmp_o_f32_e32 vcc_lo, v3, v3
	s_delay_alu instid0(VALU_DEP_2) | instskip(NEXT) | instid1(VALU_DEP_1)
	v_add3_u32 v5, v3, v5, 0x7fff
	v_and_b32_e32 v5, 0xffff0000, v5
	s_delay_alu instid0(VALU_DEP_1) | instskip(NEXT) | instid1(VALU_DEP_1)
	v_cndmask_b32_e32 v3, 0x7fc00000, v5, vcc_lo
	v_div_scale_f32 v5, null, v10, v10, v3
	v_div_scale_f32 v14, vcc_lo, v3, v10, v3
	s_delay_alu instid0(VALU_DEP_2) | instskip(SKIP_2) | instid1(VALU_DEP_1)
	v_rcp_f32_e32 v12, v5
	s_waitcnt_depctr 0xfff
	v_fma_f32 v13, -v5, v12, 1.0
	v_fmac_f32_e32 v12, v13, v12
	s_delay_alu instid0(VALU_DEP_1) | instskip(NEXT) | instid1(VALU_DEP_1)
	v_mul_f32_e32 v13, v14, v12
	v_fma_f32 v15, -v5, v13, v14
	s_delay_alu instid0(VALU_DEP_1) | instskip(NEXT) | instid1(VALU_DEP_1)
	v_fmac_f32_e32 v13, v15, v12
	v_fma_f32 v5, -v5, v13, v14
	s_delay_alu instid0(VALU_DEP_1) | instskip(NEXT) | instid1(VALU_DEP_1)
	v_div_fmas_f32 v5, v5, v12, v13
	v_div_fixup_f32 v3, v5, v10, v3
	v_mov_b32_e32 v5, 0x7f
	s_delay_alu instid0(VALU_DEP_2) | instskip(SKIP_1) | instid1(VALU_DEP_2)
	v_minmax_f32 v12, v3, s7, 0xc3e00000
	v_mov_b32_e32 v3, 0x7f
	v_and_b32_e32 v13, 0x7fffffff, v12
	s_delay_alu instid0(VALU_DEP_1)
	v_cmpx_gt_u32_e32 0x43f00000, v13
	s_cbranch_execz .LBB87_150
; %bb.145:                              ;   in Loop: Header=BB87_57 Depth=1
	s_mov_b32 s17, exec_lo
                                        ; implicit-def: $vgpr5
	v_cmpx_lt_u32_e32 0x3c7fffff, v13
	s_xor_b32 s17, exec_lo, s17
; %bb.146:                              ;   in Loop: Header=BB87_57 Depth=1
	v_bfe_u32 v5, v12, 20, 1
	s_delay_alu instid0(VALU_DEP_1) | instskip(NEXT) | instid1(VALU_DEP_1)
	v_add3_u32 v5, v12, v5, 0x407ffff
	v_lshrrev_b32_e32 v5, 20, v5
; %bb.147:                              ;   in Loop: Header=BB87_57 Depth=1
	s_and_not1_saveexec_b32 s17, s17
; %bb.148:                              ;   in Loop: Header=BB87_57 Depth=1
	v_add_f32_e64 v5, 0x46800000, |v12|
; %bb.149:                              ;   in Loop: Header=BB87_57 Depth=1
	s_or_b32 exec_lo, exec_lo, s17
.LBB87_150:                             ;   in Loop: Header=BB87_57 Depth=1
	s_delay_alu instid0(SALU_CYCLE_1) | instskip(SKIP_3) | instid1(VALU_DEP_2)
	s_or_b32 exec_lo, exec_lo, s16
	v_and_b32_e32 v6, 0xffff0000, v6
	v_and_b32_e32 v4, 0xffff0000, v4
	s_mov_b32 s16, exec_lo
	v_mul_f32_e32 v6, v28, v6
	s_delay_alu instid0(VALU_DEP_1) | instskip(NEXT) | instid1(VALU_DEP_1)
	v_bfe_u32 v13, v6, 16, 1
	v_add3_u32 v13, v6, v13, 0x7fff
	s_delay_alu instid0(VALU_DEP_1) | instskip(SKIP_1) | instid1(VALU_DEP_2)
	v_and_b32_e32 v13, 0xffff0000, v13
	v_cmp_o_f32_e32 vcc_lo, v6, v6
	v_cndmask_b32_e32 v6, 0x7fc00000, v13, vcc_lo
	s_delay_alu instid0(VALU_DEP_1) | instskip(NEXT) | instid1(VALU_DEP_1)
	v_mul_f32_e32 v4, v6, v4
	v_bfe_u32 v6, v4, 16, 1
	v_cmp_o_f32_e32 vcc_lo, v4, v4
	s_delay_alu instid0(VALU_DEP_2) | instskip(NEXT) | instid1(VALU_DEP_1)
	v_add3_u32 v6, v4, v6, 0x7fff
	v_and_b32_e32 v6, 0xffff0000, v6
	s_delay_alu instid0(VALU_DEP_1) | instskip(NEXT) | instid1(VALU_DEP_1)
	v_cndmask_b32_e32 v4, 0x7fc00000, v6, vcc_lo
	v_div_scale_f32 v6, null, v10, v10, v4
	s_delay_alu instid0(VALU_DEP_1) | instskip(SKIP_2) | instid1(VALU_DEP_1)
	v_rcp_f32_e32 v13, v6
	s_waitcnt_depctr 0xfff
	v_fma_f32 v14, -v6, v13, 1.0
	v_fmac_f32_e32 v13, v14, v13
	v_div_scale_f32 v14, vcc_lo, v4, v10, v4
	s_delay_alu instid0(VALU_DEP_1) | instskip(NEXT) | instid1(VALU_DEP_1)
	v_mul_f32_e32 v15, v14, v13
	v_fma_f32 v16, -v6, v15, v14
	s_delay_alu instid0(VALU_DEP_1) | instskip(NEXT) | instid1(VALU_DEP_1)
	v_fmac_f32_e32 v15, v16, v13
	v_fma_f32 v6, -v6, v15, v14
	s_delay_alu instid0(VALU_DEP_1) | instskip(NEXT) | instid1(VALU_DEP_1)
	v_div_fmas_f32 v6, v6, v13, v15
	v_div_fixup_f32 v4, v6, v10, v4
	s_delay_alu instid0(VALU_DEP_1) | instskip(NEXT) | instid1(VALU_DEP_1)
	v_minmax_f32 v4, v4, s7, 0xc3e00000
	v_and_b32_e32 v6, 0x7fffffff, v4
	s_delay_alu instid0(VALU_DEP_1)
	v_cmpx_gt_u32_e32 0x43f00000, v6
	s_cbranch_execz .LBB87_53
; %bb.151:                              ;   in Loop: Header=BB87_57 Depth=1
	s_mov_b32 s17, exec_lo
                                        ; implicit-def: $vgpr3
	v_cmpx_lt_u32_e32 0x3c7fffff, v6
	s_xor_b32 s17, exec_lo, s17
; %bb.152:                              ;   in Loop: Header=BB87_57 Depth=1
	v_bfe_u32 v3, v4, 20, 1
	s_delay_alu instid0(VALU_DEP_1) | instskip(NEXT) | instid1(VALU_DEP_1)
	v_add3_u32 v3, v4, v3, 0x407ffff
	v_lshrrev_b32_e32 v3, 20, v3
; %bb.153:                              ;   in Loop: Header=BB87_57 Depth=1
	s_and_not1_saveexec_b32 s17, s17
	s_cbranch_execz .LBB87_52
; %bb.154:                              ;   in Loop: Header=BB87_57 Depth=1
	v_add_f32_e64 v3, 0x46800000, |v4|
	s_branch .LBB87_52
.LBB87_155:
	s_nop 0
	s_sendmsg sendmsg(MSG_DEALLOC_VGPRS)
	s_endpgm
	.section	.rodata,"a",@progbits
	.p2align	6, 0x0
	.amdhsa_kernel _ZN4vllm31rms_norm_per_block_quant_kernelIN3c108BFloat16ENS1_13Float8_e4m3fnELb0ELb0ELi64EEEvPT0_PfPKT_S9_PKffiiPS7_l
		.amdhsa_group_segment_fixed_size 4228
		.amdhsa_private_segment_fixed_size 0
		.amdhsa_kernarg_size 328
		.amdhsa_user_sgpr_count 15
		.amdhsa_user_sgpr_dispatch_ptr 0
		.amdhsa_user_sgpr_queue_ptr 0
		.amdhsa_user_sgpr_kernarg_segment_ptr 1
		.amdhsa_user_sgpr_dispatch_id 0
		.amdhsa_user_sgpr_private_segment_size 0
		.amdhsa_wavefront_size32 1
		.amdhsa_uses_dynamic_stack 0
		.amdhsa_enable_private_segment 0
		.amdhsa_system_sgpr_workgroup_id_x 1
		.amdhsa_system_sgpr_workgroup_id_y 0
		.amdhsa_system_sgpr_workgroup_id_z 0
		.amdhsa_system_sgpr_workgroup_info 0
		.amdhsa_system_vgpr_workitem_id 0
		.amdhsa_next_free_vgpr 46
		.amdhsa_next_free_sgpr 34
		.amdhsa_reserve_vcc 1
		.amdhsa_float_round_mode_32 0
		.amdhsa_float_round_mode_16_64 0
		.amdhsa_float_denorm_mode_32 3
		.amdhsa_float_denorm_mode_16_64 3
		.amdhsa_dx10_clamp 1
		.amdhsa_ieee_mode 1
		.amdhsa_fp16_overflow 0
		.amdhsa_workgroup_processor_mode 1
		.amdhsa_memory_ordered 1
		.amdhsa_forward_progress 0
		.amdhsa_shared_vgpr_count 0
		.amdhsa_exception_fp_ieee_invalid_op 0
		.amdhsa_exception_fp_denorm_src 0
		.amdhsa_exception_fp_ieee_div_zero 0
		.amdhsa_exception_fp_ieee_overflow 0
		.amdhsa_exception_fp_ieee_underflow 0
		.amdhsa_exception_fp_ieee_inexact 0
		.amdhsa_exception_int_div_zero 0
	.end_amdhsa_kernel
	.section	.text._ZN4vllm31rms_norm_per_block_quant_kernelIN3c108BFloat16ENS1_13Float8_e4m3fnELb0ELb0ELi64EEEvPT0_PfPKT_S9_PKffiiPS7_l,"axG",@progbits,_ZN4vllm31rms_norm_per_block_quant_kernelIN3c108BFloat16ENS1_13Float8_e4m3fnELb0ELb0ELi64EEEvPT0_PfPKT_S9_PKffiiPS7_l,comdat
.Lfunc_end87:
	.size	_ZN4vllm31rms_norm_per_block_quant_kernelIN3c108BFloat16ENS1_13Float8_e4m3fnELb0ELb0ELi64EEEvPT0_PfPKT_S9_PKffiiPS7_l, .Lfunc_end87-_ZN4vllm31rms_norm_per_block_quant_kernelIN3c108BFloat16ENS1_13Float8_e4m3fnELb0ELb0ELi64EEEvPT0_PfPKT_S9_PKffiiPS7_l
                                        ; -- End function
	.section	.AMDGPU.csdata,"",@progbits
; Kernel info:
; codeLenInByte = 12800
; NumSgprs: 36
; NumVgprs: 46
; ScratchSize: 0
; MemoryBound: 0
; FloatMode: 240
; IeeeMode: 1
; LDSByteSize: 4228 bytes/workgroup (compile time only)
; SGPRBlocks: 4
; VGPRBlocks: 5
; NumSGPRsForWavesPerEU: 36
; NumVGPRsForWavesPerEU: 46
; Occupancy: 16
; WaveLimiterHint : 0
; COMPUTE_PGM_RSRC2:SCRATCH_EN: 0
; COMPUTE_PGM_RSRC2:USER_SGPR: 15
; COMPUTE_PGM_RSRC2:TRAP_HANDLER: 0
; COMPUTE_PGM_RSRC2:TGID_X_EN: 1
; COMPUTE_PGM_RSRC2:TGID_Y_EN: 0
; COMPUTE_PGM_RSRC2:TGID_Z_EN: 0
; COMPUTE_PGM_RSRC2:TIDIG_COMP_CNT: 0
	.section	.text._ZN4vllm31rms_norm_per_block_quant_kernelIN3c108BFloat16ENS1_15Float8_e4m3fnuzELb0ELb0ELi64EEEvPT0_PfPKT_S9_PKffiiPS7_l,"axG",@progbits,_ZN4vllm31rms_norm_per_block_quant_kernelIN3c108BFloat16ENS1_15Float8_e4m3fnuzELb0ELb0ELi64EEEvPT0_PfPKT_S9_PKffiiPS7_l,comdat
	.protected	_ZN4vllm31rms_norm_per_block_quant_kernelIN3c108BFloat16ENS1_15Float8_e4m3fnuzELb0ELb0ELi64EEEvPT0_PfPKT_S9_PKffiiPS7_l ; -- Begin function _ZN4vllm31rms_norm_per_block_quant_kernelIN3c108BFloat16ENS1_15Float8_e4m3fnuzELb0ELb0ELi64EEEvPT0_PfPKT_S9_PKffiiPS7_l
	.globl	_ZN4vllm31rms_norm_per_block_quant_kernelIN3c108BFloat16ENS1_15Float8_e4m3fnuzELb0ELb0ELi64EEEvPT0_PfPKT_S9_PKffiiPS7_l
	.p2align	8
	.type	_ZN4vllm31rms_norm_per_block_quant_kernelIN3c108BFloat16ENS1_15Float8_e4m3fnuzELb0ELb0ELi64EEEvPT0_PfPKT_S9_PKffiiPS7_l,@function
_ZN4vllm31rms_norm_per_block_quant_kernelIN3c108BFloat16ENS1_15Float8_e4m3fnuzELb0ELb0ELi64EEEvPT0_PfPKT_S9_PKffiiPS7_l: ; @_ZN4vllm31rms_norm_per_block_quant_kernelIN3c108BFloat16ENS1_15Float8_e4m3fnuzELb0ELb0ELi64EEEvPT0_PfPKT_S9_PKffiiPS7_l
; %bb.0:
	s_clause 0x1
	s_load_b128 s[16:19], s[0:1], 0x28
	s_load_b256 s[4:11], s[0:1], 0x0
	v_mov_b32_e32 v6, 0
	s_mov_b32 s13, 0
	s_waitcnt lgkmcnt(0)
	s_ashr_i32 s2, s18, 31
	s_mul_hi_u32 s3, s18, s15
	s_mul_i32 s12, s2, s15
	s_mul_i32 s2, s18, s15
	s_add_i32 s3, s3, s12
	s_mov_b32 s18, s17
	s_lshl_b64 s[22:23], s[2:3], 1
	s_delay_alu instid0(SALU_CYCLE_1)
	s_add_u32 s14, s8, s22
	s_addc_u32 s26, s9, s23
	s_ashr_i32 s12, s17, 2
	s_add_u32 s20, s0, 0x48
	v_cmp_gt_u32_e64 s2, s12, v0
	s_addc_u32 s21, s1, 0
	s_delay_alu instid0(VALU_DEP_1)
	s_and_saveexec_b32 s3, s2
	s_cbranch_execz .LBB88_10
; %bb.1:
	s_load_b32 s19, s[20:21], 0x0
	v_dual_mov_b32 v2, 0 :: v_dual_mov_b32 v1, v0
	s_waitcnt lgkmcnt(0)
	s_cmp_lt_u32 s15, s19
	s_cselect_b32 s19, 12, 18
	s_delay_alu instid0(SALU_CYCLE_1)
	s_add_u32 s24, s20, s19
	s_addc_u32 s25, s21, 0
                                        ; implicit-def: $sgpr19
	global_load_u16 v7, v2, s[24:25]
	s_waitcnt vmcnt(0)
	v_lshlrev_b32_e32 v9, 1, v7
	v_mul_lo_u32 v8, v7, 3
	v_add_nc_u32_e32 v10, v7, v7
	v_mov_b32_e32 v6, v2
	s_branch .LBB88_5
.LBB88_2:                               ;   in Loop: Header=BB88_5 Depth=1
	s_or_b32 exec_lo, exec_lo, s27
	s_delay_alu instid0(SALU_CYCLE_1)
	s_or_not1_b32 s27, s28, exec_lo
.LBB88_3:                               ;   in Loop: Header=BB88_5 Depth=1
	s_or_b32 exec_lo, exec_lo, s25
	s_delay_alu instid0(SALU_CYCLE_1) | instskip(SKIP_1) | instid1(SALU_CYCLE_1)
	s_and_not1_b32 s19, s19, exec_lo
	s_and_b32 s25, s27, exec_lo
	s_or_b32 s19, s19, s25
.LBB88_4:                               ;   in Loop: Header=BB88_5 Depth=1
	s_or_b32 exec_lo, exec_lo, s24
	s_delay_alu instid0(SALU_CYCLE_1) | instskip(NEXT) | instid1(SALU_CYCLE_1)
	s_and_b32 s24, exec_lo, s19
	s_or_b32 s13, s24, s13
	s_delay_alu instid0(SALU_CYCLE_1)
	s_and_not1_b32 exec_lo, exec_lo, s13
	s_cbranch_execz .LBB88_9
.LBB88_5:                               ; =>This Inner Loop Header: Depth=1
	v_lshlrev_b64 v[3:4], 3, v[1:2]
	s_or_b32 s19, s19, exec_lo
	s_mov_b32 s24, exec_lo
	s_delay_alu instid0(VALU_DEP_1) | instskip(NEXT) | instid1(VALU_DEP_2)
	v_add_co_u32 v3, vcc_lo, s14, v3
	v_add_co_ci_u32_e32 v4, vcc_lo, s26, v4, vcc_lo
	global_load_b64 v[3:4], v[3:4], off
	s_waitcnt vmcnt(0)
	v_lshlrev_b32_e32 v5, 16, v3
	v_and_b32_e32 v11, 0xffff0000, v3
	v_alignbit_b32 v3, v4, v3, 16
	v_and_b32_e32 v4, 0xffff0000, v4
	s_delay_alu instid0(VALU_DEP_2) | instskip(NEXT) | instid1(VALU_DEP_1)
	v_dual_fmac_f32 v6, v5, v5 :: v_dual_and_b32 v3, 0xffff0000, v3
	v_fmac_f32_e32 v6, v11, v11
	s_delay_alu instid0(VALU_DEP_1) | instskip(NEXT) | instid1(VALU_DEP_1)
	v_fmac_f32_e32 v6, v3, v3
	v_dual_fmac_f32 v6, v4, v4 :: v_dual_add_nc_u32 v3, v1, v7
	s_delay_alu instid0(VALU_DEP_1)
	v_cmpx_gt_u32_e64 s12, v3
	s_cbranch_execz .LBB88_4
; %bb.6:                                ;   in Loop: Header=BB88_5 Depth=1
	v_mov_b32_e32 v4, v2
	s_mov_b32 s27, -1
	s_mov_b32 s25, exec_lo
	s_delay_alu instid0(VALU_DEP_1) | instskip(NEXT) | instid1(VALU_DEP_1)
	v_lshlrev_b64 v[4:5], 3, v[3:4]
	v_add_co_u32 v4, vcc_lo, s14, v4
	s_delay_alu instid0(VALU_DEP_2)
	v_add_co_ci_u32_e32 v5, vcc_lo, s26, v5, vcc_lo
	global_load_b64 v[4:5], v[4:5], off
	s_waitcnt vmcnt(0)
	v_lshlrev_b32_e32 v11, 16, v4
	v_and_b32_e32 v12, 0xffff0000, v4
	v_alignbit_b32 v4, v5, v4, 16
	s_delay_alu instid0(VALU_DEP_3) | instskip(NEXT) | instid1(VALU_DEP_2)
	v_dual_fmac_f32 v6, v11, v11 :: v_dual_and_b32 v5, 0xffff0000, v5
	v_and_b32_e32 v4, 0xffff0000, v4
	s_delay_alu instid0(VALU_DEP_2) | instskip(NEXT) | instid1(VALU_DEP_1)
	v_fmac_f32_e32 v6, v12, v12
	v_fmac_f32_e32 v6, v4, v4
	v_add_nc_u32_e32 v4, v9, v1
	s_delay_alu instid0(VALU_DEP_2) | instskip(NEXT) | instid1(VALU_DEP_2)
	v_fmac_f32_e32 v6, v5, v5
	v_cmpx_gt_u32_e64 s12, v4
	s_cbranch_execz .LBB88_3
; %bb.7:                                ;   in Loop: Header=BB88_5 Depth=1
	v_mov_b32_e32 v5, v2
	v_add_nc_u32_e32 v1, v8, v1
	s_mov_b32 s28, -1
	s_mov_b32 s27, exec_lo
	s_delay_alu instid0(VALU_DEP_2) | instskip(NEXT) | instid1(VALU_DEP_1)
	v_lshlrev_b64 v[4:5], 3, v[4:5]
	v_add_co_u32 v4, vcc_lo, s14, v4
	s_delay_alu instid0(VALU_DEP_2)
	v_add_co_ci_u32_e32 v5, vcc_lo, s26, v5, vcc_lo
	global_load_b64 v[4:5], v[4:5], off
	s_waitcnt vmcnt(0)
	v_and_b32_e32 v12, 0xffff0000, v4
	v_lshlrev_b32_e32 v11, 16, v4
	v_alignbit_b32 v4, v5, v4, 16
	s_delay_alu instid0(VALU_DEP_2) | instskip(NEXT) | instid1(VALU_DEP_2)
	v_dual_fmac_f32 v6, v11, v11 :: v_dual_and_b32 v5, 0xffff0000, v5
	v_and_b32_e32 v4, 0xffff0000, v4
	s_delay_alu instid0(VALU_DEP_2) | instskip(NEXT) | instid1(VALU_DEP_1)
	v_fmac_f32_e32 v6, v12, v12
	v_fmac_f32_e32 v6, v4, v4
	s_delay_alu instid0(VALU_DEP_1)
	v_fmac_f32_e32 v6, v5, v5
	v_cmpx_gt_u32_e64 s12, v1
	s_xor_b32 s27, exec_lo, s27
	s_cbranch_execz .LBB88_2
; %bb.8:                                ;   in Loop: Header=BB88_5 Depth=1
	v_lshlrev_b64 v[4:5], 3, v[1:2]
	s_delay_alu instid0(VALU_DEP_1) | instskip(NEXT) | instid1(VALU_DEP_2)
	v_add_co_u32 v4, vcc_lo, s14, v4
	v_add_co_ci_u32_e32 v5, vcc_lo, s26, v5, vcc_lo
	global_load_b64 v[4:5], v[4:5], off
	s_waitcnt vmcnt(0)
	v_and_b32_e32 v11, 0xffff0000, v4
	v_lshlrev_b32_e32 v1, 16, v4
	v_alignbit_b32 v4, v5, v4, 16
	s_delay_alu instid0(VALU_DEP_2) | instskip(NEXT) | instid1(VALU_DEP_2)
	v_fmac_f32_e32 v6, v1, v1
	v_and_b32_e32 v4, 0xffff0000, v4
	v_add3_u32 v1, v10, v7, v3
	s_delay_alu instid0(VALU_DEP_3) | instskip(NEXT) | instid1(VALU_DEP_2)
	v_dual_fmac_f32 v6, v11, v11 :: v_dual_and_b32 v3, 0xffff0000, v5
	v_cmp_le_u32_e32 vcc_lo, s12, v1
	s_delay_alu instid0(VALU_DEP_2) | instskip(SKIP_1) | instid1(VALU_DEP_1)
	v_fmac_f32_e32 v6, v4, v4
	s_or_not1_b32 s28, vcc_lo, exec_lo
	v_fmac_f32_e32 v6, v3, v3
	s_branch .LBB88_2
.LBB88_9:
	s_or_b32 exec_lo, exec_lo, s13
.LBB88_10:
	s_delay_alu instid0(SALU_CYCLE_1) | instskip(SKIP_3) | instid1(VALU_DEP_2)
	s_or_b32 exec_lo, exec_lo, s3
	v_mbcnt_lo_u32_b32 v1, -1, 0
	s_load_b32 s3, s[20:21], 0xc
	v_and_b32_e32 v7, 0x3e0, v0
	v_cmp_ne_u32_e32 vcc_lo, 31, v1
	v_add_nc_u32_e32 v3, 1, v1
	v_add_co_ci_u32_e32 v2, vcc_lo, 0, v1, vcc_lo
	v_cmp_gt_u32_e32 vcc_lo, 30, v1
	s_delay_alu instid0(VALU_DEP_2)
	v_lshlrev_b32_e32 v2, 2, v2
	v_cndmask_b32_e64 v5, 0, 1, vcc_lo
	ds_bpermute_b32 v4, v2, v6
	s_waitcnt lgkmcnt(0)
	s_and_b32 s27, s3, 0xffff
	v_lshlrev_b32_e32 v5, 1, v5
	v_sub_nc_u32_e64 v12, s27, v7 clamp
	s_mov_b32 s3, exec_lo
	s_delay_alu instid0(VALU_DEP_1) | instskip(SKIP_2) | instid1(VALU_DEP_2)
	v_cmp_lt_u32_e32 vcc_lo, v3, v12
	v_add_f32_e32 v7, v6, v4
	v_add_lshl_u32 v4, v5, v1, 2
	v_cndmask_b32_e32 v7, v6, v7, vcc_lo
	v_cmp_gt_u32_e32 vcc_lo, 28, v1
	v_cndmask_b32_e64 v5, 0, 1, vcc_lo
	s_delay_alu instid0(VALU_DEP_1) | instskip(SKIP_2) | instid1(VALU_DEP_1)
	v_lshlrev_b32_e32 v8, 2, v5
	ds_bpermute_b32 v6, v4, v7
	v_add_nc_u32_e32 v5, 2, v1
	v_cmp_lt_u32_e32 vcc_lo, v5, v12
	s_waitcnt lgkmcnt(0)
	v_add_f32_e32 v9, v7, v6
	v_add_lshl_u32 v6, v8, v1, 2
	s_delay_alu instid0(VALU_DEP_2) | instskip(SKIP_3) | instid1(VALU_DEP_1)
	v_cndmask_b32_e32 v9, v7, v9, vcc_lo
	v_cmp_gt_u32_e32 vcc_lo, 24, v1
	ds_bpermute_b32 v8, v6, v9
	v_cndmask_b32_e64 v7, 0, 1, vcc_lo
	v_lshlrev_b32_e32 v10, 3, v7
	v_add_nc_u32_e32 v7, 4, v1
	s_delay_alu instid0(VALU_DEP_1) | instskip(SKIP_3) | instid1(VALU_DEP_2)
	v_cmp_lt_u32_e32 vcc_lo, v7, v12
	s_waitcnt lgkmcnt(0)
	v_add_f32_e32 v11, v9, v8
	v_add_lshl_u32 v8, v10, v1, 2
	v_cndmask_b32_e32 v11, v9, v11, vcc_lo
	v_cmp_gt_u32_e32 vcc_lo, 16, v1
	ds_bpermute_b32 v10, v8, v11
	v_cndmask_b32_e64 v9, 0, 1, vcc_lo
	s_delay_alu instid0(VALU_DEP_1) | instskip(SKIP_1) | instid1(VALU_DEP_1)
	v_lshlrev_b32_e32 v13, 4, v9
	v_add_nc_u32_e32 v9, 8, v1
	v_cmp_lt_u32_e32 vcc_lo, v9, v12
	s_waitcnt lgkmcnt(0)
	v_add_f32_e32 v14, v11, v10
	v_add_lshl_u32 v10, v13, v1, 2
	s_delay_alu instid0(VALU_DEP_2)
	v_cndmask_b32_e32 v13, v11, v14, vcc_lo
	v_add_nc_u32_e32 v11, 16, v1
	ds_bpermute_b32 v14, v10, v13
	v_cmp_lt_u32_e32 vcc_lo, v11, v12
	s_waitcnt lgkmcnt(0)
	v_add_f32_e32 v14, v13, v14
	s_delay_alu instid0(VALU_DEP_1)
	v_cndmask_b32_e32 v12, v13, v14, vcc_lo
	v_cmpx_eq_u32_e32 0, v1
	s_cbranch_execz .LBB88_12
; %bb.11:
	v_lshrrev_b32_e32 v13, 3, v0
	s_delay_alu instid0(VALU_DEP_1)
	v_and_b32_e32 v13, 0x7c, v13
	ds_store_b32 v13, v12 offset:4096
.LBB88_12:
	s_or_b32 exec_lo, exec_lo, s3
	s_delay_alu instid0(SALU_CYCLE_1)
	s_mov_b32 s3, exec_lo
	s_waitcnt lgkmcnt(0)
	s_barrier
	buffer_gl0_inv
	v_cmpx_gt_u32_e32 32, v0
	s_cbranch_execz .LBB88_14
; %bb.13:
	v_lshlrev_b32_e32 v1, 2, v1
	s_add_i32 s13, s27, 31
	s_delay_alu instid0(SALU_CYCLE_1) | instskip(NEXT) | instid1(SALU_CYCLE_1)
	s_lshr_b32 s13, s13, 5
	v_cmp_gt_u32_e32 vcc_lo, s13, v3
	ds_load_b32 v1, v1 offset:4096
	s_waitcnt lgkmcnt(0)
	ds_bpermute_b32 v2, v2, v1
	s_waitcnt lgkmcnt(0)
	v_add_f32_e32 v2, v1, v2
	s_delay_alu instid0(VALU_DEP_1) | instskip(SKIP_4) | instid1(VALU_DEP_1)
	v_cndmask_b32_e32 v1, v1, v2, vcc_lo
	v_cmp_gt_u32_e32 vcc_lo, s13, v5
	ds_bpermute_b32 v2, v4, v1
	s_waitcnt lgkmcnt(0)
	v_add_f32_e32 v2, v1, v2
	v_cndmask_b32_e32 v1, v1, v2, vcc_lo
	v_cmp_gt_u32_e32 vcc_lo, s13, v7
	ds_bpermute_b32 v2, v6, v1
	s_waitcnt lgkmcnt(0)
	v_add_f32_e32 v2, v1, v2
	s_delay_alu instid0(VALU_DEP_1) | instskip(SKIP_4) | instid1(VALU_DEP_1)
	v_cndmask_b32_e32 v1, v1, v2, vcc_lo
	v_cmp_gt_u32_e32 vcc_lo, s13, v9
	ds_bpermute_b32 v2, v8, v1
	s_waitcnt lgkmcnt(0)
	v_add_f32_e32 v2, v1, v2
	v_cndmask_b32_e32 v1, v1, v2, vcc_lo
	v_cmp_gt_u32_e32 vcc_lo, s13, v11
	ds_bpermute_b32 v2, v10, v1
	s_waitcnt lgkmcnt(0)
	v_add_f32_e32 v2, v1, v2
	s_delay_alu instid0(VALU_DEP_1)
	v_cndmask_b32_e32 v12, v1, v2, vcc_lo
.LBB88_14:
	s_or_b32 exec_lo, exec_lo, s3
	s_delay_alu instid0(SALU_CYCLE_1)
	s_mov_b32 s3, exec_lo
	v_cmpx_eq_u32_e32 0, v0
	s_cbranch_execz .LBB88_16
; %bb.15:
	v_cvt_f32_i32_e32 v1, s17
	s_delay_alu instid0(VALU_DEP_1) | instskip(SKIP_1) | instid1(VALU_DEP_2)
	v_div_scale_f32 v2, null, v1, v1, v12
	v_div_scale_f32 v5, vcc_lo, v12, v1, v12
	v_rcp_f32_e32 v3, v2
	s_waitcnt_depctr 0xfff
	v_fma_f32 v4, -v2, v3, 1.0
	s_delay_alu instid0(VALU_DEP_1) | instskip(NEXT) | instid1(VALU_DEP_1)
	v_fmac_f32_e32 v3, v4, v3
	v_mul_f32_e32 v4, v5, v3
	s_delay_alu instid0(VALU_DEP_1) | instskip(NEXT) | instid1(VALU_DEP_1)
	v_fma_f32 v6, -v2, v4, v5
	v_fmac_f32_e32 v4, v6, v3
	s_delay_alu instid0(VALU_DEP_1) | instskip(NEXT) | instid1(VALU_DEP_1)
	v_fma_f32 v2, -v2, v4, v5
	v_div_fmas_f32 v2, v2, v3, v4
	s_delay_alu instid0(VALU_DEP_1) | instskip(NEXT) | instid1(VALU_DEP_1)
	v_div_fixup_f32 v1, v2, v1, v12
	v_add_f32_e32 v1, s16, v1
	s_delay_alu instid0(VALU_DEP_1) | instskip(SKIP_1) | instid1(VALU_DEP_2)
	v_mul_f32_e32 v2, 0x4b800000, v1
	v_cmp_gt_f32_e32 vcc_lo, 0x800000, v1
	v_cndmask_b32_e32 v1, v1, v2, vcc_lo
	s_delay_alu instid0(VALU_DEP_1) | instskip(SKIP_2) | instid1(VALU_DEP_1)
	v_rsq_f32_e32 v1, v1
	s_waitcnt_depctr 0xfff
	v_mul_f32_e32 v2, 0x45800000, v1
	v_dual_cndmask_b32 v1, v1, v2 :: v_dual_mov_b32 v2, 0
	ds_store_b32 v2, v1 offset:4224
.LBB88_16:
	s_or_b32 exec_lo, exec_lo, s3
	s_ashr_i32 s19, s17, 31
	s_waitcnt lgkmcnt(0)
	s_lshr_b32 s3, s19, 26
	s_barrier
	s_add_i32 s3, s17, s3
	buffer_gl0_inv
	s_ashr_i32 s16, s3, 6
	s_ashr_i32 s3, s3, 31
	s_abs_i32 s13, s16
	s_delay_alu instid0(SALU_CYCLE_1) | instskip(SKIP_1) | instid1(VALU_DEP_1)
	v_cvt_f32_u32_e32 v1, s13
	s_sub_i32 s20, 0, s13
	v_rcp_iflag_f32_e32 v1, v1
	s_waitcnt_depctr 0xfff
	v_mul_f32_e32 v1, 0x4f7ffffe, v1
	s_delay_alu instid0(VALU_DEP_1) | instskip(NEXT) | instid1(VALU_DEP_1)
	v_cvt_u32_f32_e32 v1, v1
	v_readfirstlane_b32 s17, v1
	s_delay_alu instid0(VALU_DEP_1) | instskip(NEXT) | instid1(SALU_CYCLE_1)
	s_mul_i32 s20, s20, s17
	s_mul_hi_u32 s20, s17, s20
	s_delay_alu instid0(SALU_CYCLE_1) | instskip(NEXT) | instid1(SALU_CYCLE_1)
	s_add_i32 s17, s17, s20
	s_mul_hi_u32 s17, s27, s17
	s_delay_alu instid0(SALU_CYCLE_1) | instskip(SKIP_2) | instid1(SALU_CYCLE_1)
	s_mul_i32 s20, s17, s13
	s_add_i32 s21, s17, 1
	s_sub_i32 s20, s27, s20
	s_sub_i32 s24, s20, s13
	s_cmp_ge_u32 s20, s13
	s_cselect_b32 s17, s21, s17
	s_cselect_b32 s20, s24, s20
	s_add_i32 s21, s17, 1
	s_cmp_ge_u32 s20, s13
	s_cselect_b32 s13, s21, s17
	s_delay_alu instid0(SALU_CYCLE_1) | instskip(NEXT) | instid1(SALU_CYCLE_1)
	s_xor_b32 s13, s13, s3
	s_sub_i32 s20, s13, s3
	s_delay_alu instid0(SALU_CYCLE_1) | instskip(SKIP_3) | instid1(VALU_DEP_1)
	s_abs_i32 s3, s20
	s_ashr_i32 s21, s20, 31
	v_cvt_f32_u32_e32 v1, s3
	s_sub_i32 s13, 0, s3
	v_rcp_iflag_f32_e32 v1, v1
	s_waitcnt_depctr 0xfff
	v_mul_f32_e32 v1, 0x4f7ffffe, v1
	s_delay_alu instid0(VALU_DEP_1) | instskip(NEXT) | instid1(VALU_DEP_1)
	v_cvt_u32_f32_e32 v1, v1
	v_mul_lo_u32 v2, s13, v1
	s_ashr_i32 s13, s12, 31
	s_delay_alu instid0(VALU_DEP_1) | instskip(NEXT) | instid1(VALU_DEP_1)
	v_mul_hi_u32 v2, v1, v2
	v_add_nc_u32_e32 v1, v1, v2
	s_delay_alu instid0(VALU_DEP_1) | instskip(NEXT) | instid1(VALU_DEP_1)
	v_mul_hi_u32 v1, v0, v1
	v_mul_lo_u32 v2, v1, s3
	v_add_nc_u32_e32 v3, 1, v1
	s_delay_alu instid0(VALU_DEP_2) | instskip(NEXT) | instid1(VALU_DEP_1)
	v_sub_nc_u32_e32 v2, v0, v2
	v_subrev_nc_u32_e32 v4, s3, v2
	v_cmp_le_u32_e32 vcc_lo, s3, v2
	s_delay_alu instid0(VALU_DEP_2) | instskip(NEXT) | instid1(VALU_DEP_1)
	v_dual_cndmask_b32 v1, v1, v3 :: v_dual_cndmask_b32 v2, v2, v4
	v_dual_mov_b32 v4, 0 :: v_dual_add_nc_u32 v3, 1, v1
	s_delay_alu instid0(VALU_DEP_2) | instskip(SKIP_2) | instid1(VALU_DEP_1)
	v_cmp_le_u32_e32 vcc_lo, s3, v2
	ds_load_b32 v28, v4 offset:4224
	v_cndmask_b32_e32 v1, v1, v3, vcc_lo
	v_xor_b32_e32 v1, s21, v1
	s_delay_alu instid0(VALU_DEP_1) | instskip(NEXT) | instid1(VALU_DEP_1)
	v_subrev_nc_u32_e32 v1, s21, v1
	v_ashrrev_i32_e32 v2, 31, v1
	v_mul_lo_u32 v3, v1, s20
	s_delay_alu instid0(VALU_DEP_2) | instskip(NEXT) | instid1(VALU_DEP_2)
	v_lshlrev_b64 v[7:8], 4, v[1:2]
	v_sub_nc_u32_e32 v3, v0, v3
	s_delay_alu instid0(VALU_DEP_2) | instskip(NEXT) | instid1(VALU_DEP_3)
	v_add_co_u32 v5, vcc_lo, v7, 16
	v_add_co_ci_u32_e32 v6, vcc_lo, 0, v8, vcc_lo
	s_delay_alu instid0(VALU_DEP_1) | instskip(SKIP_4) | instid1(VALU_DEP_3)
	v_cmp_gt_i64_e32 vcc_lo, s[12:13], v[5:6]
	v_cndmask_b32_e32 v6, s13, v6, vcc_lo
	v_cndmask_b32_e32 v5, s12, v5, vcc_lo
	v_add_co_u32 v7, vcc_lo, v7, v3
	v_add_co_ci_u32_e32 v8, vcc_lo, 0, v8, vcc_lo
	v_ashrrev_i32_e32 v10, 31, v5
	v_mov_b32_e32 v9, v5
	s_mov_b32 s13, exec_lo
	s_delay_alu instid0(VALU_DEP_1)
	v_cmpx_lt_i64_e64 v[7:8], v[9:10]
	s_cbranch_execz .LBB88_26
; %bb.17:
	v_lshlrev_b64 v[13:14], 7, v[1:2]
	v_lshlrev_b64 v[11:12], 3, v[3:4]
	s_mul_i32 s3, s20, 24
	s_mul_hi_i32 s17, s20, 24
	s_add_u32 s24, s8, s3
	s_delay_alu instid0(VALU_DEP_2) | instskip(SKIP_2) | instid1(VALU_DEP_2)
	v_add_co_u32 v4, vcc_lo, s22, v13
	v_add_co_ci_u32_e32 v15, vcc_lo, s23, v14, vcc_lo
	s_addc_u32 s22, s9, s17
	v_add_co_u32 v17, vcc_lo, s24, v4
	s_lshl_b64 s[24:25], s[20:21], 4
	s_delay_alu instid0(VALU_DEP_2)
	v_add_co_ci_u32_e32 v18, vcc_lo, s22, v15, vcc_lo
	s_lshl_b64 s[22:23], s[20:21], 5
	s_add_u32 s30, s8, s24
	s_addc_u32 s31, s9, s25
	s_lshl_b64 s[28:29], s[20:21], 3
	v_add_co_u32 v19, vcc_lo, s30, v4
	s_add_u32 s30, s8, s28
	v_add_co_ci_u32_e32 v20, vcc_lo, s31, v15, vcc_lo
	s_addc_u32 s31, s9, s29
	v_add_co_u32 v21, vcc_lo, s30, v4
	v_add_co_ci_u32_e32 v22, vcc_lo, s31, v15, vcc_lo
	v_add_co_u32 v23, vcc_lo, s8, v4
	s_add_u32 s3, s10, s3
	v_add_co_ci_u32_e32 v24, vcc_lo, s9, v15, vcc_lo
	s_addc_u32 s8, s11, s17
	v_add_co_u32 v25, vcc_lo, s3, v13
	s_add_u32 s3, s10, s24
	v_add_co_ci_u32_e32 v26, vcc_lo, s8, v14, vcc_lo
	s_addc_u32 s8, s11, s25
	v_add_co_u32 v27, vcc_lo, s3, v13
	s_add_u32 s3, s10, s28
	v_add_co_ci_u32_e32 v29, vcc_lo, s8, v14, vcc_lo
	s_addc_u32 s8, s11, s29
	v_add_co_u32 v30, vcc_lo, s3, v13
	v_add_co_ci_u32_e32 v31, vcc_lo, s8, v14, vcc_lo
	v_add_co_u32 v32, vcc_lo, s10, v13
	v_add_co_ci_u32_e32 v33, vcc_lo, s11, v14, vcc_lo
	v_mov_b32_e32 v14, v8
	v_dual_mov_b32 v4, 0 :: v_dual_mov_b32 v13, v7
	s_mul_hi_i32 s17, s20, 3
	s_mul_i32 s24, s20, 3
	s_lshl_b64 s[8:9], s[20:21], 1
	s_mov_b32 s25, 0
                                        ; implicit-def: $sgpr28
	s_branch .LBB88_21
.LBB88_18:                              ;   in Loop: Header=BB88_21 Depth=1
	s_or_b32 exec_lo, exec_lo, s31
	s_delay_alu instid0(SALU_CYCLE_1)
	s_or_not1_b32 s3, s3, exec_lo
.LBB88_19:                              ;   in Loop: Header=BB88_21 Depth=1
	s_or_b32 exec_lo, exec_lo, s30
	s_delay_alu instid0(SALU_CYCLE_1) | instskip(SKIP_1) | instid1(SALU_CYCLE_1)
	s_and_not1_b32 s28, s28, exec_lo
	s_and_b32 s3, s3, exec_lo
	s_or_b32 s28, s28, s3
.LBB88_20:                              ;   in Loop: Header=BB88_21 Depth=1
	s_or_b32 exec_lo, exec_lo, s29
	s_delay_alu instid0(SALU_CYCLE_1) | instskip(NEXT) | instid1(SALU_CYCLE_1)
	s_and_b32 s3, exec_lo, s28
	s_or_b32 s25, s3, s25
	s_delay_alu instid0(SALU_CYCLE_1)
	s_and_not1_b32 exec_lo, exec_lo, s25
	s_cbranch_execz .LBB88_25
.LBB88_21:                              ; =>This Inner Loop Header: Depth=1
	v_add_co_u32 v15, vcc_lo, v23, v11
	v_add_co_ci_u32_e32 v16, vcc_lo, v24, v12, vcc_lo
	v_add_co_u32 v34, vcc_lo, v32, v11
	v_add_co_ci_u32_e32 v35, vcc_lo, v33, v12, vcc_lo
	s_or_b32 s28, s28, exec_lo
	global_load_b64 v[15:16], v[15:16], off
	global_load_b64 v[34:35], v[34:35], off
	s_mov_b32 s29, exec_lo
	s_waitcnt vmcnt(1)
	v_lshlrev_b32_e32 v37, 16, v15
	v_and_b32_e32 v36, 0xffff0000, v15
	v_alignbit_b32 v15, v16, v15, 16
	s_waitcnt vmcnt(0)
	v_lshlrev_b32_e32 v39, 16, v34
	s_waitcnt lgkmcnt(0)
	v_mul_f32_e32 v37, v28, v37
	v_mul_f32_e32 v36, v28, v36
	s_delay_alu instid0(VALU_DEP_2) | instskip(NEXT) | instid1(VALU_DEP_2)
	v_bfe_u32 v40, v37, 16, 1
	v_bfe_u32 v41, v36, 16, 1
	v_cmp_o_f32_e32 vcc_lo, v37, v37
	s_delay_alu instid0(VALU_DEP_3) | instskip(NEXT) | instid1(VALU_DEP_3)
	v_add3_u32 v40, v37, v40, 0x7fff
	v_add3_u32 v41, v36, v41, 0x7fff
	s_delay_alu instid0(VALU_DEP_2) | instskip(NEXT) | instid1(VALU_DEP_2)
	v_and_b32_e32 v40, 0xffff0000, v40
	v_and_b32_e32 v41, 0xffff0000, v41
	s_delay_alu instid0(VALU_DEP_2) | instskip(SKIP_2) | instid1(VALU_DEP_2)
	v_cndmask_b32_e32 v37, 0x7fc00000, v40, vcc_lo
	v_and_b32_e32 v16, 0xffff0000, v16
	v_cmp_o_f32_e32 vcc_lo, v36, v36
	v_dual_mul_f32 v37, v37, v39 :: v_dual_mul_f32 v16, v28, v16
	v_cndmask_b32_e32 v36, 0x7fc00000, v41, vcc_lo
	v_and_b32_e32 v15, 0xffff0000, v15
	v_and_b32_e32 v38, 0xffff0000, v34
	v_alignbit_b32 v34, v35, v34, 16
	v_bfe_u32 v42, v16, 16, 1
	v_cmp_o_f32_e32 vcc_lo, v16, v16
	v_mul_f32_e32 v15, v28, v15
	v_mul_f32_e32 v36, v36, v38
	v_bfe_u32 v38, v37, 16, 1
	v_add3_u32 v42, v16, v42, 0x7fff
	s_delay_alu instid0(VALU_DEP_4) | instskip(NEXT) | instid1(VALU_DEP_2)
	v_bfe_u32 v43, v15, 16, 1
	v_and_b32_e32 v42, 0xffff0000, v42
	s_delay_alu instid0(VALU_DEP_2) | instskip(NEXT) | instid1(VALU_DEP_2)
	v_add3_u32 v43, v15, v43, 0x7fff
	v_cndmask_b32_e32 v16, 0x7fc00000, v42, vcc_lo
	v_cmp_o_f32_e32 vcc_lo, v15, v15
	s_delay_alu instid0(VALU_DEP_3) | instskip(SKIP_1) | instid1(VALU_DEP_2)
	v_and_b32_e32 v40, 0xffff0000, v43
	v_and_b32_e32 v34, 0xffff0000, v34
	v_cndmask_b32_e32 v15, 0x7fc00000, v40, vcc_lo
	v_and_b32_e32 v35, 0xffff0000, v35
	v_cmp_o_f32_e32 vcc_lo, v37, v37
	s_delay_alu instid0(VALU_DEP_2) | instskip(SKIP_2) | instid1(VALU_DEP_3)
	v_dual_mul_f32 v34, v15, v34 :: v_dual_mul_f32 v35, v16, v35
	v_bfe_u32 v16, v36, 16, 1
	v_add3_u32 v15, v37, v38, 0x7fff
	v_bfe_u32 v39, v34, 16, 1
	s_delay_alu instid0(VALU_DEP_4) | instskip(NEXT) | instid1(VALU_DEP_4)
	v_bfe_u32 v38, v35, 16, 1
	v_add3_u32 v16, v36, v16, 0x7fff
	s_delay_alu instid0(VALU_DEP_4) | instskip(NEXT) | instid1(VALU_DEP_4)
	v_and_b32_e32 v15, 0xffff0000, v15
	v_add3_u32 v39, v34, v39, 0x7fff
	s_delay_alu instid0(VALU_DEP_4) | instskip(NEXT) | instid1(VALU_DEP_4)
	v_add3_u32 v38, v35, v38, 0x7fff
	v_and_b32_e32 v16, 0xffff0000, v16
	s_delay_alu instid0(VALU_DEP_4)
	v_cndmask_b32_e64 v37, 0x7fc00000, |v15|, vcc_lo
	v_cmp_o_f32_e32 vcc_lo, v36, v36
	v_and_b32_e32 v39, 0xffff0000, v39
	v_and_b32_e32 v38, 0xffff0000, v38
	v_cndmask_b32_e64 v36, 0x7fc00000, |v16|, vcc_lo
	v_add_co_u32 v15, vcc_lo, v13, s20
	v_add_co_ci_u32_e32 v16, vcc_lo, s21, v14, vcc_lo
	v_cmp_o_f32_e32 vcc_lo, v34, v34
	s_delay_alu instid0(VALU_DEP_4) | instskip(SKIP_3) | instid1(VALU_DEP_1)
	v_max3_f32 v4, v4, v37, v36
	v_cndmask_b32_e64 v34, 0x7fc00000, |v39|, vcc_lo
	v_cmp_o_f32_e32 vcc_lo, v35, v35
	v_cndmask_b32_e64 v35, 0x7fc00000, |v38|, vcc_lo
	v_max3_f32 v4, v4, v34, v35
	v_cmpx_lt_i64_e64 v[15:16], v[9:10]
	s_cbranch_execz .LBB88_20
; %bb.22:                               ;   in Loop: Header=BB88_21 Depth=1
	v_add_co_u32 v34, vcc_lo, v21, v11
	v_add_co_ci_u32_e32 v35, vcc_lo, v22, v12, vcc_lo
	v_add_co_u32 v36, vcc_lo, v30, v11
	v_add_co_ci_u32_e32 v37, vcc_lo, v31, v12, vcc_lo
	s_mov_b32 s3, -1
	global_load_b64 v[34:35], v[34:35], off
	global_load_b64 v[36:37], v[36:37], off
	s_mov_b32 s30, exec_lo
	s_waitcnt vmcnt(1)
	v_lshlrev_b32_e32 v39, 16, v34
	v_and_b32_e32 v38, 0xffff0000, v34
	v_alignbit_b32 v34, v35, v34, 16
	s_delay_alu instid0(VALU_DEP_3) | instskip(NEXT) | instid1(VALU_DEP_3)
	v_mul_f32_e32 v39, v28, v39
	v_dual_mul_f32 v38, v28, v38 :: v_dual_and_b32 v35, 0xffff0000, v35
	s_waitcnt vmcnt(0)
	v_and_b32_e32 v40, 0xffff0000, v36
	s_delay_alu instid0(VALU_DEP_3) | instskip(NEXT) | instid1(VALU_DEP_3)
	v_bfe_u32 v42, v39, 16, 1
	v_mul_f32_e32 v35, v28, v35
	v_cmp_o_f32_e32 vcc_lo, v39, v39
	v_bfe_u32 v43, v38, 16, 1
	s_delay_alu instid0(VALU_DEP_4) | instskip(NEXT) | instid1(VALU_DEP_4)
	v_add3_u32 v42, v39, v42, 0x7fff
	v_bfe_u32 v44, v35, 16, 1
	s_delay_alu instid0(VALU_DEP_3) | instskip(NEXT) | instid1(VALU_DEP_3)
	v_add3_u32 v43, v38, v43, 0x7fff
	v_and_b32_e32 v42, 0xffff0000, v42
	s_delay_alu instid0(VALU_DEP_3) | instskip(NEXT) | instid1(VALU_DEP_3)
	v_add3_u32 v44, v35, v44, 0x7fff
	v_and_b32_e32 v43, 0xffff0000, v43
	s_delay_alu instid0(VALU_DEP_3)
	v_cndmask_b32_e32 v39, 0x7fc00000, v42, vcc_lo
	v_and_b32_e32 v34, 0xffff0000, v34
	v_lshlrev_b32_e32 v41, 16, v36
	v_cmp_o_f32_e32 vcc_lo, v38, v38
	v_and_b32_e32 v44, 0xffff0000, v44
	v_alignbit_b32 v36, v37, v36, 16
	s_delay_alu instid0(VALU_DEP_4) | instskip(SKIP_3) | instid1(VALU_DEP_4)
	v_dual_mul_f32 v34, v28, v34 :: v_dual_mul_f32 v39, v39, v41
	v_cndmask_b32_e32 v38, 0x7fc00000, v43, vcc_lo
	v_cmp_o_f32_e32 vcc_lo, v35, v35
	v_and_b32_e32 v37, 0xffff0000, v37
	v_bfe_u32 v45, v34, 16, 1
	s_delay_alu instid0(VALU_DEP_4) | instskip(SKIP_2) | instid1(VALU_DEP_4)
	v_mul_f32_e32 v38, v38, v40
	v_cndmask_b32_e32 v35, 0x7fc00000, v44, vcc_lo
	v_cmp_o_f32_e32 vcc_lo, v34, v34
	v_add3_u32 v45, v34, v45, 0x7fff
	v_and_b32_e32 v36, 0xffff0000, v36
	v_bfe_u32 v40, v39, 16, 1
	v_mul_f32_e32 v37, v35, v37
	v_bfe_u32 v35, v38, 16, 1
	v_and_b32_e32 v42, 0xffff0000, v45
	s_delay_alu instid0(VALU_DEP_2) | instskip(NEXT) | instid1(VALU_DEP_2)
	v_add3_u32 v35, v38, v35, 0x7fff
	v_cndmask_b32_e32 v34, 0x7fc00000, v42, vcc_lo
	v_cmp_o_f32_e32 vcc_lo, v39, v39
	s_delay_alu instid0(VALU_DEP_2) | instskip(SKIP_2) | instid1(VALU_DEP_3)
	v_dual_mul_f32 v36, v34, v36 :: v_dual_and_b32 v35, 0xffff0000, v35
	v_add3_u32 v34, v39, v40, 0x7fff
	v_bfe_u32 v40, v37, 16, 1
	v_bfe_u32 v41, v36, 16, 1
	s_delay_alu instid0(VALU_DEP_3) | instskip(NEXT) | instid1(VALU_DEP_3)
	v_and_b32_e32 v34, 0xffff0000, v34
	v_add3_u32 v40, v37, v40, 0x7fff
	s_delay_alu instid0(VALU_DEP_3) | instskip(NEXT) | instid1(VALU_DEP_3)
	v_add3_u32 v41, v36, v41, 0x7fff
	v_cndmask_b32_e64 v39, 0x7fc00000, |v34|, vcc_lo
	v_cmp_o_f32_e32 vcc_lo, v38, v38
	s_delay_alu instid0(VALU_DEP_4) | instskip(NEXT) | instid1(VALU_DEP_4)
	v_and_b32_e32 v40, 0xffff0000, v40
	v_and_b32_e32 v41, 0xffff0000, v41
	v_cndmask_b32_e64 v38, 0x7fc00000, |v35|, vcc_lo
	v_add_co_u32 v34, vcc_lo, s8, v13
	v_add_co_ci_u32_e32 v35, vcc_lo, s9, v14, vcc_lo
	v_cmp_o_f32_e32 vcc_lo, v36, v36
	s_delay_alu instid0(VALU_DEP_4) | instskip(SKIP_3) | instid1(VALU_DEP_1)
	v_max3_f32 v4, v4, v39, v38
	v_cndmask_b32_e64 v36, 0x7fc00000, |v41|, vcc_lo
	v_cmp_o_f32_e32 vcc_lo, v37, v37
	v_cndmask_b32_e64 v37, 0x7fc00000, |v40|, vcc_lo
	v_max3_f32 v4, v4, v36, v37
	v_cmpx_lt_i64_e64 v[34:35], v[9:10]
	s_cbranch_execz .LBB88_19
; %bb.23:                               ;   in Loop: Header=BB88_21 Depth=1
	v_add_co_u32 v34, vcc_lo, v19, v11
	v_add_co_ci_u32_e32 v35, vcc_lo, v20, v12, vcc_lo
	v_add_co_u32 v36, vcc_lo, v27, v11
	v_add_co_ci_u32_e32 v37, vcc_lo, v29, v12, vcc_lo
	global_load_b64 v[34:35], v[34:35], off
	global_load_b64 v[36:37], v[36:37], off
	s_waitcnt vmcnt(1)
	v_lshlrev_b32_e32 v39, 16, v34
	v_and_b32_e32 v38, 0xffff0000, v34
	v_alignbit_b32 v34, v35, v34, 16
	s_delay_alu instid0(VALU_DEP_3) | instskip(NEXT) | instid1(VALU_DEP_3)
	v_mul_f32_e32 v39, v28, v39
	v_dual_mul_f32 v38, v28, v38 :: v_dual_and_b32 v35, 0xffff0000, v35
	s_waitcnt vmcnt(0)
	v_and_b32_e32 v40, 0xffff0000, v36
	s_delay_alu instid0(VALU_DEP_3) | instskip(NEXT) | instid1(VALU_DEP_3)
	v_bfe_u32 v42, v39, 16, 1
	v_mul_f32_e32 v35, v28, v35
	v_cmp_o_f32_e32 vcc_lo, v39, v39
	v_bfe_u32 v43, v38, 16, 1
	s_delay_alu instid0(VALU_DEP_4) | instskip(NEXT) | instid1(VALU_DEP_4)
	v_add3_u32 v42, v39, v42, 0x7fff
	v_bfe_u32 v44, v35, 16, 1
	s_delay_alu instid0(VALU_DEP_3) | instskip(NEXT) | instid1(VALU_DEP_3)
	v_add3_u32 v43, v38, v43, 0x7fff
	v_and_b32_e32 v42, 0xffff0000, v42
	s_delay_alu instid0(VALU_DEP_3) | instskip(NEXT) | instid1(VALU_DEP_3)
	v_add3_u32 v44, v35, v44, 0x7fff
	v_and_b32_e32 v43, 0xffff0000, v43
	s_delay_alu instid0(VALU_DEP_3)
	v_cndmask_b32_e32 v39, 0x7fc00000, v42, vcc_lo
	v_and_b32_e32 v34, 0xffff0000, v34
	v_lshlrev_b32_e32 v41, 16, v36
	v_cmp_o_f32_e32 vcc_lo, v38, v38
	v_and_b32_e32 v44, 0xffff0000, v44
	v_alignbit_b32 v36, v37, v36, 16
	s_delay_alu instid0(VALU_DEP_4) | instskip(SKIP_3) | instid1(VALU_DEP_4)
	v_dual_mul_f32 v34, v28, v34 :: v_dual_mul_f32 v39, v39, v41
	v_cndmask_b32_e32 v38, 0x7fc00000, v43, vcc_lo
	v_cmp_o_f32_e32 vcc_lo, v35, v35
	v_and_b32_e32 v37, 0xffff0000, v37
	v_bfe_u32 v45, v34, 16, 1
	s_delay_alu instid0(VALU_DEP_4) | instskip(SKIP_2) | instid1(VALU_DEP_4)
	v_mul_f32_e32 v38, v38, v40
	v_cndmask_b32_e32 v35, 0x7fc00000, v44, vcc_lo
	v_cmp_o_f32_e32 vcc_lo, v34, v34
	v_add3_u32 v45, v34, v45, 0x7fff
	v_and_b32_e32 v36, 0xffff0000, v36
	v_bfe_u32 v40, v39, 16, 1
	v_mul_f32_e32 v35, v35, v37
	v_bfe_u32 v37, v38, 16, 1
	v_and_b32_e32 v42, 0xffff0000, v45
	s_delay_alu instid0(VALU_DEP_2) | instskip(NEXT) | instid1(VALU_DEP_2)
	v_add3_u32 v37, v38, v37, 0x7fff
	v_cndmask_b32_e32 v34, 0x7fc00000, v42, vcc_lo
	v_cmp_o_f32_e32 vcc_lo, v39, v39
	s_delay_alu instid0(VALU_DEP_2) | instskip(SKIP_2) | instid1(VALU_DEP_3)
	v_dual_mul_f32 v34, v34, v36 :: v_dual_and_b32 v37, 0xffff0000, v37
	v_add3_u32 v36, v39, v40, 0x7fff
	v_bfe_u32 v40, v35, 16, 1
	v_bfe_u32 v41, v34, 16, 1
	s_delay_alu instid0(VALU_DEP_3) | instskip(NEXT) | instid1(VALU_DEP_3)
	v_and_b32_e32 v36, 0xffff0000, v36
	v_add3_u32 v40, v35, v40, 0x7fff
	s_delay_alu instid0(VALU_DEP_3) | instskip(NEXT) | instid1(VALU_DEP_3)
	v_add3_u32 v41, v34, v41, 0x7fff
	v_cndmask_b32_e64 v36, 0x7fc00000, |v36|, vcc_lo
	v_cmp_o_f32_e32 vcc_lo, v38, v38
	s_delay_alu instid0(VALU_DEP_4) | instskip(NEXT) | instid1(VALU_DEP_4)
	v_and_b32_e32 v39, 0xffff0000, v40
	v_and_b32_e32 v38, 0xffff0000, v41
	v_cndmask_b32_e64 v37, 0x7fc00000, |v37|, vcc_lo
	v_add_co_u32 v13, vcc_lo, s24, v13
	v_add_co_ci_u32_e32 v14, vcc_lo, s17, v14, vcc_lo
	v_cmp_o_f32_e32 vcc_lo, v34, v34
	s_delay_alu instid0(VALU_DEP_4) | instskip(SKIP_4) | instid1(VALU_DEP_2)
	v_max3_f32 v4, v4, v36, v37
	v_cndmask_b32_e64 v34, 0x7fc00000, |v38|, vcc_lo
	v_cmp_o_f32_e32 vcc_lo, v35, v35
	v_cndmask_b32_e64 v35, 0x7fc00000, |v39|, vcc_lo
	v_cmp_lt_i64_e32 vcc_lo, v[13:14], v[9:10]
                                        ; implicit-def: $vgpr13_vgpr14
	v_max3_f32 v4, v4, v34, v35
	s_and_saveexec_b32 s31, vcc_lo
	s_delay_alu instid0(SALU_CYCLE_1)
	s_xor_b32 s31, exec_lo, s31
	s_cbranch_execz .LBB88_18
; %bb.24:                               ;   in Loop: Header=BB88_21 Depth=1
	v_add_co_u32 v13, vcc_lo, v17, v11
	v_add_co_ci_u32_e32 v14, vcc_lo, v18, v12, vcc_lo
	v_add_co_u32 v34, vcc_lo, v25, v11
	v_add_co_ci_u32_e32 v35, vcc_lo, v26, v12, vcc_lo
	v_add_co_u32 v17, vcc_lo, v17, s22
	global_load_b64 v[13:14], v[13:14], off
	global_load_b64 v[34:35], v[34:35], off
	v_add_co_ci_u32_e32 v18, vcc_lo, s23, v18, vcc_lo
	v_add_co_u32 v19, vcc_lo, v19, s22
	v_add_co_ci_u32_e32 v20, vcc_lo, s23, v20, vcc_lo
	v_add_co_u32 v21, vcc_lo, v21, s22
	;; [unrolled: 2-line block ×5, first 2 shown]
	v_add_co_ci_u32_e32 v29, vcc_lo, s23, v29, vcc_lo
	s_add_u32 s3, s20, s20
	s_addc_u32 s33, s21, s21
	s_add_u32 s3, s3, s20
	s_addc_u32 s33, s33, s21
	s_waitcnt vmcnt(1)
	v_lshlrev_b32_e32 v37, 16, v13
	s_waitcnt vmcnt(0)
	v_and_b32_e32 v38, 0xffff0000, v34
	v_lshlrev_b32_e32 v39, 16, v34
	v_alignbit_b32 v34, v35, v34, 16
	v_mul_f32_e32 v37, v28, v37
	s_delay_alu instid0(VALU_DEP_1) | instskip(SKIP_1) | instid1(VALU_DEP_2)
	v_bfe_u32 v40, v37, 16, 1
	v_cmp_o_f32_e32 vcc_lo, v37, v37
	v_add3_u32 v40, v37, v40, 0x7fff
	s_delay_alu instid0(VALU_DEP_1) | instskip(NEXT) | instid1(VALU_DEP_1)
	v_and_b32_e32 v40, 0xffff0000, v40
	v_cndmask_b32_e32 v37, 0x7fc00000, v40, vcc_lo
	v_and_b32_e32 v36, 0xffff0000, v13
	v_alignbit_b32 v13, v14, v13, 16
	s_delay_alu instid0(VALU_DEP_2) | instskip(NEXT) | instid1(VALU_DEP_2)
	v_dual_mul_f32 v37, v37, v39 :: v_dual_mul_f32 v36, v28, v36
	v_and_b32_e32 v13, 0xffff0000, v13
	v_and_b32_e32 v14, 0xffff0000, v14
	s_delay_alu instid0(VALU_DEP_3) | instskip(NEXT) | instid1(VALU_DEP_3)
	v_bfe_u32 v41, v36, 16, 1
	v_mul_f32_e32 v13, v28, v13
	s_delay_alu instid0(VALU_DEP_3) | instskip(SKIP_1) | instid1(VALU_DEP_4)
	v_mul_f32_e32 v14, v28, v14
	v_cmp_o_f32_e32 vcc_lo, v36, v36
	v_add3_u32 v41, v36, v41, 0x7fff
	s_delay_alu instid0(VALU_DEP_4) | instskip(NEXT) | instid1(VALU_DEP_4)
	v_bfe_u32 v43, v13, 16, 1
	v_bfe_u32 v42, v14, 16, 1
	s_delay_alu instid0(VALU_DEP_3) | instskip(NEXT) | instid1(VALU_DEP_3)
	v_and_b32_e32 v41, 0xffff0000, v41
	v_add3_u32 v43, v13, v43, 0x7fff
	s_delay_alu instid0(VALU_DEP_3) | instskip(NEXT) | instid1(VALU_DEP_3)
	v_add3_u32 v42, v14, v42, 0x7fff
	v_cndmask_b32_e32 v36, 0x7fc00000, v41, vcc_lo
	v_cmp_o_f32_e32 vcc_lo, v14, v14
	s_delay_alu instid0(VALU_DEP_3) | instskip(SKIP_3) | instid1(VALU_DEP_4)
	v_and_b32_e32 v42, 0xffff0000, v42
	v_and_b32_e32 v35, 0xffff0000, v35
	;; [unrolled: 1-line block ×3, first 2 shown]
	v_mul_f32_e32 v36, v36, v38
	v_cndmask_b32_e32 v14, 0x7fc00000, v42, vcc_lo
	v_and_b32_e32 v34, 0xffff0000, v34
	v_cmp_o_f32_e32 vcc_lo, v13, v13
	s_delay_alu instid0(VALU_DEP_4) | instskip(NEXT) | instid1(VALU_DEP_4)
	v_bfe_u32 v38, v36, 16, 1
	v_mul_f32_e32 v35, v14, v35
	v_bfe_u32 v14, v37, 16, 1
	v_cndmask_b32_e32 v13, 0x7fc00000, v40, vcc_lo
	s_delay_alu instid0(VALU_DEP_4) | instskip(SKIP_1) | instid1(VALU_DEP_4)
	v_add3_u32 v38, v36, v38, 0x7fff
	v_cmp_o_f32_e32 vcc_lo, v37, v37
	v_add3_u32 v14, v37, v14, 0x7fff
	s_delay_alu instid0(VALU_DEP_4) | instskip(SKIP_2) | instid1(VALU_DEP_4)
	v_mul_f32_e32 v34, v13, v34
	v_bfe_u32 v13, v35, 16, 1
	v_and_b32_e32 v38, 0xffff0000, v38
	v_and_b32_e32 v14, 0xffff0000, v14
	s_delay_alu instid0(VALU_DEP_4) | instskip(NEXT) | instid1(VALU_DEP_4)
	v_bfe_u32 v39, v34, 16, 1
	v_add3_u32 v13, v35, v13, 0x7fff
	s_delay_alu instid0(VALU_DEP_3) | instskip(SKIP_1) | instid1(VALU_DEP_3)
	v_cndmask_b32_e64 v37, 0x7fc00000, |v14|, vcc_lo
	v_cmp_o_f32_e32 vcc_lo, v36, v36
	v_and_b32_e32 v40, 0xffff0000, v13
	v_add3_u32 v39, v34, v39, 0x7fff
	v_cndmask_b32_e64 v36, 0x7fc00000, |v38|, vcc_lo
	v_add_co_u32 v13, vcc_lo, s3, v15
	v_add_co_ci_u32_e32 v14, vcc_lo, s33, v16, vcc_lo
	v_cmp_o_f32_e32 vcc_lo, v35, v35
	v_and_b32_e32 v15, 0xffff0000, v39
	v_max3_f32 v4, v4, v37, v36
	v_add_co_u32 v32, s3, v32, s22
	v_cndmask_b32_e64 v16, 0x7fc00000, |v40|, vcc_lo
	v_cmp_o_f32_e32 vcc_lo, v34, v34
	v_add_co_ci_u32_e64 v33, s3, s23, v33, s3
	v_cndmask_b32_e64 v15, 0x7fc00000, |v15|, vcc_lo
	v_add_co_u32 v30, vcc_lo, v30, s22
	v_add_co_ci_u32_e32 v31, vcc_lo, s23, v31, vcc_lo
	v_cmp_ge_i64_e32 vcc_lo, v[13:14], v[9:10]
	s_delay_alu instid0(VALU_DEP_4)
	v_max3_f32 v4, v4, v15, v16
	s_or_not1_b32 s3, vcc_lo, exec_lo
	s_branch .LBB88_18
.LBB88_25:
	s_or_b32 exec_lo, exec_lo, s25
.LBB88_26:
	s_delay_alu instid0(SALU_CYCLE_1)
	s_or_b32 exec_lo, exec_lo, s13
	s_lshr_b32 s13, s27, 5
	s_ashr_i32 s17, s16, 31
	v_cvt_f32_u32_e32 v9, s13
	s_sub_i32 s8, 0, s13
	s_add_i32 s9, s16, s13
	v_lshlrev_b32_e32 v29, 2, v0
	s_add_i32 s9, s9, -1
	v_rcp_iflag_f32_e32 v9, v9
	s_abs_i32 s22, s9
	s_ashr_i32 s9, s9, 31
	ds_store_b32 v29, v4
	s_waitcnt lgkmcnt(0)
	s_barrier
	buffer_gl0_inv
	v_mul_f32_e32 v9, 0x4f7ffffe, v9
	s_delay_alu instid0(VALU_DEP_1) | instskip(NEXT) | instid1(VALU_DEP_1)
	v_cvt_u32_f32_e32 v9, v9
	v_readfirstlane_b32 s3, v9
	s_delay_alu instid0(VALU_DEP_1) | instskip(NEXT) | instid1(SALU_CYCLE_1)
	s_mul_i32 s8, s8, s3
	s_mul_hi_u32 s8, s3, s8
	s_delay_alu instid0(SALU_CYCLE_1) | instskip(NEXT) | instid1(SALU_CYCLE_1)
	s_add_i32 s3, s3, s8
	s_mul_hi_u32 s3, s22, s3
	s_delay_alu instid0(SALU_CYCLE_1) | instskip(NEXT) | instid1(SALU_CYCLE_1)
	s_mul_i32 s8, s3, s13
	s_sub_i32 s8, s22, s8
	s_add_i32 s22, s3, 1
	s_sub_i32 s23, s8, s13
	s_cmp_ge_u32 s8, s13
	s_cselect_b32 s3, s22, s3
	s_cselect_b32 s8, s23, s8
	s_add_i32 s22, s3, 1
	s_cmp_ge_u32 s8, s13
	s_cselect_b32 s3, s22, s3
	s_delay_alu instid0(SALU_CYCLE_1) | instskip(NEXT) | instid1(SALU_CYCLE_1)
	s_xor_b32 s3, s3, s9
	s_sub_i32 s8, s3, s9
	s_delay_alu instid0(SALU_CYCLE_1) | instskip(NEXT) | instid1(SALU_CYCLE_1)
	s_ashr_i32 s9, s8, 31
	v_cmp_lt_i64_e64 s3, s[8:9], 1
	s_delay_alu instid0(VALU_DEP_1)
	s_and_b32 vcc_lo, exec_lo, s3
	s_cbranch_vccnz .LBB88_46
; %bb.27:
	v_lshrrev_b32_e32 v9, 5, v0
	v_and_b32_e32 v4, 31, v0
	s_mov_b64 s[22:23], 0
	s_mov_b64 s[24:25], src_shared_base
	s_delay_alu instid0(VALU_DEP_2) | instskip(NEXT) | instid1(VALU_DEP_2)
	v_mul_lo_u32 v19, s20, v9
	v_add_co_u32 v11, s3, v4, 16
	s_delay_alu instid0(VALU_DEP_1) | instskip(SKIP_1) | instid1(VALU_DEP_1)
	v_add_co_ci_u32_e64 v12, null, 0, 0, s3
	v_add_co_u32 v13, s3, v4, 8
	v_add_co_ci_u32_e64 v14, null, 0, 0, s3
	v_add_co_u32 v15, s3, v4, 4
	v_dual_mov_b32 v10, 0 :: v_dual_lshlrev_b32 v21, 2, v19
	v_lshlrev_b32_e32 v22, 2, v4
	v_add_co_ci_u32_e64 v16, null, 0, 0, s3
	v_add_co_u32 v17, s3, v4, 2
	s_delay_alu instid0(VALU_DEP_1) | instskip(SKIP_1) | instid1(VALU_DEP_1)
	v_add_co_ci_u32_e64 v18, null, 0, 0, s3
	v_add_co_u32 v19, s3, v4, 1
	v_add_co_ci_u32_e64 v20, null, 0, 0, s3
	v_add3_u32 v30, v21, v22, 0x80
	s_mul_i32 s3, s20, s13
	s_delay_alu instid0(SALU_CYCLE_1)
	s_lshl_b32 s28, s3, 2
	s_branch .LBB88_30
.LBB88_28:                              ;   in Loop: Header=BB88_30 Depth=1
	s_or_b32 exec_lo, exec_lo, s3
	v_mov_b32_e32 v22, s25
	flat_load_b32 v21, v[21:22] glc dlc
	s_waitcnt vmcnt(0)
.LBB88_29:                              ;   in Loop: Header=BB88_30 Depth=1
	s_or_b32 exec_lo, exec_lo, s24
	s_add_u32 s22, s22, 1
	v_add_nc_u32_e32 v30, s28, v30
	s_addc_u32 s23, s23, 0
	s_delay_alu instid0(SALU_CYCLE_1)
	s_cmp_eq_u64 s[22:23], s[8:9]
	s_cbranch_scc1 .LBB88_46
.LBB88_30:                              ; =>This Loop Header: Depth=1
                                        ;     Child Loop BB88_33 Depth 2
	s_waitcnt lgkmcnt(0)
	v_mad_u64_u32 v[21:22], null, s22, s13, v[9:10]
	s_mov_b32 s24, exec_lo
	s_delay_alu instid0(VALU_DEP_1) | instskip(NEXT) | instid1(VALU_DEP_1)
	v_mad_u64_u32 v[23:24], null, s23, s13, v[22:23]
	v_mov_b32_e32 v22, v23
	s_delay_alu instid0(VALU_DEP_1)
	v_cmpx_gt_i64_e64 s[16:17], v[21:22]
	s_cbranch_execz .LBB88_29
; %bb.31:                               ;   in Loop: Header=BB88_30 Depth=1
	v_mul_lo_u32 v24, v22, s20
	v_mul_lo_u32 v25, v21, s21
	v_mad_u64_u32 v[22:23], null, v21, s20, 0
	s_delay_alu instid0(VALU_DEP_1) | instskip(NEXT) | instid1(VALU_DEP_2)
	v_add3_u32 v23, v23, v25, v24
	v_add_co_u32 v24, vcc_lo, v22, s20
	v_add_co_u32 v31, s3, v22, v4
	s_delay_alu instid0(VALU_DEP_3) | instskip(SKIP_2) | instid1(VALU_DEP_2)
	v_add_co_ci_u32_e32 v25, vcc_lo, s21, v23, vcc_lo
	v_add_co_ci_u32_e64 v21, s3, 0, v23, s3
	s_mov_b32 s3, exec_lo
	v_cmp_gt_i64_e32 vcc_lo, s[18:19], v[24:25]
	v_cndmask_b32_e32 v25, s19, v25, vcc_lo
	v_cndmask_b32_e32 v24, s18, v24, vcc_lo
	v_add_co_u32 v26, vcc_lo, v31, 32
	v_add_co_ci_u32_e32 v27, vcc_lo, 0, v21, vcc_lo
	v_lshlrev_b32_e32 v21, 2, v31
	s_delay_alu instid0(VALU_DEP_2)
	v_cmpx_lt_i64_e64 v[26:27], v[24:25]
	s_cbranch_execz .LBB88_34
; %bb.32:                               ;   in Loop: Header=BB88_30 Depth=1
	ds_load_b32 v33, v21
	v_mov_b32_e32 v32, v30
	s_mov_b32 s29, 0
.LBB88_33:                              ;   Parent Loop BB88_30 Depth=1
                                        ; =>  This Inner Loop Header: Depth=2
	ds_load_b32 v34, v32
	v_add_co_u32 v26, vcc_lo, v26, 32
	v_add_co_ci_u32_e32 v27, vcc_lo, 0, v27, vcc_lo
	s_waitcnt lgkmcnt(1)
	v_dual_max_f32 v33, v33, v33 :: v_dual_add_nc_u32 v32, 0x80, v32
	s_delay_alu instid0(VALU_DEP_2) | instskip(SKIP_3) | instid1(VALU_DEP_1)
	v_cmp_ge_i64_e32 vcc_lo, v[26:27], v[24:25]
	s_or_b32 s29, vcc_lo, s29
	s_waitcnt lgkmcnt(0)
	v_max_f32_e32 v34, v34, v34
	v_max_f32_e32 v33, v33, v34
	ds_store_b32 v21, v33
	s_and_not1_b32 exec_lo, exec_lo, s29
	s_cbranch_execnz .LBB88_33
.LBB88_34:                              ;   in Loop: Header=BB88_30 Depth=1
	s_or_b32 exec_lo, exec_lo, s3
	v_sub_co_u32 v22, vcc_lo, v24, v22
	v_sub_co_ci_u32_e32 v23, vcc_lo, v25, v23, vcc_lo
	s_mov_b32 s3, exec_lo
	s_delay_alu instid0(VALU_DEP_1) | instskip(SKIP_1) | instid1(VALU_DEP_1)
	v_cmp_gt_i64_e32 vcc_lo, 32, v[22:23]
	v_dual_cndmask_b32 v24, 0, v23 :: v_dual_cndmask_b32 v23, 32, v22
	v_cmpx_lt_i64_e64 v[11:12], v[23:24]
	s_cbranch_execz .LBB88_36
; %bb.35:                               ;   in Loop: Header=BB88_30 Depth=1
	v_dual_mov_b32 v22, s25 :: v_dual_add_nc_u32 v25, 64, v21
	v_mov_b32_e32 v26, s25
	flat_load_b32 v27, v[21:22] glc dlc
	s_waitcnt vmcnt(0)
	flat_load_b32 v25, v[25:26] glc dlc
	s_waitcnt vmcnt(0) lgkmcnt(0)
	v_dual_max_f32 v26, v27, v27 :: v_dual_max_f32 v25, v25, v25
	s_delay_alu instid0(VALU_DEP_1)
	v_max_f32_e32 v25, v26, v25
	flat_store_b32 v[21:22], v25 dlc
	s_waitcnt_vscnt null, 0x0
.LBB88_36:                              ;   in Loop: Header=BB88_30 Depth=1
	s_or_b32 exec_lo, exec_lo, s3
	s_delay_alu instid0(SALU_CYCLE_1)
	s_mov_b32 s3, exec_lo
	v_cmpx_lt_i64_e64 v[13:14], v[23:24]
	s_cbranch_execz .LBB88_38
; %bb.37:                               ;   in Loop: Header=BB88_30 Depth=1
	v_dual_mov_b32 v22, s25 :: v_dual_add_nc_u32 v25, 32, v21
	v_mov_b32_e32 v26, s25
	flat_load_b32 v27, v[21:22] glc dlc
	s_waitcnt vmcnt(0)
	flat_load_b32 v25, v[25:26] glc dlc
	s_waitcnt vmcnt(0) lgkmcnt(0)
	v_dual_max_f32 v26, v27, v27 :: v_dual_max_f32 v25, v25, v25
	s_delay_alu instid0(VALU_DEP_1)
	v_max_f32_e32 v25, v26, v25
	flat_store_b32 v[21:22], v25 dlc
	s_waitcnt_vscnt null, 0x0
.LBB88_38:                              ;   in Loop: Header=BB88_30 Depth=1
	s_or_b32 exec_lo, exec_lo, s3
	s_delay_alu instid0(SALU_CYCLE_1)
	s_mov_b32 s3, exec_lo
	v_cmpx_ge_i64_e64 v[15:16], v[23:24]
	s_xor_b32 s3, exec_lo, s3
; %bb.39:                               ;   in Loop: Header=BB88_30 Depth=1
                                        ; implicit-def: $vgpr21
; %bb.40:                               ;   in Loop: Header=BB88_30 Depth=1
	s_delay_alu instid0(SALU_CYCLE_1)
	s_and_not1_saveexec_b32 s3, s3
	s_cbranch_execz .LBB88_42
; %bb.41:                               ;   in Loop: Header=BB88_30 Depth=1
	v_dual_mov_b32 v22, s25 :: v_dual_add_nc_u32 v25, 16, v21
	v_mov_b32_e32 v26, s25
	flat_load_b32 v27, v[21:22] glc dlc
	s_waitcnt vmcnt(0)
	flat_load_b32 v25, v[25:26] glc dlc
	s_waitcnt vmcnt(0) lgkmcnt(0)
	v_dual_max_f32 v26, v27, v27 :: v_dual_max_f32 v25, v25, v25
	s_delay_alu instid0(VALU_DEP_1)
	v_max_f32_e32 v25, v26, v25
	flat_store_b32 v[21:22], v25 dlc
	s_waitcnt_vscnt null, 0x0
.LBB88_42:                              ;   in Loop: Header=BB88_30 Depth=1
	s_or_b32 exec_lo, exec_lo, s3
	v_lshlrev_b32_e32 v21, 2, v31
	s_mov_b32 s3, exec_lo
	v_cmpx_lt_i64_e64 v[17:18], v[23:24]
	s_cbranch_execz .LBB88_44
; %bb.43:                               ;   in Loop: Header=BB88_30 Depth=1
	s_delay_alu instid0(VALU_DEP_2)
	v_dual_mov_b32 v22, s25 :: v_dual_add_nc_u32 v25, 8, v21
	v_mov_b32_e32 v26, s25
	flat_load_b32 v27, v[21:22] glc dlc
	s_waitcnt vmcnt(0)
	flat_load_b32 v25, v[25:26] glc dlc
	s_waitcnt vmcnt(0) lgkmcnt(0)
	v_dual_max_f32 v26, v27, v27 :: v_dual_max_f32 v25, v25, v25
	s_delay_alu instid0(VALU_DEP_1)
	v_max_f32_e32 v25, v26, v25
	flat_store_b32 v[21:22], v25 dlc
	s_waitcnt_vscnt null, 0x0
.LBB88_44:                              ;   in Loop: Header=BB88_30 Depth=1
	s_or_b32 exec_lo, exec_lo, s3
	s_delay_alu instid0(SALU_CYCLE_1)
	s_mov_b32 s3, exec_lo
	v_cmpx_lt_i64_e64 v[19:20], v[23:24]
	s_cbranch_execz .LBB88_28
; %bb.45:                               ;   in Loop: Header=BB88_30 Depth=1
	v_dual_mov_b32 v22, s25 :: v_dual_add_nc_u32 v23, 4, v21
	v_mov_b32_e32 v24, s25
	flat_load_b32 v25, v[21:22] glc dlc
	s_waitcnt vmcnt(0)
	flat_load_b32 v23, v[23:24] glc dlc
	s_waitcnt vmcnt(0) lgkmcnt(0)
	v_dual_max_f32 v24, v25, v25 :: v_dual_max_f32 v23, v23, v23
	s_delay_alu instid0(VALU_DEP_1)
	v_max_f32_e32 v23, v24, v23
	flat_store_b32 v[21:22], v23 dlc
	s_waitcnt_vscnt null, 0x0
	s_branch .LBB88_28
.LBB88_46:
	v_cmp_lt_i64_e32 vcc_lo, v[7:8], v[5:6]
	v_cmp_eq_u32_e64 s3, 0, v3
	s_mul_i32 s13, s17, s15
	s_mul_hi_u32 s17, s16, s15
	s_mul_i32 s8, s16, s15
	s_waitcnt lgkmcnt(0)
	s_and_b32 s9, s3, vcc_lo
	s_barrier
	buffer_gl0_inv
	s_and_saveexec_b32 s3, s9
	s_cbranch_execz .LBB88_50
; %bb.47:
	s_load_b64 s[0:1], s[0:1], 0x20
	ds_load_b32 v3, v29
	s_waitcnt lgkmcnt(0)
	s_cmp_eq_u64 s[0:1], 0
	s_cbranch_scc1 .LBB88_49
; %bb.48:
	s_load_b32 s0, s[0:1], 0x0
	v_max_f32_e32 v3, v3, v3
	s_waitcnt lgkmcnt(0)
	v_max_f32_e64 v4, s0, s0
	s_delay_alu instid0(VALU_DEP_1)
	v_min_f32_e32 v3, v3, v4
.LBB88_49:
	s_delay_alu instid0(VALU_DEP_1) | instskip(SKIP_2) | instid1(VALU_DEP_2)
	v_div_scale_f32 v4, null, 0x43600000, 0x43600000, v3
	v_div_scale_f32 v7, vcc_lo, v3, 0x43600000, v3
	s_add_i32 s9, s17, s13
	v_rcp_f32_e32 v5, v4
	v_lshlrev_b64 v[1:2], 2, v[1:2]
	s_lshl_b64 s[0:1], s[8:9], 2
	s_delay_alu instid0(SALU_CYCLE_1) | instskip(SKIP_3) | instid1(VALU_DEP_1)
	s_add_u32 s0, s6, s0
	s_addc_u32 s1, s7, s1
	s_waitcnt_depctr 0xfff
	v_fma_f32 v6, -v4, v5, 1.0
	v_fmac_f32_e32 v5, v6, v5
	s_delay_alu instid0(VALU_DEP_1) | instskip(NEXT) | instid1(VALU_DEP_1)
	v_mul_f32_e32 v6, v7, v5
	v_fma_f32 v8, -v4, v6, v7
	s_delay_alu instid0(VALU_DEP_1) | instskip(NEXT) | instid1(VALU_DEP_1)
	v_fmac_f32_e32 v6, v8, v5
	v_fma_f32 v4, -v4, v6, v7
	s_delay_alu instid0(VALU_DEP_1) | instskip(SKIP_2) | instid1(VALU_DEP_3)
	v_div_fmas_f32 v4, v4, v5, v6
	v_add_co_u32 v1, vcc_lo, s0, v1
	v_add_co_ci_u32_e32 v2, vcc_lo, s1, v2, vcc_lo
	v_div_fixup_f32 v3, v4, 0x43600000, v3
	s_delay_alu instid0(VALU_DEP_1)
	v_max_f32_e32 v3, 0x37124925, v3
	global_store_b32 v[1:2], v3, off
.LBB88_50:
	s_or_b32 exec_lo, exec_lo, s3
	s_waitcnt_vscnt null, 0x0
	s_barrier
	buffer_gl0_inv
	s_and_saveexec_b32 s0, s2
	s_cbranch_execz .LBB88_187
; %bb.51:
	s_mul_i32 s0, s19, s15
	s_mul_hi_u32 s1, s18, s15
	s_mul_i32 s2, s18, s15
	s_add_i32 s1, s1, s0
	s_add_u32 s2, s4, s2
	s_addc_u32 s3, s5, s1
	s_add_i32 s9, s17, s13
	v_mov_b32_e32 v1, 0
	s_lshl_b64 s[0:1], s[8:9], 2
	s_mul_i32 s4, s27, 3
	s_add_u32 s0, s6, s0
	s_addc_u32 s1, s7, s1
	s_lshl_b32 s5, s27, 1
	s_mov_b32 s6, 0
	s_mov_b32 s7, 0x43600000
	s_branch .LBB88_57
.LBB88_52:                              ;   in Loop: Header=BB88_57 Depth=1
	s_or_b32 exec_lo, exec_lo, s17
.LBB88_53:                              ;   in Loop: Header=BB88_57 Depth=1
	s_delay_alu instid0(SALU_CYCLE_1)
	s_or_b32 exec_lo, exec_lo, s15
	v_lshlrev_b32_e32 v6, 16, v5
	v_lshlrev_b64 v[4:5], 2, v[0:1]
	v_lshlrev_b32_e32 v8, 8, v9
	s_add_i32 s15, s27, s27
	v_and_b32_e32 v7, 0xff, v7
	v_add3_u32 v0, s15, s27, v2
	v_perm_b32 v6, v3, v6, 0x4020c0c
	v_and_b32_e32 v8, 0xff00, v8
	v_add_co_u32 v2, vcc_lo, s2, v4
	v_add_co_ci_u32_e32 v3, vcc_lo, s3, v5, vcc_lo
	v_cmp_le_u32_e32 vcc_lo, s12, v0
	s_delay_alu instid0(VALU_DEP_4)
	v_or3_b32 v4, v6, v8, v7
	s_or_not1_b32 s15, vcc_lo, exec_lo
	global_store_b32 v[2:3], v4, off
.LBB88_54:                              ;   in Loop: Header=BB88_57 Depth=1
	s_or_b32 exec_lo, exec_lo, s13
	s_delay_alu instid0(SALU_CYCLE_1)
	s_or_not1_b32 s13, s15, exec_lo
.LBB88_55:                              ;   in Loop: Header=BB88_57 Depth=1
	s_or_b32 exec_lo, exec_lo, s9
	s_delay_alu instid0(SALU_CYCLE_1)
	s_or_not1_b32 s9, s13, exec_lo
.LBB88_56:                              ;   in Loop: Header=BB88_57 Depth=1
	s_or_b32 exec_lo, exec_lo, s8
	s_delay_alu instid0(SALU_CYCLE_1) | instskip(NEXT) | instid1(SALU_CYCLE_1)
	s_and_b32 s8, exec_lo, s9
	s_or_b32 s6, s8, s6
	s_delay_alu instid0(SALU_CYCLE_1)
	s_and_not1_b32 exec_lo, exec_lo, s6
	s_cbranch_execz .LBB88_187
.LBB88_57:                              ; =>This Inner Loop Header: Depth=1
	v_lshlrev_b64 v[2:3], 3, v[0:1]
	v_lshrrev_b32_e32 v6, 2, v0
	s_mov_b32 s8, exec_lo
	s_delay_alu instid0(VALU_DEP_2) | instskip(NEXT) | instid1(VALU_DEP_3)
	v_add_co_u32 v4, vcc_lo, s14, v2
	v_add_co_ci_u32_e32 v5, vcc_lo, s26, v3, vcc_lo
	v_add_co_u32 v2, vcc_lo, s10, v2
	v_add_co_ci_u32_e32 v3, vcc_lo, s11, v3, vcc_lo
	global_load_b64 v[4:5], v[4:5], off
	global_load_b64 v[2:3], v[2:3], off
	s_waitcnt vmcnt(1)
	v_lshlrev_b32_e32 v7, 16, v4
	v_and_b32_e32 v6, 0xffffffc, v6
	s_waitcnt vmcnt(0)
	v_lshlrev_b32_e32 v9, 16, v2
	s_delay_alu instid0(VALU_DEP_3) | instskip(SKIP_3) | instid1(VALU_DEP_2)
	v_mul_f32_e32 v7, v28, v7
	global_load_b32 v6, v6, s[0:1]
	v_bfe_u32 v8, v7, 16, 1
	v_cmp_o_f32_e32 vcc_lo, v7, v7
	v_add3_u32 v8, v7, v8, 0x7fff
	s_delay_alu instid0(VALU_DEP_1) | instskip(NEXT) | instid1(VALU_DEP_1)
	v_and_b32_e32 v8, 0xffff0000, v8
	v_cndmask_b32_e32 v7, 0x7fc00000, v8, vcc_lo
	s_delay_alu instid0(VALU_DEP_1) | instskip(NEXT) | instid1(VALU_DEP_1)
	v_mul_f32_e32 v7, v7, v9
	v_bfe_u32 v8, v7, 16, 1
	v_cmp_o_f32_e32 vcc_lo, v7, v7
	s_delay_alu instid0(VALU_DEP_2) | instskip(NEXT) | instid1(VALU_DEP_1)
	v_add3_u32 v8, v7, v8, 0x7fff
	v_and_b32_e32 v8, 0xffff0000, v8
	s_delay_alu instid0(VALU_DEP_1) | instskip(SKIP_1) | instid1(VALU_DEP_1)
	v_cndmask_b32_e32 v7, 0x7fc00000, v8, vcc_lo
	s_waitcnt vmcnt(0)
	v_div_scale_f32 v8, null, v6, v6, v7
	v_div_scale_f32 v11, vcc_lo, v7, v6, v7
	s_delay_alu instid0(VALU_DEP_2) | instskip(SKIP_2) | instid1(VALU_DEP_1)
	v_rcp_f32_e32 v9, v8
	s_waitcnt_depctr 0xfff
	v_fma_f32 v10, -v8, v9, 1.0
	v_fmac_f32_e32 v9, v10, v9
	s_delay_alu instid0(VALU_DEP_1) | instskip(NEXT) | instid1(VALU_DEP_1)
	v_mul_f32_e32 v10, v11, v9
	v_fma_f32 v12, -v8, v10, v11
	s_delay_alu instid0(VALU_DEP_1) | instskip(NEXT) | instid1(VALU_DEP_1)
	v_fmac_f32_e32 v10, v12, v9
	v_fma_f32 v8, -v8, v10, v11
	s_delay_alu instid0(VALU_DEP_1) | instskip(NEXT) | instid1(VALU_DEP_1)
	v_div_fmas_f32 v8, v8, v9, v10
	v_div_fixup_f32 v7, v8, v6, v7
	v_mov_b32_e32 v8, 0x80
	s_delay_alu instid0(VALU_DEP_2) | instskip(SKIP_1) | instid1(VALU_DEP_2)
	v_minmax_f32 v9, v7, s7, 0xc3600000
	v_mov_b32_e32 v7, 0x80
	v_and_b32_e32 v10, 0x7fffffff, v9
	s_delay_alu instid0(VALU_DEP_1)
	v_cmpx_gt_u32_e32 0x43800000, v10
	s_cbranch_execz .LBB88_63
; %bb.58:                               ;   in Loop: Header=BB88_57 Depth=1
	v_cmp_lt_u32_e32 vcc_lo, 0x3bffffff, v10
	s_mov_b32 s9, 0
                                        ; implicit-def: $vgpr10
	s_and_saveexec_b32 s13, vcc_lo
	s_delay_alu instid0(SALU_CYCLE_1)
	s_xor_b32 s13, exec_lo, s13
	s_cbranch_execnz .LBB88_154
; %bb.59:                               ;   in Loop: Header=BB88_57 Depth=1
	s_or_saveexec_b32 s13, s13
                                        ; implicit-def: $sgpr15
	s_delay_alu instid0(SALU_CYCLE_1)
	s_xor_b32 exec_lo, exec_lo, s13
	s_cbranch_execnz .LBB88_155
.LBB88_60:                              ;   in Loop: Header=BB88_57 Depth=1
	s_or_b32 exec_lo, exec_lo, s13
	v_mov_b32_e32 v8, s15
	s_and_saveexec_b32 s13, s9
.LBB88_61:                              ;   in Loop: Header=BB88_57 Depth=1
	v_lshrrev_b32_e32 v8, 24, v9
	s_delay_alu instid0(VALU_DEP_1)
	v_and_or_b32 v8, 0x80, v8, v10
.LBB88_62:                              ;   in Loop: Header=BB88_57 Depth=1
	s_or_b32 exec_lo, exec_lo, s13
.LBB88_63:                              ;   in Loop: Header=BB88_57 Depth=1
	s_delay_alu instid0(SALU_CYCLE_1) | instskip(SKIP_3) | instid1(VALU_DEP_2)
	s_or_b32 exec_lo, exec_lo, s8
	v_and_b32_e32 v9, 0xffff0000, v4
	v_and_b32_e32 v11, 0xffff0000, v2
	s_mov_b32 s8, exec_lo
	v_mul_f32_e32 v9, v28, v9
	s_delay_alu instid0(VALU_DEP_1) | instskip(NEXT) | instid1(VALU_DEP_1)
	v_bfe_u32 v10, v9, 16, 1
	v_add3_u32 v10, v9, v10, 0x7fff
	s_delay_alu instid0(VALU_DEP_1) | instskip(SKIP_1) | instid1(VALU_DEP_2)
	v_and_b32_e32 v10, 0xffff0000, v10
	v_cmp_o_f32_e32 vcc_lo, v9, v9
	v_cndmask_b32_e32 v9, 0x7fc00000, v10, vcc_lo
	s_delay_alu instid0(VALU_DEP_1) | instskip(NEXT) | instid1(VALU_DEP_1)
	v_mul_f32_e32 v9, v9, v11
	v_bfe_u32 v10, v9, 16, 1
	s_delay_alu instid0(VALU_DEP_1) | instskip(NEXT) | instid1(VALU_DEP_1)
	v_add3_u32 v10, v9, v10, 0x7fff
	v_and_b32_e32 v10, 0xffff0000, v10
	v_cmp_o_f32_e32 vcc_lo, v9, v9
	s_delay_alu instid0(VALU_DEP_2) | instskip(NEXT) | instid1(VALU_DEP_1)
	v_cndmask_b32_e32 v9, 0x7fc00000, v10, vcc_lo
	v_div_scale_f32 v10, null, v6, v6, v9
	s_delay_alu instid0(VALU_DEP_1) | instskip(SKIP_2) | instid1(VALU_DEP_1)
	v_rcp_f32_e32 v11, v10
	s_waitcnt_depctr 0xfff
	v_fma_f32 v12, -v10, v11, 1.0
	v_fmac_f32_e32 v11, v12, v11
	v_div_scale_f32 v12, vcc_lo, v9, v6, v9
	s_delay_alu instid0(VALU_DEP_1) | instskip(NEXT) | instid1(VALU_DEP_1)
	v_mul_f32_e32 v13, v12, v11
	v_fma_f32 v14, -v10, v13, v12
	s_delay_alu instid0(VALU_DEP_1) | instskip(NEXT) | instid1(VALU_DEP_1)
	v_fmac_f32_e32 v13, v14, v11
	v_fma_f32 v10, -v10, v13, v12
	s_delay_alu instid0(VALU_DEP_1) | instskip(NEXT) | instid1(VALU_DEP_1)
	v_div_fmas_f32 v10, v10, v11, v13
	v_div_fixup_f32 v9, v10, v6, v9
	s_delay_alu instid0(VALU_DEP_1) | instskip(NEXT) | instid1(VALU_DEP_1)
	v_minmax_f32 v9, v9, s7, 0xc3600000
	v_and_b32_e32 v10, 0x7fffffff, v9
	s_delay_alu instid0(VALU_DEP_1)
	v_cmpx_gt_u32_e32 0x43800000, v10
	s_cbranch_execz .LBB88_69
; %bb.64:                               ;   in Loop: Header=BB88_57 Depth=1
	v_cmp_lt_u32_e32 vcc_lo, 0x3bffffff, v10
	s_mov_b32 s9, 0
                                        ; implicit-def: $vgpr10
	s_and_saveexec_b32 s13, vcc_lo
	s_delay_alu instid0(SALU_CYCLE_1)
	s_xor_b32 s13, exec_lo, s13
	s_cbranch_execnz .LBB88_156
; %bb.65:                               ;   in Loop: Header=BB88_57 Depth=1
	s_or_saveexec_b32 s13, s13
                                        ; implicit-def: $sgpr15
	s_delay_alu instid0(SALU_CYCLE_1)
	s_xor_b32 exec_lo, exec_lo, s13
	s_cbranch_execnz .LBB88_157
.LBB88_66:                              ;   in Loop: Header=BB88_57 Depth=1
	s_or_b32 exec_lo, exec_lo, s13
	v_mov_b32_e32 v7, s15
	s_and_saveexec_b32 s13, s9
.LBB88_67:                              ;   in Loop: Header=BB88_57 Depth=1
	v_lshrrev_b32_e32 v7, 24, v9
	s_delay_alu instid0(VALU_DEP_1)
	v_and_or_b32 v7, 0x80, v7, v10
.LBB88_68:                              ;   in Loop: Header=BB88_57 Depth=1
	s_or_b32 exec_lo, exec_lo, s13
.LBB88_69:                              ;   in Loop: Header=BB88_57 Depth=1
	s_delay_alu instid0(SALU_CYCLE_1) | instskip(SKIP_3) | instid1(VALU_DEP_2)
	s_or_b32 exec_lo, exec_lo, s8
	v_alignbit_b32 v4, v5, v4, 16
	v_alignbit_b32 v2, v3, v2, 16
	s_mov_b32 s8, exec_lo
	v_and_b32_e32 v4, 0xffff0000, v4
	s_delay_alu instid0(VALU_DEP_2) | instskip(NEXT) | instid1(VALU_DEP_2)
	v_and_b32_e32 v2, 0xffff0000, v2
	v_mul_f32_e32 v4, v28, v4
	s_delay_alu instid0(VALU_DEP_1) | instskip(NEXT) | instid1(VALU_DEP_1)
	v_bfe_u32 v9, v4, 16, 1
	v_add3_u32 v9, v4, v9, 0x7fff
	s_delay_alu instid0(VALU_DEP_1) | instskip(SKIP_1) | instid1(VALU_DEP_2)
	v_and_b32_e32 v9, 0xffff0000, v9
	v_cmp_o_f32_e32 vcc_lo, v4, v4
	v_cndmask_b32_e32 v4, 0x7fc00000, v9, vcc_lo
	s_delay_alu instid0(VALU_DEP_1) | instskip(NEXT) | instid1(VALU_DEP_1)
	v_mul_f32_e32 v2, v4, v2
	v_bfe_u32 v4, v2, 16, 1
	v_cmp_o_f32_e32 vcc_lo, v2, v2
	s_delay_alu instid0(VALU_DEP_2) | instskip(NEXT) | instid1(VALU_DEP_1)
	v_add3_u32 v4, v2, v4, 0x7fff
	v_and_b32_e32 v4, 0xffff0000, v4
	s_delay_alu instid0(VALU_DEP_1) | instskip(NEXT) | instid1(VALU_DEP_1)
	v_cndmask_b32_e32 v2, 0x7fc00000, v4, vcc_lo
	v_div_scale_f32 v4, null, v6, v6, v2
	v_div_scale_f32 v11, vcc_lo, v2, v6, v2
	s_delay_alu instid0(VALU_DEP_2) | instskip(SKIP_2) | instid1(VALU_DEP_1)
	v_rcp_f32_e32 v9, v4
	s_waitcnt_depctr 0xfff
	v_fma_f32 v10, -v4, v9, 1.0
	v_fmac_f32_e32 v9, v10, v9
	s_delay_alu instid0(VALU_DEP_1) | instskip(NEXT) | instid1(VALU_DEP_1)
	v_mul_f32_e32 v10, v11, v9
	v_fma_f32 v12, -v4, v10, v11
	s_delay_alu instid0(VALU_DEP_1) | instskip(NEXT) | instid1(VALU_DEP_1)
	v_fmac_f32_e32 v10, v12, v9
	v_fma_f32 v4, -v4, v10, v11
	s_delay_alu instid0(VALU_DEP_1) | instskip(NEXT) | instid1(VALU_DEP_1)
	v_div_fmas_f32 v4, v4, v9, v10
	v_div_fixup_f32 v2, v4, v6, v2
	v_mov_b32_e32 v4, 0x80
	s_delay_alu instid0(VALU_DEP_2) | instskip(SKIP_1) | instid1(VALU_DEP_2)
	v_minmax_f32 v9, v2, s7, 0xc3600000
	v_mov_b32_e32 v2, 0x80
	v_and_b32_e32 v10, 0x7fffffff, v9
	s_delay_alu instid0(VALU_DEP_1)
	v_cmpx_gt_u32_e32 0x43800000, v10
	s_cbranch_execz .LBB88_75
; %bb.70:                               ;   in Loop: Header=BB88_57 Depth=1
	v_cmp_lt_u32_e32 vcc_lo, 0x3bffffff, v10
	s_mov_b32 s9, 0
                                        ; implicit-def: $vgpr10
	s_and_saveexec_b32 s13, vcc_lo
	s_delay_alu instid0(SALU_CYCLE_1)
	s_xor_b32 s13, exec_lo, s13
	s_cbranch_execnz .LBB88_158
; %bb.71:                               ;   in Loop: Header=BB88_57 Depth=1
	s_or_saveexec_b32 s13, s13
                                        ; implicit-def: $sgpr15
	s_delay_alu instid0(SALU_CYCLE_1)
	s_xor_b32 exec_lo, exec_lo, s13
	s_cbranch_execnz .LBB88_159
.LBB88_72:                              ;   in Loop: Header=BB88_57 Depth=1
	s_or_b32 exec_lo, exec_lo, s13
	v_mov_b32_e32 v4, s15
	s_and_saveexec_b32 s13, s9
.LBB88_73:                              ;   in Loop: Header=BB88_57 Depth=1
	v_lshrrev_b32_e32 v4, 24, v9
	s_delay_alu instid0(VALU_DEP_1)
	v_and_or_b32 v4, 0x80, v4, v10
.LBB88_74:                              ;   in Loop: Header=BB88_57 Depth=1
	s_or_b32 exec_lo, exec_lo, s13
.LBB88_75:                              ;   in Loop: Header=BB88_57 Depth=1
	s_delay_alu instid0(SALU_CYCLE_1) | instskip(SKIP_3) | instid1(VALU_DEP_2)
	s_or_b32 exec_lo, exec_lo, s8
	v_and_b32_e32 v5, 0xffff0000, v5
	v_and_b32_e32 v3, 0xffff0000, v3
	s_mov_b32 s8, exec_lo
	v_mul_f32_e32 v5, v28, v5
	s_delay_alu instid0(VALU_DEP_1) | instskip(SKIP_1) | instid1(VALU_DEP_2)
	v_bfe_u32 v9, v5, 16, 1
	v_cmp_o_f32_e32 vcc_lo, v5, v5
	v_add3_u32 v9, v5, v9, 0x7fff
	s_delay_alu instid0(VALU_DEP_1) | instskip(NEXT) | instid1(VALU_DEP_1)
	v_and_b32_e32 v9, 0xffff0000, v9
	v_cndmask_b32_e32 v5, 0x7fc00000, v9, vcc_lo
	s_delay_alu instid0(VALU_DEP_1) | instskip(NEXT) | instid1(VALU_DEP_1)
	v_mul_f32_e32 v3, v5, v3
	v_bfe_u32 v5, v3, 16, 1
	v_cmp_o_f32_e32 vcc_lo, v3, v3
	s_delay_alu instid0(VALU_DEP_2) | instskip(NEXT) | instid1(VALU_DEP_1)
	v_add3_u32 v5, v3, v5, 0x7fff
	v_and_b32_e32 v5, 0xffff0000, v5
	s_delay_alu instid0(VALU_DEP_1) | instskip(NEXT) | instid1(VALU_DEP_1)
	v_cndmask_b32_e32 v3, 0x7fc00000, v5, vcc_lo
	v_div_scale_f32 v5, null, v6, v6, v3
	s_delay_alu instid0(VALU_DEP_1) | instskip(SKIP_2) | instid1(VALU_DEP_1)
	v_rcp_f32_e32 v9, v5
	s_waitcnt_depctr 0xfff
	v_fma_f32 v10, -v5, v9, 1.0
	v_fmac_f32_e32 v9, v10, v9
	v_div_scale_f32 v10, vcc_lo, v3, v6, v3
	s_delay_alu instid0(VALU_DEP_1) | instskip(NEXT) | instid1(VALU_DEP_1)
	v_mul_f32_e32 v11, v10, v9
	v_fma_f32 v12, -v5, v11, v10
	s_delay_alu instid0(VALU_DEP_1) | instskip(NEXT) | instid1(VALU_DEP_1)
	v_fmac_f32_e32 v11, v12, v9
	v_fma_f32 v5, -v5, v11, v10
	s_delay_alu instid0(VALU_DEP_1) | instskip(NEXT) | instid1(VALU_DEP_1)
	v_div_fmas_f32 v5, v5, v9, v11
	v_div_fixup_f32 v3, v5, v6, v3
	s_delay_alu instid0(VALU_DEP_1) | instskip(NEXT) | instid1(VALU_DEP_1)
	v_minmax_f32 v3, v3, s7, 0xc3600000
	v_and_b32_e32 v5, 0x7fffffff, v3
	s_delay_alu instid0(VALU_DEP_1)
	v_cmpx_gt_u32_e32 0x43800000, v5
	s_cbranch_execz .LBB88_81
; %bb.76:                               ;   in Loop: Header=BB88_57 Depth=1
	v_cmp_lt_u32_e32 vcc_lo, 0x3bffffff, v5
	s_mov_b32 s9, 0
                                        ; implicit-def: $vgpr5
	s_and_saveexec_b32 s13, vcc_lo
	s_delay_alu instid0(SALU_CYCLE_1)
	s_xor_b32 s13, exec_lo, s13
	s_cbranch_execnz .LBB88_160
; %bb.77:                               ;   in Loop: Header=BB88_57 Depth=1
	s_or_saveexec_b32 s13, s13
                                        ; implicit-def: $sgpr15
	s_delay_alu instid0(SALU_CYCLE_1)
	s_xor_b32 exec_lo, exec_lo, s13
	s_cbranch_execnz .LBB88_161
.LBB88_78:                              ;   in Loop: Header=BB88_57 Depth=1
	s_or_b32 exec_lo, exec_lo, s13
	v_mov_b32_e32 v2, s15
	s_and_saveexec_b32 s13, s9
.LBB88_79:                              ;   in Loop: Header=BB88_57 Depth=1
	v_lshrrev_b32_e32 v2, 24, v3
	s_delay_alu instid0(VALU_DEP_1)
	v_and_or_b32 v2, 0x80, v2, v5
.LBB88_80:                              ;   in Loop: Header=BB88_57 Depth=1
	s_or_b32 exec_lo, exec_lo, s13
.LBB88_81:                              ;   in Loop: Header=BB88_57 Depth=1
	s_delay_alu instid0(SALU_CYCLE_1)
	s_or_b32 exec_lo, exec_lo, s8
	v_lshlrev_b32_e32 v5, 16, v4
	v_lshlrev_b32_e32 v6, 8, v7
	v_lshlrev_b64 v[3:4], 2, v[0:1]
	v_and_b32_e32 v7, 0xff, v8
	s_mov_b32 s9, -1
	v_perm_b32 v5, v2, v5, 0x4020c0c
	v_and_b32_e32 v6, 0xff00, v6
	v_add_nc_u32_e32 v2, s27, v0
	v_add_co_u32 v3, vcc_lo, s2, v3
	v_add_co_ci_u32_e32 v4, vcc_lo, s3, v4, vcc_lo
	s_delay_alu instid0(VALU_DEP_4)
	v_or3_b32 v5, v5, v6, v7
	s_mov_b32 s8, exec_lo
	global_store_b32 v[3:4], v5, off
	v_cmpx_gt_u32_e64 s12, v2
	s_cbranch_execz .LBB88_56
; %bb.82:                               ;   in Loop: Header=BB88_57 Depth=1
	v_lshrrev_b32_e32 v8, 2, v2
	v_mov_b32_e32 v3, v1
	s_mov_b32 s9, exec_lo
	s_delay_alu instid0(VALU_DEP_2) | instskip(NEXT) | instid1(VALU_DEP_2)
	v_and_b32_e32 v8, 0xffffffc, v8
	v_lshlrev_b64 v[4:5], 3, v[2:3]
	global_load_b32 v8, v8, s[0:1]
	v_add_co_u32 v6, vcc_lo, s14, v4
	v_add_co_ci_u32_e32 v7, vcc_lo, s26, v5, vcc_lo
	v_add_co_u32 v4, vcc_lo, s10, v4
	v_add_co_ci_u32_e32 v5, vcc_lo, s11, v5, vcc_lo
	global_load_b64 v[6:7], v[6:7], off
	global_load_b64 v[4:5], v[4:5], off
	s_waitcnt vmcnt(1)
	v_lshlrev_b32_e32 v9, 16, v6
	s_waitcnt vmcnt(0)
	v_lshlrev_b32_e32 v11, 16, v4
	s_delay_alu instid0(VALU_DEP_2) | instskip(NEXT) | instid1(VALU_DEP_1)
	v_mul_f32_e32 v9, v28, v9
	v_bfe_u32 v10, v9, 16, 1
	s_delay_alu instid0(VALU_DEP_1) | instskip(NEXT) | instid1(VALU_DEP_1)
	v_add3_u32 v10, v9, v10, 0x7fff
	v_and_b32_e32 v10, 0xffff0000, v10
	v_cmp_o_f32_e32 vcc_lo, v9, v9
	s_delay_alu instid0(VALU_DEP_2) | instskip(NEXT) | instid1(VALU_DEP_1)
	v_cndmask_b32_e32 v9, 0x7fc00000, v10, vcc_lo
	v_mul_f32_e32 v9, v9, v11
	s_delay_alu instid0(VALU_DEP_1) | instskip(NEXT) | instid1(VALU_DEP_1)
	v_bfe_u32 v10, v9, 16, 1
	v_add3_u32 v10, v9, v10, 0x7fff
	s_delay_alu instid0(VALU_DEP_1) | instskip(SKIP_1) | instid1(VALU_DEP_2)
	v_and_b32_e32 v10, 0xffff0000, v10
	v_cmp_o_f32_e32 vcc_lo, v9, v9
	v_cndmask_b32_e32 v9, 0x7fc00000, v10, vcc_lo
	s_delay_alu instid0(VALU_DEP_1) | instskip(SKIP_1) | instid1(VALU_DEP_2)
	v_div_scale_f32 v10, null, v8, v8, v9
	v_div_scale_f32 v13, vcc_lo, v9, v8, v9
	v_rcp_f32_e32 v11, v10
	s_waitcnt_depctr 0xfff
	v_fma_f32 v12, -v10, v11, 1.0
	s_delay_alu instid0(VALU_DEP_1) | instskip(NEXT) | instid1(VALU_DEP_1)
	v_fmac_f32_e32 v11, v12, v11
	v_mul_f32_e32 v12, v13, v11
	s_delay_alu instid0(VALU_DEP_1) | instskip(NEXT) | instid1(VALU_DEP_1)
	v_fma_f32 v14, -v10, v12, v13
	v_fmac_f32_e32 v12, v14, v11
	s_delay_alu instid0(VALU_DEP_1) | instskip(NEXT) | instid1(VALU_DEP_1)
	v_fma_f32 v10, -v10, v12, v13
	v_div_fmas_f32 v10, v10, v11, v12
	s_delay_alu instid0(VALU_DEP_1) | instskip(SKIP_1) | instid1(VALU_DEP_2)
	v_div_fixup_f32 v9, v10, v8, v9
	v_mov_b32_e32 v10, 0x80
	v_minmax_f32 v11, v9, s7, 0xc3600000
	v_mov_b32_e32 v9, 0x80
	s_delay_alu instid0(VALU_DEP_2) | instskip(NEXT) | instid1(VALU_DEP_1)
	v_and_b32_e32 v12, 0x7fffffff, v11
	v_cmpx_gt_u32_e32 0x43800000, v12
	s_cbranch_execz .LBB88_88
; %bb.83:                               ;   in Loop: Header=BB88_57 Depth=1
	v_cmp_lt_u32_e32 vcc_lo, 0x3bffffff, v12
	s_mov_b32 s13, 0
                                        ; implicit-def: $vgpr12
	s_and_saveexec_b32 s15, vcc_lo
	s_delay_alu instid0(SALU_CYCLE_1)
	s_xor_b32 s15, exec_lo, s15
	s_cbranch_execnz .LBB88_162
; %bb.84:                               ;   in Loop: Header=BB88_57 Depth=1
	s_or_saveexec_b32 s15, s15
                                        ; implicit-def: $sgpr16
	s_delay_alu instid0(SALU_CYCLE_1)
	s_xor_b32 exec_lo, exec_lo, s15
	s_cbranch_execnz .LBB88_163
.LBB88_85:                              ;   in Loop: Header=BB88_57 Depth=1
	s_or_b32 exec_lo, exec_lo, s15
	v_mov_b32_e32 v9, s16
	s_and_saveexec_b32 s15, s13
.LBB88_86:                              ;   in Loop: Header=BB88_57 Depth=1
	v_lshrrev_b32_e32 v9, 24, v11
	s_delay_alu instid0(VALU_DEP_1)
	v_and_or_b32 v9, 0x80, v9, v12
.LBB88_87:                              ;   in Loop: Header=BB88_57 Depth=1
	s_or_b32 exec_lo, exec_lo, s15
.LBB88_88:                              ;   in Loop: Header=BB88_57 Depth=1
	s_delay_alu instid0(SALU_CYCLE_1) | instskip(SKIP_3) | instid1(VALU_DEP_2)
	s_or_b32 exec_lo, exec_lo, s9
	v_and_b32_e32 v11, 0xffff0000, v6
	v_and_b32_e32 v13, 0xffff0000, v4
	s_mov_b32 s9, exec_lo
	v_mul_f32_e32 v11, v28, v11
	s_delay_alu instid0(VALU_DEP_1) | instskip(NEXT) | instid1(VALU_DEP_1)
	v_bfe_u32 v12, v11, 16, 1
	v_add3_u32 v12, v11, v12, 0x7fff
	s_delay_alu instid0(VALU_DEP_1) | instskip(SKIP_1) | instid1(VALU_DEP_2)
	v_and_b32_e32 v12, 0xffff0000, v12
	v_cmp_o_f32_e32 vcc_lo, v11, v11
	v_cndmask_b32_e32 v11, 0x7fc00000, v12, vcc_lo
	s_delay_alu instid0(VALU_DEP_1) | instskip(NEXT) | instid1(VALU_DEP_1)
	v_mul_f32_e32 v11, v11, v13
	v_bfe_u32 v12, v11, 16, 1
	s_delay_alu instid0(VALU_DEP_1) | instskip(NEXT) | instid1(VALU_DEP_1)
	v_add3_u32 v12, v11, v12, 0x7fff
	v_and_b32_e32 v12, 0xffff0000, v12
	v_cmp_o_f32_e32 vcc_lo, v11, v11
	s_delay_alu instid0(VALU_DEP_2) | instskip(NEXT) | instid1(VALU_DEP_1)
	v_cndmask_b32_e32 v11, 0x7fc00000, v12, vcc_lo
	v_div_scale_f32 v12, null, v8, v8, v11
	s_delay_alu instid0(VALU_DEP_1) | instskip(SKIP_2) | instid1(VALU_DEP_1)
	v_rcp_f32_e32 v13, v12
	s_waitcnt_depctr 0xfff
	v_fma_f32 v14, -v12, v13, 1.0
	v_fmac_f32_e32 v13, v14, v13
	v_div_scale_f32 v14, vcc_lo, v11, v8, v11
	s_delay_alu instid0(VALU_DEP_1) | instskip(NEXT) | instid1(VALU_DEP_1)
	v_mul_f32_e32 v15, v14, v13
	v_fma_f32 v16, -v12, v15, v14
	s_delay_alu instid0(VALU_DEP_1) | instskip(NEXT) | instid1(VALU_DEP_1)
	v_fmac_f32_e32 v15, v16, v13
	v_fma_f32 v12, -v12, v15, v14
	s_delay_alu instid0(VALU_DEP_1) | instskip(NEXT) | instid1(VALU_DEP_1)
	v_div_fmas_f32 v12, v12, v13, v15
	v_div_fixup_f32 v11, v12, v8, v11
	s_delay_alu instid0(VALU_DEP_1) | instskip(NEXT) | instid1(VALU_DEP_1)
	v_minmax_f32 v11, v11, s7, 0xc3600000
	v_and_b32_e32 v12, 0x7fffffff, v11
	s_delay_alu instid0(VALU_DEP_1)
	v_cmpx_gt_u32_e32 0x43800000, v12
	s_cbranch_execz .LBB88_94
; %bb.89:                               ;   in Loop: Header=BB88_57 Depth=1
	v_cmp_lt_u32_e32 vcc_lo, 0x3bffffff, v12
	s_mov_b32 s13, 0
                                        ; implicit-def: $vgpr12
	s_and_saveexec_b32 s15, vcc_lo
	s_delay_alu instid0(SALU_CYCLE_1)
	s_xor_b32 s15, exec_lo, s15
	s_cbranch_execnz .LBB88_164
; %bb.90:                               ;   in Loop: Header=BB88_57 Depth=1
	s_or_saveexec_b32 s15, s15
                                        ; implicit-def: $sgpr16
	s_delay_alu instid0(SALU_CYCLE_1)
	s_xor_b32 exec_lo, exec_lo, s15
	s_cbranch_execnz .LBB88_165
.LBB88_91:                              ;   in Loop: Header=BB88_57 Depth=1
	s_or_b32 exec_lo, exec_lo, s15
	v_mov_b32_e32 v10, s16
	s_and_saveexec_b32 s15, s13
.LBB88_92:                              ;   in Loop: Header=BB88_57 Depth=1
	v_lshrrev_b32_e32 v10, 24, v11
	s_delay_alu instid0(VALU_DEP_1)
	v_and_or_b32 v10, 0x80, v10, v12
.LBB88_93:                              ;   in Loop: Header=BB88_57 Depth=1
	s_or_b32 exec_lo, exec_lo, s15
.LBB88_94:                              ;   in Loop: Header=BB88_57 Depth=1
	s_delay_alu instid0(SALU_CYCLE_1) | instskip(SKIP_3) | instid1(VALU_DEP_2)
	s_or_b32 exec_lo, exec_lo, s9
	v_alignbit_b32 v6, v7, v6, 16
	v_alignbit_b32 v4, v5, v4, 16
	s_mov_b32 s9, exec_lo
	v_and_b32_e32 v6, 0xffff0000, v6
	s_delay_alu instid0(VALU_DEP_2) | instskip(NEXT) | instid1(VALU_DEP_2)
	v_and_b32_e32 v4, 0xffff0000, v4
	v_mul_f32_e32 v6, v28, v6
	s_delay_alu instid0(VALU_DEP_1) | instskip(NEXT) | instid1(VALU_DEP_1)
	v_bfe_u32 v11, v6, 16, 1
	v_add3_u32 v11, v6, v11, 0x7fff
	s_delay_alu instid0(VALU_DEP_1) | instskip(SKIP_1) | instid1(VALU_DEP_2)
	v_and_b32_e32 v11, 0xffff0000, v11
	v_cmp_o_f32_e32 vcc_lo, v6, v6
	v_cndmask_b32_e32 v6, 0x7fc00000, v11, vcc_lo
	s_delay_alu instid0(VALU_DEP_1) | instskip(NEXT) | instid1(VALU_DEP_1)
	v_mul_f32_e32 v4, v6, v4
	v_bfe_u32 v6, v4, 16, 1
	v_cmp_o_f32_e32 vcc_lo, v4, v4
	s_delay_alu instid0(VALU_DEP_2) | instskip(NEXT) | instid1(VALU_DEP_1)
	v_add3_u32 v6, v4, v6, 0x7fff
	v_and_b32_e32 v6, 0xffff0000, v6
	s_delay_alu instid0(VALU_DEP_1) | instskip(NEXT) | instid1(VALU_DEP_1)
	v_cndmask_b32_e32 v4, 0x7fc00000, v6, vcc_lo
	v_div_scale_f32 v6, null, v8, v8, v4
	v_div_scale_f32 v13, vcc_lo, v4, v8, v4
	s_delay_alu instid0(VALU_DEP_2) | instskip(SKIP_2) | instid1(VALU_DEP_1)
	v_rcp_f32_e32 v11, v6
	s_waitcnt_depctr 0xfff
	v_fma_f32 v12, -v6, v11, 1.0
	v_fmac_f32_e32 v11, v12, v11
	s_delay_alu instid0(VALU_DEP_1) | instskip(NEXT) | instid1(VALU_DEP_1)
	v_mul_f32_e32 v12, v13, v11
	v_fma_f32 v14, -v6, v12, v13
	s_delay_alu instid0(VALU_DEP_1) | instskip(NEXT) | instid1(VALU_DEP_1)
	v_fmac_f32_e32 v12, v14, v11
	v_fma_f32 v6, -v6, v12, v13
	s_delay_alu instid0(VALU_DEP_1) | instskip(NEXT) | instid1(VALU_DEP_1)
	v_div_fmas_f32 v6, v6, v11, v12
	v_div_fixup_f32 v4, v6, v8, v4
	v_mov_b32_e32 v6, 0x80
	s_delay_alu instid0(VALU_DEP_2) | instskip(SKIP_1) | instid1(VALU_DEP_2)
	v_minmax_f32 v11, v4, s7, 0xc3600000
	v_mov_b32_e32 v4, 0x80
	v_and_b32_e32 v12, 0x7fffffff, v11
	s_delay_alu instid0(VALU_DEP_1)
	v_cmpx_gt_u32_e32 0x43800000, v12
	s_cbranch_execz .LBB88_100
; %bb.95:                               ;   in Loop: Header=BB88_57 Depth=1
	v_cmp_lt_u32_e32 vcc_lo, 0x3bffffff, v12
	s_mov_b32 s13, 0
                                        ; implicit-def: $vgpr12
	s_and_saveexec_b32 s15, vcc_lo
	s_delay_alu instid0(SALU_CYCLE_1)
	s_xor_b32 s15, exec_lo, s15
	s_cbranch_execnz .LBB88_166
; %bb.96:                               ;   in Loop: Header=BB88_57 Depth=1
	s_or_saveexec_b32 s15, s15
                                        ; implicit-def: $sgpr16
	s_delay_alu instid0(SALU_CYCLE_1)
	s_xor_b32 exec_lo, exec_lo, s15
	s_cbranch_execnz .LBB88_167
.LBB88_97:                              ;   in Loop: Header=BB88_57 Depth=1
	s_or_b32 exec_lo, exec_lo, s15
	v_mov_b32_e32 v6, s16
	s_and_saveexec_b32 s15, s13
.LBB88_98:                              ;   in Loop: Header=BB88_57 Depth=1
	v_lshrrev_b32_e32 v6, 24, v11
	s_delay_alu instid0(VALU_DEP_1)
	v_and_or_b32 v6, 0x80, v6, v12
.LBB88_99:                              ;   in Loop: Header=BB88_57 Depth=1
	s_or_b32 exec_lo, exec_lo, s15
.LBB88_100:                             ;   in Loop: Header=BB88_57 Depth=1
	s_delay_alu instid0(SALU_CYCLE_1) | instskip(SKIP_3) | instid1(VALU_DEP_2)
	s_or_b32 exec_lo, exec_lo, s9
	v_and_b32_e32 v7, 0xffff0000, v7
	v_and_b32_e32 v5, 0xffff0000, v5
	s_mov_b32 s9, exec_lo
	v_mul_f32_e32 v7, v28, v7
	s_delay_alu instid0(VALU_DEP_1) | instskip(SKIP_1) | instid1(VALU_DEP_2)
	v_bfe_u32 v11, v7, 16, 1
	v_cmp_o_f32_e32 vcc_lo, v7, v7
	v_add3_u32 v11, v7, v11, 0x7fff
	s_delay_alu instid0(VALU_DEP_1) | instskip(NEXT) | instid1(VALU_DEP_1)
	v_and_b32_e32 v11, 0xffff0000, v11
	v_cndmask_b32_e32 v7, 0x7fc00000, v11, vcc_lo
	s_delay_alu instid0(VALU_DEP_1) | instskip(NEXT) | instid1(VALU_DEP_1)
	v_mul_f32_e32 v5, v7, v5
	v_bfe_u32 v7, v5, 16, 1
	v_cmp_o_f32_e32 vcc_lo, v5, v5
	s_delay_alu instid0(VALU_DEP_2) | instskip(NEXT) | instid1(VALU_DEP_1)
	v_add3_u32 v7, v5, v7, 0x7fff
	v_and_b32_e32 v7, 0xffff0000, v7
	s_delay_alu instid0(VALU_DEP_1) | instskip(NEXT) | instid1(VALU_DEP_1)
	v_cndmask_b32_e32 v5, 0x7fc00000, v7, vcc_lo
	v_div_scale_f32 v7, null, v8, v8, v5
	s_delay_alu instid0(VALU_DEP_1) | instskip(SKIP_2) | instid1(VALU_DEP_1)
	v_rcp_f32_e32 v11, v7
	s_waitcnt_depctr 0xfff
	v_fma_f32 v12, -v7, v11, 1.0
	v_fmac_f32_e32 v11, v12, v11
	v_div_scale_f32 v12, vcc_lo, v5, v8, v5
	s_delay_alu instid0(VALU_DEP_1) | instskip(NEXT) | instid1(VALU_DEP_1)
	v_mul_f32_e32 v13, v12, v11
	v_fma_f32 v14, -v7, v13, v12
	s_delay_alu instid0(VALU_DEP_1) | instskip(NEXT) | instid1(VALU_DEP_1)
	v_fmac_f32_e32 v13, v14, v11
	v_fma_f32 v7, -v7, v13, v12
	s_delay_alu instid0(VALU_DEP_1) | instskip(NEXT) | instid1(VALU_DEP_1)
	v_div_fmas_f32 v7, v7, v11, v13
	v_div_fixup_f32 v5, v7, v8, v5
	s_delay_alu instid0(VALU_DEP_1) | instskip(NEXT) | instid1(VALU_DEP_1)
	v_minmax_f32 v5, v5, s7, 0xc3600000
	v_and_b32_e32 v7, 0x7fffffff, v5
	s_delay_alu instid0(VALU_DEP_1)
	v_cmpx_gt_u32_e32 0x43800000, v7
	s_cbranch_execz .LBB88_106
; %bb.101:                              ;   in Loop: Header=BB88_57 Depth=1
	v_cmp_lt_u32_e32 vcc_lo, 0x3bffffff, v7
	s_mov_b32 s13, 0
                                        ; implicit-def: $vgpr7
	s_and_saveexec_b32 s15, vcc_lo
	s_delay_alu instid0(SALU_CYCLE_1)
	s_xor_b32 s15, exec_lo, s15
	s_cbranch_execnz .LBB88_168
; %bb.102:                              ;   in Loop: Header=BB88_57 Depth=1
	s_or_saveexec_b32 s15, s15
                                        ; implicit-def: $sgpr16
	s_delay_alu instid0(SALU_CYCLE_1)
	s_xor_b32 exec_lo, exec_lo, s15
	s_cbranch_execnz .LBB88_169
.LBB88_103:                             ;   in Loop: Header=BB88_57 Depth=1
	s_or_b32 exec_lo, exec_lo, s15
	v_mov_b32_e32 v4, s16
	s_and_saveexec_b32 s15, s13
.LBB88_104:                             ;   in Loop: Header=BB88_57 Depth=1
	v_lshrrev_b32_e32 v4, 24, v5
	s_delay_alu instid0(VALU_DEP_1)
	v_and_or_b32 v4, 0x80, v4, v7
.LBB88_105:                             ;   in Loop: Header=BB88_57 Depth=1
	s_or_b32 exec_lo, exec_lo, s15
.LBB88_106:                             ;   in Loop: Header=BB88_57 Depth=1
	s_delay_alu instid0(SALU_CYCLE_1)
	s_or_b32 exec_lo, exec_lo, s9
	v_lshlrev_b32_e32 v7, 16, v6
	v_lshlrev_b32_e32 v8, 8, v10
	v_lshlrev_b64 v[5:6], 2, v[2:3]
	v_and_b32_e32 v9, 0xff, v9
	v_add_nc_u32_e32 v3, s5, v0
	v_perm_b32 v7, v4, v7, 0x4020c0c
	v_and_b32_e32 v8, 0xff00, v8
	s_mov_b32 s13, -1
	v_add_co_u32 v4, vcc_lo, s2, v5
	v_add_co_ci_u32_e32 v5, vcc_lo, s3, v6, vcc_lo
	s_delay_alu instid0(VALU_DEP_3)
	v_or3_b32 v6, v7, v8, v9
	s_mov_b32 s9, exec_lo
	global_store_b32 v[4:5], v6, off
	v_cmpx_gt_u32_e64 s12, v3
	s_cbranch_execz .LBB88_55
; %bb.107:                              ;   in Loop: Header=BB88_57 Depth=1
	v_lshrrev_b32_e32 v9, 2, v3
	v_mov_b32_e32 v4, v1
	s_mov_b32 s13, exec_lo
	s_delay_alu instid0(VALU_DEP_2) | instskip(NEXT) | instid1(VALU_DEP_2)
	v_and_b32_e32 v9, 0xffffffc, v9
	v_lshlrev_b64 v[5:6], 3, v[3:4]
	global_load_b32 v9, v9, s[0:1]
	v_add_co_u32 v7, vcc_lo, s14, v5
	v_add_co_ci_u32_e32 v8, vcc_lo, s26, v6, vcc_lo
	v_add_co_u32 v5, vcc_lo, s10, v5
	v_add_co_ci_u32_e32 v6, vcc_lo, s11, v6, vcc_lo
	global_load_b64 v[7:8], v[7:8], off
	global_load_b64 v[5:6], v[5:6], off
	s_waitcnt vmcnt(1)
	v_lshlrev_b32_e32 v10, 16, v7
	s_waitcnt vmcnt(0)
	v_lshlrev_b32_e32 v12, 16, v5
	s_delay_alu instid0(VALU_DEP_2) | instskip(NEXT) | instid1(VALU_DEP_1)
	v_mul_f32_e32 v10, v28, v10
	v_bfe_u32 v11, v10, 16, 1
	s_delay_alu instid0(VALU_DEP_1) | instskip(NEXT) | instid1(VALU_DEP_1)
	v_add3_u32 v11, v10, v11, 0x7fff
	v_and_b32_e32 v11, 0xffff0000, v11
	v_cmp_o_f32_e32 vcc_lo, v10, v10
	s_delay_alu instid0(VALU_DEP_2) | instskip(NEXT) | instid1(VALU_DEP_1)
	v_cndmask_b32_e32 v10, 0x7fc00000, v11, vcc_lo
	v_mul_f32_e32 v10, v10, v12
	s_delay_alu instid0(VALU_DEP_1) | instskip(NEXT) | instid1(VALU_DEP_1)
	v_bfe_u32 v11, v10, 16, 1
	v_add3_u32 v11, v10, v11, 0x7fff
	s_delay_alu instid0(VALU_DEP_1) | instskip(SKIP_1) | instid1(VALU_DEP_2)
	v_and_b32_e32 v11, 0xffff0000, v11
	v_cmp_o_f32_e32 vcc_lo, v10, v10
	v_cndmask_b32_e32 v10, 0x7fc00000, v11, vcc_lo
	s_delay_alu instid0(VALU_DEP_1) | instskip(SKIP_1) | instid1(VALU_DEP_2)
	v_div_scale_f32 v11, null, v9, v9, v10
	v_div_scale_f32 v14, vcc_lo, v10, v9, v10
	v_rcp_f32_e32 v12, v11
	s_waitcnt_depctr 0xfff
	v_fma_f32 v13, -v11, v12, 1.0
	s_delay_alu instid0(VALU_DEP_1) | instskip(NEXT) | instid1(VALU_DEP_1)
	v_fmac_f32_e32 v12, v13, v12
	v_mul_f32_e32 v13, v14, v12
	s_delay_alu instid0(VALU_DEP_1) | instskip(NEXT) | instid1(VALU_DEP_1)
	v_fma_f32 v15, -v11, v13, v14
	v_fmac_f32_e32 v13, v15, v12
	s_delay_alu instid0(VALU_DEP_1) | instskip(NEXT) | instid1(VALU_DEP_1)
	v_fma_f32 v11, -v11, v13, v14
	v_div_fmas_f32 v11, v11, v12, v13
	s_delay_alu instid0(VALU_DEP_1) | instskip(SKIP_1) | instid1(VALU_DEP_2)
	v_div_fixup_f32 v10, v11, v9, v10
	v_mov_b32_e32 v11, 0x80
	v_minmax_f32 v12, v10, s7, 0xc3600000
	v_mov_b32_e32 v10, 0x80
	s_delay_alu instid0(VALU_DEP_2) | instskip(NEXT) | instid1(VALU_DEP_1)
	v_and_b32_e32 v13, 0x7fffffff, v12
	v_cmpx_gt_u32_e32 0x43800000, v13
	s_cbranch_execz .LBB88_113
; %bb.108:                              ;   in Loop: Header=BB88_57 Depth=1
	v_cmp_lt_u32_e32 vcc_lo, 0x3bffffff, v13
	s_mov_b32 s15, 0
                                        ; implicit-def: $vgpr13
	s_and_saveexec_b32 s16, vcc_lo
	s_delay_alu instid0(SALU_CYCLE_1)
	s_xor_b32 s16, exec_lo, s16
	s_cbranch_execnz .LBB88_170
; %bb.109:                              ;   in Loop: Header=BB88_57 Depth=1
	s_or_saveexec_b32 s16, s16
                                        ; implicit-def: $sgpr17
	s_delay_alu instid0(SALU_CYCLE_1)
	s_xor_b32 exec_lo, exec_lo, s16
	s_cbranch_execnz .LBB88_171
.LBB88_110:                             ;   in Loop: Header=BB88_57 Depth=1
	s_or_b32 exec_lo, exec_lo, s16
	v_mov_b32_e32 v10, s17
	s_and_saveexec_b32 s16, s15
.LBB88_111:                             ;   in Loop: Header=BB88_57 Depth=1
	v_lshrrev_b32_e32 v10, 24, v12
	s_delay_alu instid0(VALU_DEP_1)
	v_and_or_b32 v10, 0x80, v10, v13
.LBB88_112:                             ;   in Loop: Header=BB88_57 Depth=1
	s_or_b32 exec_lo, exec_lo, s16
.LBB88_113:                             ;   in Loop: Header=BB88_57 Depth=1
	s_delay_alu instid0(SALU_CYCLE_1) | instskip(SKIP_3) | instid1(VALU_DEP_2)
	s_or_b32 exec_lo, exec_lo, s13
	v_and_b32_e32 v12, 0xffff0000, v7
	v_and_b32_e32 v14, 0xffff0000, v5
	s_mov_b32 s13, exec_lo
	v_mul_f32_e32 v12, v28, v12
	s_delay_alu instid0(VALU_DEP_1) | instskip(NEXT) | instid1(VALU_DEP_1)
	v_bfe_u32 v13, v12, 16, 1
	v_add3_u32 v13, v12, v13, 0x7fff
	s_delay_alu instid0(VALU_DEP_1) | instskip(SKIP_1) | instid1(VALU_DEP_2)
	v_and_b32_e32 v13, 0xffff0000, v13
	v_cmp_o_f32_e32 vcc_lo, v12, v12
	v_cndmask_b32_e32 v12, 0x7fc00000, v13, vcc_lo
	s_delay_alu instid0(VALU_DEP_1) | instskip(NEXT) | instid1(VALU_DEP_1)
	v_mul_f32_e32 v12, v12, v14
	v_bfe_u32 v13, v12, 16, 1
	s_delay_alu instid0(VALU_DEP_1) | instskip(NEXT) | instid1(VALU_DEP_1)
	v_add3_u32 v13, v12, v13, 0x7fff
	v_and_b32_e32 v13, 0xffff0000, v13
	v_cmp_o_f32_e32 vcc_lo, v12, v12
	s_delay_alu instid0(VALU_DEP_2) | instskip(NEXT) | instid1(VALU_DEP_1)
	v_cndmask_b32_e32 v12, 0x7fc00000, v13, vcc_lo
	v_div_scale_f32 v13, null, v9, v9, v12
	s_delay_alu instid0(VALU_DEP_1) | instskip(SKIP_2) | instid1(VALU_DEP_1)
	v_rcp_f32_e32 v14, v13
	s_waitcnt_depctr 0xfff
	v_fma_f32 v15, -v13, v14, 1.0
	v_fmac_f32_e32 v14, v15, v14
	v_div_scale_f32 v15, vcc_lo, v12, v9, v12
	s_delay_alu instid0(VALU_DEP_1) | instskip(NEXT) | instid1(VALU_DEP_1)
	v_mul_f32_e32 v16, v15, v14
	v_fma_f32 v17, -v13, v16, v15
	s_delay_alu instid0(VALU_DEP_1) | instskip(NEXT) | instid1(VALU_DEP_1)
	v_fmac_f32_e32 v16, v17, v14
	v_fma_f32 v13, -v13, v16, v15
	s_delay_alu instid0(VALU_DEP_1) | instskip(NEXT) | instid1(VALU_DEP_1)
	v_div_fmas_f32 v13, v13, v14, v16
	v_div_fixup_f32 v12, v13, v9, v12
	s_delay_alu instid0(VALU_DEP_1) | instskip(NEXT) | instid1(VALU_DEP_1)
	v_minmax_f32 v12, v12, s7, 0xc3600000
	v_and_b32_e32 v13, 0x7fffffff, v12
	s_delay_alu instid0(VALU_DEP_1)
	v_cmpx_gt_u32_e32 0x43800000, v13
	s_cbranch_execz .LBB88_119
; %bb.114:                              ;   in Loop: Header=BB88_57 Depth=1
	v_cmp_lt_u32_e32 vcc_lo, 0x3bffffff, v13
	s_mov_b32 s15, 0
                                        ; implicit-def: $vgpr13
	s_and_saveexec_b32 s16, vcc_lo
	s_delay_alu instid0(SALU_CYCLE_1)
	s_xor_b32 s16, exec_lo, s16
	s_cbranch_execnz .LBB88_172
; %bb.115:                              ;   in Loop: Header=BB88_57 Depth=1
	s_or_saveexec_b32 s16, s16
                                        ; implicit-def: $sgpr17
	s_delay_alu instid0(SALU_CYCLE_1)
	s_xor_b32 exec_lo, exec_lo, s16
	s_cbranch_execnz .LBB88_173
.LBB88_116:                             ;   in Loop: Header=BB88_57 Depth=1
	s_or_b32 exec_lo, exec_lo, s16
	v_mov_b32_e32 v11, s17
	s_and_saveexec_b32 s16, s15
.LBB88_117:                             ;   in Loop: Header=BB88_57 Depth=1
	v_lshrrev_b32_e32 v11, 24, v12
	s_delay_alu instid0(VALU_DEP_1)
	v_and_or_b32 v11, 0x80, v11, v13
.LBB88_118:                             ;   in Loop: Header=BB88_57 Depth=1
	s_or_b32 exec_lo, exec_lo, s16
.LBB88_119:                             ;   in Loop: Header=BB88_57 Depth=1
	s_delay_alu instid0(SALU_CYCLE_1) | instskip(SKIP_3) | instid1(VALU_DEP_2)
	s_or_b32 exec_lo, exec_lo, s13
	v_alignbit_b32 v7, v8, v7, 16
	v_alignbit_b32 v5, v6, v5, 16
	s_mov_b32 s13, exec_lo
	v_and_b32_e32 v7, 0xffff0000, v7
	s_delay_alu instid0(VALU_DEP_2) | instskip(NEXT) | instid1(VALU_DEP_2)
	v_and_b32_e32 v5, 0xffff0000, v5
	v_mul_f32_e32 v7, v28, v7
	s_delay_alu instid0(VALU_DEP_1) | instskip(NEXT) | instid1(VALU_DEP_1)
	v_bfe_u32 v12, v7, 16, 1
	v_add3_u32 v12, v7, v12, 0x7fff
	s_delay_alu instid0(VALU_DEP_1) | instskip(SKIP_1) | instid1(VALU_DEP_2)
	v_and_b32_e32 v12, 0xffff0000, v12
	v_cmp_o_f32_e32 vcc_lo, v7, v7
	v_cndmask_b32_e32 v7, 0x7fc00000, v12, vcc_lo
	s_delay_alu instid0(VALU_DEP_1) | instskip(NEXT) | instid1(VALU_DEP_1)
	v_mul_f32_e32 v5, v7, v5
	v_bfe_u32 v7, v5, 16, 1
	v_cmp_o_f32_e32 vcc_lo, v5, v5
	s_delay_alu instid0(VALU_DEP_2) | instskip(NEXT) | instid1(VALU_DEP_1)
	v_add3_u32 v7, v5, v7, 0x7fff
	v_and_b32_e32 v7, 0xffff0000, v7
	s_delay_alu instid0(VALU_DEP_1) | instskip(NEXT) | instid1(VALU_DEP_1)
	v_cndmask_b32_e32 v5, 0x7fc00000, v7, vcc_lo
	v_div_scale_f32 v7, null, v9, v9, v5
	v_div_scale_f32 v14, vcc_lo, v5, v9, v5
	s_delay_alu instid0(VALU_DEP_2) | instskip(SKIP_2) | instid1(VALU_DEP_1)
	v_rcp_f32_e32 v12, v7
	s_waitcnt_depctr 0xfff
	v_fma_f32 v13, -v7, v12, 1.0
	v_fmac_f32_e32 v12, v13, v12
	s_delay_alu instid0(VALU_DEP_1) | instskip(NEXT) | instid1(VALU_DEP_1)
	v_mul_f32_e32 v13, v14, v12
	v_fma_f32 v15, -v7, v13, v14
	s_delay_alu instid0(VALU_DEP_1) | instskip(NEXT) | instid1(VALU_DEP_1)
	v_fmac_f32_e32 v13, v15, v12
	v_fma_f32 v7, -v7, v13, v14
	s_delay_alu instid0(VALU_DEP_1) | instskip(NEXT) | instid1(VALU_DEP_1)
	v_div_fmas_f32 v7, v7, v12, v13
	v_div_fixup_f32 v5, v7, v9, v5
	v_mov_b32_e32 v7, 0x80
	s_delay_alu instid0(VALU_DEP_2) | instskip(SKIP_1) | instid1(VALU_DEP_2)
	v_minmax_f32 v12, v5, s7, 0xc3600000
	v_mov_b32_e32 v5, 0x80
	v_and_b32_e32 v13, 0x7fffffff, v12
	s_delay_alu instid0(VALU_DEP_1)
	v_cmpx_gt_u32_e32 0x43800000, v13
	s_cbranch_execz .LBB88_125
; %bb.120:                              ;   in Loop: Header=BB88_57 Depth=1
	v_cmp_lt_u32_e32 vcc_lo, 0x3bffffff, v13
	s_mov_b32 s15, 0
                                        ; implicit-def: $vgpr13
	s_and_saveexec_b32 s16, vcc_lo
	s_delay_alu instid0(SALU_CYCLE_1)
	s_xor_b32 s16, exec_lo, s16
	s_cbranch_execnz .LBB88_174
; %bb.121:                              ;   in Loop: Header=BB88_57 Depth=1
	s_or_saveexec_b32 s16, s16
                                        ; implicit-def: $sgpr17
	s_delay_alu instid0(SALU_CYCLE_1)
	s_xor_b32 exec_lo, exec_lo, s16
	s_cbranch_execnz .LBB88_175
.LBB88_122:                             ;   in Loop: Header=BB88_57 Depth=1
	s_or_b32 exec_lo, exec_lo, s16
	v_mov_b32_e32 v7, s17
	s_and_saveexec_b32 s16, s15
.LBB88_123:                             ;   in Loop: Header=BB88_57 Depth=1
	v_lshrrev_b32_e32 v7, 24, v12
	s_delay_alu instid0(VALU_DEP_1)
	v_and_or_b32 v7, 0x80, v7, v13
.LBB88_124:                             ;   in Loop: Header=BB88_57 Depth=1
	s_or_b32 exec_lo, exec_lo, s16
.LBB88_125:                             ;   in Loop: Header=BB88_57 Depth=1
	s_delay_alu instid0(SALU_CYCLE_1) | instskip(SKIP_3) | instid1(VALU_DEP_2)
	s_or_b32 exec_lo, exec_lo, s13
	v_and_b32_e32 v8, 0xffff0000, v8
	v_and_b32_e32 v6, 0xffff0000, v6
	s_mov_b32 s13, exec_lo
	v_mul_f32_e32 v8, v28, v8
	s_delay_alu instid0(VALU_DEP_1) | instskip(SKIP_1) | instid1(VALU_DEP_2)
	v_bfe_u32 v12, v8, 16, 1
	v_cmp_o_f32_e32 vcc_lo, v8, v8
	v_add3_u32 v12, v8, v12, 0x7fff
	s_delay_alu instid0(VALU_DEP_1) | instskip(NEXT) | instid1(VALU_DEP_1)
	v_and_b32_e32 v12, 0xffff0000, v12
	v_cndmask_b32_e32 v8, 0x7fc00000, v12, vcc_lo
	s_delay_alu instid0(VALU_DEP_1) | instskip(NEXT) | instid1(VALU_DEP_1)
	v_mul_f32_e32 v6, v8, v6
	v_bfe_u32 v8, v6, 16, 1
	v_cmp_o_f32_e32 vcc_lo, v6, v6
	s_delay_alu instid0(VALU_DEP_2) | instskip(NEXT) | instid1(VALU_DEP_1)
	v_add3_u32 v8, v6, v8, 0x7fff
	v_and_b32_e32 v8, 0xffff0000, v8
	s_delay_alu instid0(VALU_DEP_1) | instskip(NEXT) | instid1(VALU_DEP_1)
	v_cndmask_b32_e32 v6, 0x7fc00000, v8, vcc_lo
	v_div_scale_f32 v8, null, v9, v9, v6
	s_delay_alu instid0(VALU_DEP_1) | instskip(SKIP_2) | instid1(VALU_DEP_1)
	v_rcp_f32_e32 v12, v8
	s_waitcnt_depctr 0xfff
	v_fma_f32 v13, -v8, v12, 1.0
	v_fmac_f32_e32 v12, v13, v12
	v_div_scale_f32 v13, vcc_lo, v6, v9, v6
	s_delay_alu instid0(VALU_DEP_1) | instskip(NEXT) | instid1(VALU_DEP_1)
	v_mul_f32_e32 v14, v13, v12
	v_fma_f32 v15, -v8, v14, v13
	s_delay_alu instid0(VALU_DEP_1) | instskip(NEXT) | instid1(VALU_DEP_1)
	v_fmac_f32_e32 v14, v15, v12
	v_fma_f32 v8, -v8, v14, v13
	s_delay_alu instid0(VALU_DEP_1) | instskip(NEXT) | instid1(VALU_DEP_1)
	v_div_fmas_f32 v8, v8, v12, v14
	v_div_fixup_f32 v6, v8, v9, v6
	s_delay_alu instid0(VALU_DEP_1) | instskip(NEXT) | instid1(VALU_DEP_1)
	v_minmax_f32 v6, v6, s7, 0xc3600000
	v_and_b32_e32 v8, 0x7fffffff, v6
	s_delay_alu instid0(VALU_DEP_1)
	v_cmpx_gt_u32_e32 0x43800000, v8
	s_cbranch_execz .LBB88_131
; %bb.126:                              ;   in Loop: Header=BB88_57 Depth=1
	v_cmp_lt_u32_e32 vcc_lo, 0x3bffffff, v8
	s_mov_b32 s15, 0
                                        ; implicit-def: $vgpr8
	s_and_saveexec_b32 s16, vcc_lo
	s_delay_alu instid0(SALU_CYCLE_1)
	s_xor_b32 s16, exec_lo, s16
	s_cbranch_execnz .LBB88_176
; %bb.127:                              ;   in Loop: Header=BB88_57 Depth=1
	s_or_saveexec_b32 s16, s16
                                        ; implicit-def: $sgpr17
	s_delay_alu instid0(SALU_CYCLE_1)
	s_xor_b32 exec_lo, exec_lo, s16
	s_cbranch_execnz .LBB88_177
.LBB88_128:                             ;   in Loop: Header=BB88_57 Depth=1
	s_or_b32 exec_lo, exec_lo, s16
	v_mov_b32_e32 v5, s17
	s_and_saveexec_b32 s16, s15
.LBB88_129:                             ;   in Loop: Header=BB88_57 Depth=1
	v_lshrrev_b32_e32 v5, 24, v6
	s_delay_alu instid0(VALU_DEP_1)
	v_and_or_b32 v5, 0x80, v5, v8
.LBB88_130:                             ;   in Loop: Header=BB88_57 Depth=1
	s_or_b32 exec_lo, exec_lo, s16
.LBB88_131:                             ;   in Loop: Header=BB88_57 Depth=1
	s_delay_alu instid0(SALU_CYCLE_1)
	s_or_b32 exec_lo, exec_lo, s13
	v_lshlrev_b32_e32 v6, 16, v7
	v_lshlrev_b32_e32 v7, 8, v11
	v_lshlrev_b64 v[3:4], 2, v[3:4]
	v_and_b32_e32 v8, 0xff, v10
	v_add_nc_u32_e32 v0, s4, v0
	v_perm_b32 v5, v5, v6, 0x4020c0c
	v_and_b32_e32 v6, 0xff00, v7
	s_mov_b32 s15, -1
	v_add_co_u32 v3, vcc_lo, s2, v3
	v_add_co_ci_u32_e32 v4, vcc_lo, s3, v4, vcc_lo
	s_delay_alu instid0(VALU_DEP_3)
	v_or3_b32 v5, v5, v6, v8
	s_mov_b32 s13, exec_lo
	global_store_b32 v[3:4], v5, off
	v_cmpx_gt_u32_e64 s12, v0
	s_cbranch_execz .LBB88_54
; %bb.132:                              ;   in Loop: Header=BB88_57 Depth=1
	v_lshlrev_b64 v[3:4], 3, v[0:1]
	v_lshrrev_b32_e32 v7, 2, v0
	s_mov_b32 s15, exec_lo
	s_delay_alu instid0(VALU_DEP_1) | instskip(NEXT) | instid1(VALU_DEP_3)
	v_and_b32_e32 v7, 0xffffffc, v7
	v_add_co_u32 v5, vcc_lo, s14, v3
	s_delay_alu instid0(VALU_DEP_4)
	v_add_co_ci_u32_e32 v6, vcc_lo, s26, v4, vcc_lo
	v_add_co_u32 v3, vcc_lo, s10, v3
	v_add_co_ci_u32_e32 v4, vcc_lo, s11, v4, vcc_lo
	global_load_b64 v[5:6], v[5:6], off
	global_load_b32 v8, v7, s[0:1]
	global_load_b64 v[3:4], v[3:4], off
	s_waitcnt vmcnt(2)
	v_lshlrev_b32_e32 v7, 16, v5
	s_delay_alu instid0(VALU_DEP_1) | instskip(NEXT) | instid1(VALU_DEP_1)
	v_mul_f32_e32 v7, v28, v7
	v_bfe_u32 v9, v7, 16, 1
	v_cmp_o_f32_e32 vcc_lo, v7, v7
	s_delay_alu instid0(VALU_DEP_2) | instskip(NEXT) | instid1(VALU_DEP_1)
	v_add3_u32 v9, v7, v9, 0x7fff
	v_and_b32_e32 v9, 0xffff0000, v9
	s_waitcnt vmcnt(0)
	s_delay_alu instid0(VALU_DEP_1) | instskip(NEXT) | instid1(VALU_DEP_1)
	v_dual_cndmask_b32 v7, 0x7fc00000, v9 :: v_dual_lshlrev_b32 v10, 16, v3
	v_mul_f32_e32 v7, v7, v10
	s_delay_alu instid0(VALU_DEP_1) | instskip(SKIP_1) | instid1(VALU_DEP_2)
	v_bfe_u32 v9, v7, 16, 1
	v_cmp_o_f32_e32 vcc_lo, v7, v7
	v_add3_u32 v9, v7, v9, 0x7fff
	s_delay_alu instid0(VALU_DEP_1) | instskip(NEXT) | instid1(VALU_DEP_1)
	v_and_b32_e32 v9, 0xffff0000, v9
	v_cndmask_b32_e32 v7, 0x7fc00000, v9, vcc_lo
	s_delay_alu instid0(VALU_DEP_1) | instskip(SKIP_1) | instid1(VALU_DEP_2)
	v_div_scale_f32 v9, null, v8, v8, v7
	v_div_scale_f32 v12, vcc_lo, v7, v8, v7
	v_rcp_f32_e32 v10, v9
	s_waitcnt_depctr 0xfff
	v_fma_f32 v11, -v9, v10, 1.0
	s_delay_alu instid0(VALU_DEP_1) | instskip(NEXT) | instid1(VALU_DEP_1)
	v_fmac_f32_e32 v10, v11, v10
	v_mul_f32_e32 v11, v12, v10
	s_delay_alu instid0(VALU_DEP_1) | instskip(NEXT) | instid1(VALU_DEP_1)
	v_fma_f32 v13, -v9, v11, v12
	v_fmac_f32_e32 v11, v13, v10
	s_delay_alu instid0(VALU_DEP_1) | instskip(NEXT) | instid1(VALU_DEP_1)
	v_fma_f32 v9, -v9, v11, v12
	v_div_fmas_f32 v9, v9, v10, v11
	s_delay_alu instid0(VALU_DEP_1) | instskip(SKIP_1) | instid1(VALU_DEP_2)
	v_div_fixup_f32 v7, v9, v8, v7
	v_mov_b32_e32 v9, 0x80
	v_minmax_f32 v10, v7, s7, 0xc3600000
	v_mov_b32_e32 v7, 0x80
	s_delay_alu instid0(VALU_DEP_2) | instskip(NEXT) | instid1(VALU_DEP_1)
	v_and_b32_e32 v11, 0x7fffffff, v10
	v_cmpx_gt_u32_e32 0x43800000, v11
	s_cbranch_execz .LBB88_138
; %bb.133:                              ;   in Loop: Header=BB88_57 Depth=1
	v_cmp_lt_u32_e32 vcc_lo, 0x3bffffff, v11
	s_mov_b32 s16, 0
                                        ; implicit-def: $vgpr11
	s_and_saveexec_b32 s17, vcc_lo
	s_delay_alu instid0(SALU_CYCLE_1)
	s_xor_b32 s17, exec_lo, s17
	s_cbranch_execnz .LBB88_178
; %bb.134:                              ;   in Loop: Header=BB88_57 Depth=1
	s_or_saveexec_b32 s17, s17
                                        ; implicit-def: $sgpr18
	s_delay_alu instid0(SALU_CYCLE_1)
	s_xor_b32 exec_lo, exec_lo, s17
	s_cbranch_execnz .LBB88_179
.LBB88_135:                             ;   in Loop: Header=BB88_57 Depth=1
	s_or_b32 exec_lo, exec_lo, s17
	v_mov_b32_e32 v7, s18
	s_and_saveexec_b32 s17, s16
.LBB88_136:                             ;   in Loop: Header=BB88_57 Depth=1
	v_lshrrev_b32_e32 v7, 24, v10
	s_delay_alu instid0(VALU_DEP_1)
	v_and_or_b32 v7, 0x80, v7, v11
.LBB88_137:                             ;   in Loop: Header=BB88_57 Depth=1
	s_or_b32 exec_lo, exec_lo, s17
.LBB88_138:                             ;   in Loop: Header=BB88_57 Depth=1
	s_delay_alu instid0(SALU_CYCLE_1) | instskip(SKIP_3) | instid1(VALU_DEP_2)
	s_or_b32 exec_lo, exec_lo, s15
	v_and_b32_e32 v10, 0xffff0000, v5
	v_and_b32_e32 v12, 0xffff0000, v3
	s_mov_b32 s15, exec_lo
	v_mul_f32_e32 v10, v28, v10
	s_delay_alu instid0(VALU_DEP_1) | instskip(NEXT) | instid1(VALU_DEP_1)
	v_bfe_u32 v11, v10, 16, 1
	v_add3_u32 v11, v10, v11, 0x7fff
	s_delay_alu instid0(VALU_DEP_1) | instskip(SKIP_1) | instid1(VALU_DEP_2)
	v_and_b32_e32 v11, 0xffff0000, v11
	v_cmp_o_f32_e32 vcc_lo, v10, v10
	v_cndmask_b32_e32 v10, 0x7fc00000, v11, vcc_lo
	s_delay_alu instid0(VALU_DEP_1) | instskip(NEXT) | instid1(VALU_DEP_1)
	v_mul_f32_e32 v10, v10, v12
	v_bfe_u32 v11, v10, 16, 1
	s_delay_alu instid0(VALU_DEP_1) | instskip(NEXT) | instid1(VALU_DEP_1)
	v_add3_u32 v11, v10, v11, 0x7fff
	v_and_b32_e32 v11, 0xffff0000, v11
	v_cmp_o_f32_e32 vcc_lo, v10, v10
	s_delay_alu instid0(VALU_DEP_2) | instskip(NEXT) | instid1(VALU_DEP_1)
	v_cndmask_b32_e32 v10, 0x7fc00000, v11, vcc_lo
	v_div_scale_f32 v11, null, v8, v8, v10
	s_delay_alu instid0(VALU_DEP_1) | instskip(SKIP_2) | instid1(VALU_DEP_1)
	v_rcp_f32_e32 v12, v11
	s_waitcnt_depctr 0xfff
	v_fma_f32 v13, -v11, v12, 1.0
	v_fmac_f32_e32 v12, v13, v12
	v_div_scale_f32 v13, vcc_lo, v10, v8, v10
	s_delay_alu instid0(VALU_DEP_1) | instskip(NEXT) | instid1(VALU_DEP_1)
	v_mul_f32_e32 v14, v13, v12
	v_fma_f32 v15, -v11, v14, v13
	s_delay_alu instid0(VALU_DEP_1) | instskip(NEXT) | instid1(VALU_DEP_1)
	v_fmac_f32_e32 v14, v15, v12
	v_fma_f32 v11, -v11, v14, v13
	s_delay_alu instid0(VALU_DEP_1) | instskip(NEXT) | instid1(VALU_DEP_1)
	v_div_fmas_f32 v11, v11, v12, v14
	v_div_fixup_f32 v10, v11, v8, v10
	s_delay_alu instid0(VALU_DEP_1) | instskip(NEXT) | instid1(VALU_DEP_1)
	v_minmax_f32 v10, v10, s7, 0xc3600000
	v_and_b32_e32 v11, 0x7fffffff, v10
	s_delay_alu instid0(VALU_DEP_1)
	v_cmpx_gt_u32_e32 0x43800000, v11
	s_cbranch_execz .LBB88_144
; %bb.139:                              ;   in Loop: Header=BB88_57 Depth=1
	v_cmp_lt_u32_e32 vcc_lo, 0x3bffffff, v11
	s_mov_b32 s16, 0
                                        ; implicit-def: $vgpr11
	s_and_saveexec_b32 s17, vcc_lo
	s_delay_alu instid0(SALU_CYCLE_1)
	s_xor_b32 s17, exec_lo, s17
	s_cbranch_execnz .LBB88_180
; %bb.140:                              ;   in Loop: Header=BB88_57 Depth=1
	s_or_saveexec_b32 s17, s17
                                        ; implicit-def: $sgpr18
	s_delay_alu instid0(SALU_CYCLE_1)
	s_xor_b32 exec_lo, exec_lo, s17
	s_cbranch_execnz .LBB88_181
.LBB88_141:                             ;   in Loop: Header=BB88_57 Depth=1
	s_or_b32 exec_lo, exec_lo, s17
	v_mov_b32_e32 v9, s18
	s_and_saveexec_b32 s17, s16
.LBB88_142:                             ;   in Loop: Header=BB88_57 Depth=1
	v_lshrrev_b32_e32 v9, 24, v10
	s_delay_alu instid0(VALU_DEP_1)
	v_and_or_b32 v9, 0x80, v9, v11
.LBB88_143:                             ;   in Loop: Header=BB88_57 Depth=1
	s_or_b32 exec_lo, exec_lo, s17
.LBB88_144:                             ;   in Loop: Header=BB88_57 Depth=1
	s_delay_alu instid0(SALU_CYCLE_1) | instskip(SKIP_3) | instid1(VALU_DEP_2)
	s_or_b32 exec_lo, exec_lo, s15
	v_alignbit_b32 v5, v6, v5, 16
	v_alignbit_b32 v3, v4, v3, 16
	s_mov_b32 s15, exec_lo
	v_and_b32_e32 v5, 0xffff0000, v5
	s_delay_alu instid0(VALU_DEP_2) | instskip(NEXT) | instid1(VALU_DEP_2)
	v_and_b32_e32 v3, 0xffff0000, v3
	v_mul_f32_e32 v5, v28, v5
	s_delay_alu instid0(VALU_DEP_1) | instskip(NEXT) | instid1(VALU_DEP_1)
	v_bfe_u32 v10, v5, 16, 1
	v_add3_u32 v10, v5, v10, 0x7fff
	s_delay_alu instid0(VALU_DEP_1) | instskip(SKIP_1) | instid1(VALU_DEP_2)
	v_and_b32_e32 v10, 0xffff0000, v10
	v_cmp_o_f32_e32 vcc_lo, v5, v5
	v_cndmask_b32_e32 v5, 0x7fc00000, v10, vcc_lo
	s_delay_alu instid0(VALU_DEP_1) | instskip(NEXT) | instid1(VALU_DEP_1)
	v_mul_f32_e32 v3, v5, v3
	v_bfe_u32 v5, v3, 16, 1
	v_cmp_o_f32_e32 vcc_lo, v3, v3
	s_delay_alu instid0(VALU_DEP_2) | instskip(NEXT) | instid1(VALU_DEP_1)
	v_add3_u32 v5, v3, v5, 0x7fff
	v_and_b32_e32 v5, 0xffff0000, v5
	s_delay_alu instid0(VALU_DEP_1) | instskip(NEXT) | instid1(VALU_DEP_1)
	v_cndmask_b32_e32 v3, 0x7fc00000, v5, vcc_lo
	v_div_scale_f32 v5, null, v8, v8, v3
	v_div_scale_f32 v12, vcc_lo, v3, v8, v3
	s_delay_alu instid0(VALU_DEP_2) | instskip(SKIP_2) | instid1(VALU_DEP_1)
	v_rcp_f32_e32 v10, v5
	s_waitcnt_depctr 0xfff
	v_fma_f32 v11, -v5, v10, 1.0
	v_fmac_f32_e32 v10, v11, v10
	s_delay_alu instid0(VALU_DEP_1) | instskip(NEXT) | instid1(VALU_DEP_1)
	v_mul_f32_e32 v11, v12, v10
	v_fma_f32 v13, -v5, v11, v12
	s_delay_alu instid0(VALU_DEP_1) | instskip(NEXT) | instid1(VALU_DEP_1)
	v_fmac_f32_e32 v11, v13, v10
	v_fma_f32 v5, -v5, v11, v12
	s_delay_alu instid0(VALU_DEP_1) | instskip(NEXT) | instid1(VALU_DEP_1)
	v_div_fmas_f32 v5, v5, v10, v11
	v_div_fixup_f32 v3, v5, v8, v3
	v_mov_b32_e32 v5, 0x80
	s_delay_alu instid0(VALU_DEP_2) | instskip(SKIP_1) | instid1(VALU_DEP_2)
	v_minmax_f32 v10, v3, s7, 0xc3600000
	v_mov_b32_e32 v3, 0x80
	v_and_b32_e32 v11, 0x7fffffff, v10
	s_delay_alu instid0(VALU_DEP_1)
	v_cmpx_gt_u32_e32 0x43800000, v11
	s_cbranch_execz .LBB88_150
; %bb.145:                              ;   in Loop: Header=BB88_57 Depth=1
	v_cmp_lt_u32_e32 vcc_lo, 0x3bffffff, v11
	s_mov_b32 s16, 0
                                        ; implicit-def: $vgpr11
	s_and_saveexec_b32 s17, vcc_lo
	s_delay_alu instid0(SALU_CYCLE_1)
	s_xor_b32 s17, exec_lo, s17
	s_cbranch_execnz .LBB88_182
; %bb.146:                              ;   in Loop: Header=BB88_57 Depth=1
	s_or_saveexec_b32 s17, s17
                                        ; implicit-def: $sgpr18
	s_delay_alu instid0(SALU_CYCLE_1)
	s_xor_b32 exec_lo, exec_lo, s17
	s_cbranch_execnz .LBB88_183
.LBB88_147:                             ;   in Loop: Header=BB88_57 Depth=1
	s_or_b32 exec_lo, exec_lo, s17
	v_mov_b32_e32 v5, s18
	s_and_saveexec_b32 s17, s16
.LBB88_148:                             ;   in Loop: Header=BB88_57 Depth=1
	v_lshrrev_b32_e32 v5, 24, v10
	s_delay_alu instid0(VALU_DEP_1)
	v_and_or_b32 v5, 0x80, v5, v11
.LBB88_149:                             ;   in Loop: Header=BB88_57 Depth=1
	s_or_b32 exec_lo, exec_lo, s17
.LBB88_150:                             ;   in Loop: Header=BB88_57 Depth=1
	s_delay_alu instid0(SALU_CYCLE_1) | instskip(SKIP_3) | instid1(VALU_DEP_2)
	s_or_b32 exec_lo, exec_lo, s15
	v_and_b32_e32 v6, 0xffff0000, v6
	v_and_b32_e32 v4, 0xffff0000, v4
	s_mov_b32 s15, exec_lo
	v_mul_f32_e32 v6, v28, v6
	s_delay_alu instid0(VALU_DEP_1) | instskip(SKIP_1) | instid1(VALU_DEP_2)
	v_bfe_u32 v10, v6, 16, 1
	v_cmp_o_f32_e32 vcc_lo, v6, v6
	v_add3_u32 v10, v6, v10, 0x7fff
	s_delay_alu instid0(VALU_DEP_1) | instskip(NEXT) | instid1(VALU_DEP_1)
	v_and_b32_e32 v10, 0xffff0000, v10
	v_cndmask_b32_e32 v6, 0x7fc00000, v10, vcc_lo
	s_delay_alu instid0(VALU_DEP_1) | instskip(NEXT) | instid1(VALU_DEP_1)
	v_mul_f32_e32 v4, v6, v4
	v_bfe_u32 v6, v4, 16, 1
	v_cmp_o_f32_e32 vcc_lo, v4, v4
	s_delay_alu instid0(VALU_DEP_2) | instskip(NEXT) | instid1(VALU_DEP_1)
	v_add3_u32 v6, v4, v6, 0x7fff
	v_and_b32_e32 v6, 0xffff0000, v6
	s_delay_alu instid0(VALU_DEP_1) | instskip(NEXT) | instid1(VALU_DEP_1)
	v_cndmask_b32_e32 v4, 0x7fc00000, v6, vcc_lo
	v_div_scale_f32 v6, null, v8, v8, v4
	s_delay_alu instid0(VALU_DEP_1) | instskip(SKIP_2) | instid1(VALU_DEP_1)
	v_rcp_f32_e32 v10, v6
	s_waitcnt_depctr 0xfff
	v_fma_f32 v11, -v6, v10, 1.0
	v_fmac_f32_e32 v10, v11, v10
	v_div_scale_f32 v11, vcc_lo, v4, v8, v4
	s_delay_alu instid0(VALU_DEP_1) | instskip(NEXT) | instid1(VALU_DEP_1)
	v_mul_f32_e32 v12, v11, v10
	v_fma_f32 v13, -v6, v12, v11
	s_delay_alu instid0(VALU_DEP_1) | instskip(NEXT) | instid1(VALU_DEP_1)
	v_fmac_f32_e32 v12, v13, v10
	v_fma_f32 v6, -v6, v12, v11
	s_delay_alu instid0(VALU_DEP_1) | instskip(NEXT) | instid1(VALU_DEP_1)
	v_div_fmas_f32 v6, v6, v10, v12
	v_div_fixup_f32 v4, v6, v8, v4
	s_delay_alu instid0(VALU_DEP_1) | instskip(NEXT) | instid1(VALU_DEP_1)
	v_minmax_f32 v4, v4, s7, 0xc3600000
	v_and_b32_e32 v6, 0x7fffffff, v4
	s_delay_alu instid0(VALU_DEP_1)
	v_cmpx_gt_u32_e32 0x43800000, v6
	s_cbranch_execz .LBB88_53
; %bb.151:                              ;   in Loop: Header=BB88_57 Depth=1
	v_cmp_lt_u32_e32 vcc_lo, 0x3bffffff, v6
	s_mov_b32 s16, 0
                                        ; implicit-def: $vgpr6
	s_and_saveexec_b32 s17, vcc_lo
	s_delay_alu instid0(SALU_CYCLE_1)
	s_xor_b32 s17, exec_lo, s17
	s_cbranch_execnz .LBB88_184
; %bb.152:                              ;   in Loop: Header=BB88_57 Depth=1
	s_or_saveexec_b32 s17, s17
                                        ; implicit-def: $sgpr18
	s_delay_alu instid0(SALU_CYCLE_1)
	s_xor_b32 exec_lo, exec_lo, s17
	s_cbranch_execnz .LBB88_185
.LBB88_153:                             ;   in Loop: Header=BB88_57 Depth=1
	s_or_b32 exec_lo, exec_lo, s17
	v_mov_b32_e32 v3, s18
	s_and_saveexec_b32 s17, s16
	s_cbranch_execz .LBB88_52
	s_branch .LBB88_186
.LBB88_154:                             ;   in Loop: Header=BB88_57 Depth=1
	v_bfe_u32 v8, v9, 20, 1
	s_mov_b32 s9, exec_lo
	s_delay_alu instid0(VALU_DEP_1) | instskip(NEXT) | instid1(VALU_DEP_1)
	v_add3_u32 v8, v9, v8, 0x487ffff
	v_lshrrev_b32_e32 v10, 20, v8
	s_or_saveexec_b32 s13, s13
                                        ; implicit-def: $sgpr15
	s_delay_alu instid0(SALU_CYCLE_1)
	s_xor_b32 exec_lo, exec_lo, s13
	s_cbranch_execz .LBB88_60
.LBB88_155:                             ;   in Loop: Header=BB88_57 Depth=1
	v_add_f32_e64 v8, 0x46000000, |v9|
	s_and_not1_b32 s9, s9, exec_lo
	s_mov_b32 s15, 0
	s_delay_alu instid0(VALU_DEP_1) | instskip(NEXT) | instid1(VALU_DEP_1)
	v_and_b32_e32 v10, 0xff, v8
	v_cmp_ne_u32_e32 vcc_lo, 0, v10
	s_and_b32 s16, vcc_lo, exec_lo
	s_delay_alu instid0(SALU_CYCLE_1)
	s_or_b32 s9, s9, s16
	s_or_b32 exec_lo, exec_lo, s13
	v_mov_b32_e32 v8, s15
	s_and_saveexec_b32 s13, s9
	s_cbranch_execnz .LBB88_61
	s_branch .LBB88_62
.LBB88_156:                             ;   in Loop: Header=BB88_57 Depth=1
	v_bfe_u32 v7, v9, 20, 1
	s_mov_b32 s9, exec_lo
	s_delay_alu instid0(VALU_DEP_1) | instskip(NEXT) | instid1(VALU_DEP_1)
	v_add3_u32 v7, v9, v7, 0x487ffff
	v_lshrrev_b32_e32 v10, 20, v7
	s_or_saveexec_b32 s13, s13
                                        ; implicit-def: $sgpr15
	s_delay_alu instid0(SALU_CYCLE_1)
	s_xor_b32 exec_lo, exec_lo, s13
	s_cbranch_execz .LBB88_66
.LBB88_157:                             ;   in Loop: Header=BB88_57 Depth=1
	v_add_f32_e64 v7, 0x46000000, |v9|
	s_and_not1_b32 s9, s9, exec_lo
	s_mov_b32 s15, 0
	s_delay_alu instid0(VALU_DEP_1) | instskip(NEXT) | instid1(VALU_DEP_1)
	v_and_b32_e32 v10, 0xff, v7
	v_cmp_ne_u32_e32 vcc_lo, 0, v10
	s_and_b32 s16, vcc_lo, exec_lo
	s_delay_alu instid0(SALU_CYCLE_1)
	s_or_b32 s9, s9, s16
	s_or_b32 exec_lo, exec_lo, s13
	v_mov_b32_e32 v7, s15
	s_and_saveexec_b32 s13, s9
	s_cbranch_execnz .LBB88_67
	s_branch .LBB88_68
.LBB88_158:                             ;   in Loop: Header=BB88_57 Depth=1
	v_bfe_u32 v4, v9, 20, 1
	s_mov_b32 s9, exec_lo
	s_delay_alu instid0(VALU_DEP_1) | instskip(NEXT) | instid1(VALU_DEP_1)
	v_add3_u32 v4, v9, v4, 0x487ffff
	v_lshrrev_b32_e32 v10, 20, v4
	s_or_saveexec_b32 s13, s13
                                        ; implicit-def: $sgpr15
	s_delay_alu instid0(SALU_CYCLE_1)
	s_xor_b32 exec_lo, exec_lo, s13
	s_cbranch_execz .LBB88_72
.LBB88_159:                             ;   in Loop: Header=BB88_57 Depth=1
	v_add_f32_e64 v4, 0x46000000, |v9|
	s_and_not1_b32 s9, s9, exec_lo
	s_mov_b32 s15, 0
	s_delay_alu instid0(VALU_DEP_1) | instskip(NEXT) | instid1(VALU_DEP_1)
	v_and_b32_e32 v10, 0xff, v4
	v_cmp_ne_u32_e32 vcc_lo, 0, v10
	s_and_b32 s16, vcc_lo, exec_lo
	s_delay_alu instid0(SALU_CYCLE_1)
	s_or_b32 s9, s9, s16
	s_or_b32 exec_lo, exec_lo, s13
	v_mov_b32_e32 v4, s15
	s_and_saveexec_b32 s13, s9
	s_cbranch_execnz .LBB88_73
	s_branch .LBB88_74
.LBB88_160:                             ;   in Loop: Header=BB88_57 Depth=1
	v_bfe_u32 v2, v3, 20, 1
	s_mov_b32 s9, exec_lo
	s_delay_alu instid0(VALU_DEP_1) | instskip(NEXT) | instid1(VALU_DEP_1)
	v_add3_u32 v2, v3, v2, 0x487ffff
	v_lshrrev_b32_e32 v5, 20, v2
	s_or_saveexec_b32 s13, s13
                                        ; implicit-def: $sgpr15
	s_delay_alu instid0(SALU_CYCLE_1)
	s_xor_b32 exec_lo, exec_lo, s13
	s_cbranch_execz .LBB88_78
.LBB88_161:                             ;   in Loop: Header=BB88_57 Depth=1
	v_add_f32_e64 v2, 0x46000000, |v3|
	s_and_not1_b32 s9, s9, exec_lo
	s_mov_b32 s15, 0
	s_delay_alu instid0(VALU_DEP_1) | instskip(NEXT) | instid1(VALU_DEP_1)
	v_and_b32_e32 v5, 0xff, v2
	v_cmp_ne_u32_e32 vcc_lo, 0, v5
	s_and_b32 s16, vcc_lo, exec_lo
	s_delay_alu instid0(SALU_CYCLE_1)
	s_or_b32 s9, s9, s16
	s_or_b32 exec_lo, exec_lo, s13
	v_mov_b32_e32 v2, s15
	s_and_saveexec_b32 s13, s9
	s_cbranch_execnz .LBB88_79
	s_branch .LBB88_80
.LBB88_162:                             ;   in Loop: Header=BB88_57 Depth=1
	v_bfe_u32 v9, v11, 20, 1
	s_mov_b32 s13, exec_lo
	s_delay_alu instid0(VALU_DEP_1) | instskip(NEXT) | instid1(VALU_DEP_1)
	v_add3_u32 v9, v11, v9, 0x487ffff
	v_lshrrev_b32_e32 v12, 20, v9
	s_or_saveexec_b32 s15, s15
                                        ; implicit-def: $sgpr16
	s_delay_alu instid0(SALU_CYCLE_1)
	s_xor_b32 exec_lo, exec_lo, s15
	s_cbranch_execz .LBB88_85
.LBB88_163:                             ;   in Loop: Header=BB88_57 Depth=1
	v_add_f32_e64 v9, 0x46000000, |v11|
	s_and_not1_b32 s13, s13, exec_lo
	s_mov_b32 s16, 0
	s_delay_alu instid0(VALU_DEP_1) | instskip(NEXT) | instid1(VALU_DEP_1)
	v_and_b32_e32 v12, 0xff, v9
	v_cmp_ne_u32_e32 vcc_lo, 0, v12
	s_and_b32 s17, vcc_lo, exec_lo
	s_delay_alu instid0(SALU_CYCLE_1)
	s_or_b32 s13, s13, s17
	s_or_b32 exec_lo, exec_lo, s15
	v_mov_b32_e32 v9, s16
	s_and_saveexec_b32 s15, s13
	s_cbranch_execnz .LBB88_86
	s_branch .LBB88_87
.LBB88_164:                             ;   in Loop: Header=BB88_57 Depth=1
	v_bfe_u32 v10, v11, 20, 1
	s_mov_b32 s13, exec_lo
	s_delay_alu instid0(VALU_DEP_1) | instskip(NEXT) | instid1(VALU_DEP_1)
	v_add3_u32 v10, v11, v10, 0x487ffff
	v_lshrrev_b32_e32 v12, 20, v10
	s_or_saveexec_b32 s15, s15
                                        ; implicit-def: $sgpr16
	s_delay_alu instid0(SALU_CYCLE_1)
	s_xor_b32 exec_lo, exec_lo, s15
	s_cbranch_execz .LBB88_91
.LBB88_165:                             ;   in Loop: Header=BB88_57 Depth=1
	v_add_f32_e64 v10, 0x46000000, |v11|
	s_and_not1_b32 s13, s13, exec_lo
	s_mov_b32 s16, 0
	s_delay_alu instid0(VALU_DEP_1) | instskip(NEXT) | instid1(VALU_DEP_1)
	v_and_b32_e32 v12, 0xff, v10
	v_cmp_ne_u32_e32 vcc_lo, 0, v12
	s_and_b32 s17, vcc_lo, exec_lo
	s_delay_alu instid0(SALU_CYCLE_1)
	s_or_b32 s13, s13, s17
	s_or_b32 exec_lo, exec_lo, s15
	v_mov_b32_e32 v10, s16
	s_and_saveexec_b32 s15, s13
	s_cbranch_execnz .LBB88_92
	s_branch .LBB88_93
.LBB88_166:                             ;   in Loop: Header=BB88_57 Depth=1
	v_bfe_u32 v6, v11, 20, 1
	s_mov_b32 s13, exec_lo
	s_delay_alu instid0(VALU_DEP_1) | instskip(NEXT) | instid1(VALU_DEP_1)
	v_add3_u32 v6, v11, v6, 0x487ffff
	v_lshrrev_b32_e32 v12, 20, v6
	s_or_saveexec_b32 s15, s15
                                        ; implicit-def: $sgpr16
	s_delay_alu instid0(SALU_CYCLE_1)
	s_xor_b32 exec_lo, exec_lo, s15
	s_cbranch_execz .LBB88_97
.LBB88_167:                             ;   in Loop: Header=BB88_57 Depth=1
	v_add_f32_e64 v6, 0x46000000, |v11|
	s_and_not1_b32 s13, s13, exec_lo
	s_mov_b32 s16, 0
	s_delay_alu instid0(VALU_DEP_1) | instskip(NEXT) | instid1(VALU_DEP_1)
	v_and_b32_e32 v12, 0xff, v6
	v_cmp_ne_u32_e32 vcc_lo, 0, v12
	s_and_b32 s17, vcc_lo, exec_lo
	s_delay_alu instid0(SALU_CYCLE_1)
	s_or_b32 s13, s13, s17
	s_or_b32 exec_lo, exec_lo, s15
	v_mov_b32_e32 v6, s16
	s_and_saveexec_b32 s15, s13
	s_cbranch_execnz .LBB88_98
	s_branch .LBB88_99
.LBB88_168:                             ;   in Loop: Header=BB88_57 Depth=1
	v_bfe_u32 v4, v5, 20, 1
	s_mov_b32 s13, exec_lo
	s_delay_alu instid0(VALU_DEP_1) | instskip(NEXT) | instid1(VALU_DEP_1)
	v_add3_u32 v4, v5, v4, 0x487ffff
	v_lshrrev_b32_e32 v7, 20, v4
	s_or_saveexec_b32 s15, s15
                                        ; implicit-def: $sgpr16
	s_delay_alu instid0(SALU_CYCLE_1)
	s_xor_b32 exec_lo, exec_lo, s15
	s_cbranch_execz .LBB88_103
.LBB88_169:                             ;   in Loop: Header=BB88_57 Depth=1
	v_add_f32_e64 v4, 0x46000000, |v5|
	s_and_not1_b32 s13, s13, exec_lo
	s_mov_b32 s16, 0
	s_delay_alu instid0(VALU_DEP_1) | instskip(NEXT) | instid1(VALU_DEP_1)
	v_and_b32_e32 v7, 0xff, v4
	v_cmp_ne_u32_e32 vcc_lo, 0, v7
	s_and_b32 s17, vcc_lo, exec_lo
	s_delay_alu instid0(SALU_CYCLE_1)
	s_or_b32 s13, s13, s17
	s_or_b32 exec_lo, exec_lo, s15
	v_mov_b32_e32 v4, s16
	s_and_saveexec_b32 s15, s13
	s_cbranch_execnz .LBB88_104
	s_branch .LBB88_105
.LBB88_170:                             ;   in Loop: Header=BB88_57 Depth=1
	v_bfe_u32 v10, v12, 20, 1
	s_mov_b32 s15, exec_lo
	s_delay_alu instid0(VALU_DEP_1) | instskip(NEXT) | instid1(VALU_DEP_1)
	v_add3_u32 v10, v12, v10, 0x487ffff
	v_lshrrev_b32_e32 v13, 20, v10
	s_or_saveexec_b32 s16, s16
                                        ; implicit-def: $sgpr17
	s_delay_alu instid0(SALU_CYCLE_1)
	s_xor_b32 exec_lo, exec_lo, s16
	s_cbranch_execz .LBB88_110
.LBB88_171:                             ;   in Loop: Header=BB88_57 Depth=1
	v_add_f32_e64 v10, 0x46000000, |v12|
	s_and_not1_b32 s15, s15, exec_lo
	s_mov_b32 s17, 0
	s_delay_alu instid0(VALU_DEP_1) | instskip(NEXT) | instid1(VALU_DEP_1)
	v_and_b32_e32 v13, 0xff, v10
	v_cmp_ne_u32_e32 vcc_lo, 0, v13
	s_and_b32 s18, vcc_lo, exec_lo
	s_delay_alu instid0(SALU_CYCLE_1)
	s_or_b32 s15, s15, s18
	s_or_b32 exec_lo, exec_lo, s16
	v_mov_b32_e32 v10, s17
	s_and_saveexec_b32 s16, s15
	s_cbranch_execnz .LBB88_111
	s_branch .LBB88_112
.LBB88_172:                             ;   in Loop: Header=BB88_57 Depth=1
	v_bfe_u32 v11, v12, 20, 1
	s_mov_b32 s15, exec_lo
	s_delay_alu instid0(VALU_DEP_1) | instskip(NEXT) | instid1(VALU_DEP_1)
	v_add3_u32 v11, v12, v11, 0x487ffff
	v_lshrrev_b32_e32 v13, 20, v11
	s_or_saveexec_b32 s16, s16
                                        ; implicit-def: $sgpr17
	s_delay_alu instid0(SALU_CYCLE_1)
	s_xor_b32 exec_lo, exec_lo, s16
	s_cbranch_execz .LBB88_116
.LBB88_173:                             ;   in Loop: Header=BB88_57 Depth=1
	v_add_f32_e64 v11, 0x46000000, |v12|
	s_and_not1_b32 s15, s15, exec_lo
	s_mov_b32 s17, 0
	s_delay_alu instid0(VALU_DEP_1) | instskip(NEXT) | instid1(VALU_DEP_1)
	v_and_b32_e32 v13, 0xff, v11
	v_cmp_ne_u32_e32 vcc_lo, 0, v13
	s_and_b32 s18, vcc_lo, exec_lo
	s_delay_alu instid0(SALU_CYCLE_1)
	s_or_b32 s15, s15, s18
	s_or_b32 exec_lo, exec_lo, s16
	v_mov_b32_e32 v11, s17
	s_and_saveexec_b32 s16, s15
	s_cbranch_execnz .LBB88_117
	s_branch .LBB88_118
.LBB88_174:                             ;   in Loop: Header=BB88_57 Depth=1
	v_bfe_u32 v7, v12, 20, 1
	s_mov_b32 s15, exec_lo
	s_delay_alu instid0(VALU_DEP_1) | instskip(NEXT) | instid1(VALU_DEP_1)
	v_add3_u32 v7, v12, v7, 0x487ffff
	v_lshrrev_b32_e32 v13, 20, v7
	s_or_saveexec_b32 s16, s16
                                        ; implicit-def: $sgpr17
	s_delay_alu instid0(SALU_CYCLE_1)
	s_xor_b32 exec_lo, exec_lo, s16
	s_cbranch_execz .LBB88_122
.LBB88_175:                             ;   in Loop: Header=BB88_57 Depth=1
	v_add_f32_e64 v7, 0x46000000, |v12|
	s_and_not1_b32 s15, s15, exec_lo
	s_mov_b32 s17, 0
	s_delay_alu instid0(VALU_DEP_1) | instskip(NEXT) | instid1(VALU_DEP_1)
	v_and_b32_e32 v13, 0xff, v7
	v_cmp_ne_u32_e32 vcc_lo, 0, v13
	s_and_b32 s18, vcc_lo, exec_lo
	s_delay_alu instid0(SALU_CYCLE_1)
	s_or_b32 s15, s15, s18
	s_or_b32 exec_lo, exec_lo, s16
	v_mov_b32_e32 v7, s17
	s_and_saveexec_b32 s16, s15
	s_cbranch_execnz .LBB88_123
	s_branch .LBB88_124
.LBB88_176:                             ;   in Loop: Header=BB88_57 Depth=1
	v_bfe_u32 v5, v6, 20, 1
	s_mov_b32 s15, exec_lo
	s_delay_alu instid0(VALU_DEP_1) | instskip(NEXT) | instid1(VALU_DEP_1)
	v_add3_u32 v5, v6, v5, 0x487ffff
	v_lshrrev_b32_e32 v8, 20, v5
	s_or_saveexec_b32 s16, s16
                                        ; implicit-def: $sgpr17
	s_delay_alu instid0(SALU_CYCLE_1)
	s_xor_b32 exec_lo, exec_lo, s16
	s_cbranch_execz .LBB88_128
.LBB88_177:                             ;   in Loop: Header=BB88_57 Depth=1
	v_add_f32_e64 v5, 0x46000000, |v6|
	s_and_not1_b32 s15, s15, exec_lo
	s_mov_b32 s17, 0
	s_delay_alu instid0(VALU_DEP_1) | instskip(NEXT) | instid1(VALU_DEP_1)
	v_and_b32_e32 v8, 0xff, v5
	v_cmp_ne_u32_e32 vcc_lo, 0, v8
	s_and_b32 s18, vcc_lo, exec_lo
	s_delay_alu instid0(SALU_CYCLE_1)
	s_or_b32 s15, s15, s18
	s_or_b32 exec_lo, exec_lo, s16
	v_mov_b32_e32 v5, s17
	s_and_saveexec_b32 s16, s15
	s_cbranch_execnz .LBB88_129
	s_branch .LBB88_130
.LBB88_178:                             ;   in Loop: Header=BB88_57 Depth=1
	v_bfe_u32 v7, v10, 20, 1
	s_mov_b32 s16, exec_lo
	s_delay_alu instid0(VALU_DEP_1) | instskip(NEXT) | instid1(VALU_DEP_1)
	v_add3_u32 v7, v10, v7, 0x487ffff
	v_lshrrev_b32_e32 v11, 20, v7
	s_or_saveexec_b32 s17, s17
                                        ; implicit-def: $sgpr18
	s_delay_alu instid0(SALU_CYCLE_1)
	s_xor_b32 exec_lo, exec_lo, s17
	s_cbranch_execz .LBB88_135
.LBB88_179:                             ;   in Loop: Header=BB88_57 Depth=1
	v_add_f32_e64 v7, 0x46000000, |v10|
	s_and_not1_b32 s16, s16, exec_lo
	s_mov_b32 s18, 0
	s_delay_alu instid0(VALU_DEP_1) | instskip(NEXT) | instid1(VALU_DEP_1)
	v_and_b32_e32 v11, 0xff, v7
	v_cmp_ne_u32_e32 vcc_lo, 0, v11
	s_and_b32 s19, vcc_lo, exec_lo
	s_delay_alu instid0(SALU_CYCLE_1)
	s_or_b32 s16, s16, s19
	s_or_b32 exec_lo, exec_lo, s17
	v_mov_b32_e32 v7, s18
	s_and_saveexec_b32 s17, s16
	s_cbranch_execnz .LBB88_136
	s_branch .LBB88_137
.LBB88_180:                             ;   in Loop: Header=BB88_57 Depth=1
	v_bfe_u32 v9, v10, 20, 1
	s_mov_b32 s16, exec_lo
	s_delay_alu instid0(VALU_DEP_1) | instskip(NEXT) | instid1(VALU_DEP_1)
	v_add3_u32 v9, v10, v9, 0x487ffff
	v_lshrrev_b32_e32 v11, 20, v9
	s_or_saveexec_b32 s17, s17
                                        ; implicit-def: $sgpr18
	s_delay_alu instid0(SALU_CYCLE_1)
	s_xor_b32 exec_lo, exec_lo, s17
	s_cbranch_execz .LBB88_141
.LBB88_181:                             ;   in Loop: Header=BB88_57 Depth=1
	v_add_f32_e64 v9, 0x46000000, |v10|
	s_and_not1_b32 s16, s16, exec_lo
	s_mov_b32 s18, 0
	s_delay_alu instid0(VALU_DEP_1) | instskip(NEXT) | instid1(VALU_DEP_1)
	v_and_b32_e32 v11, 0xff, v9
	v_cmp_ne_u32_e32 vcc_lo, 0, v11
	s_and_b32 s19, vcc_lo, exec_lo
	s_delay_alu instid0(SALU_CYCLE_1)
	s_or_b32 s16, s16, s19
	s_or_b32 exec_lo, exec_lo, s17
	v_mov_b32_e32 v9, s18
	s_and_saveexec_b32 s17, s16
	s_cbranch_execnz .LBB88_142
	s_branch .LBB88_143
.LBB88_182:                             ;   in Loop: Header=BB88_57 Depth=1
	v_bfe_u32 v5, v10, 20, 1
	s_mov_b32 s16, exec_lo
	s_delay_alu instid0(VALU_DEP_1) | instskip(NEXT) | instid1(VALU_DEP_1)
	v_add3_u32 v5, v10, v5, 0x487ffff
	v_lshrrev_b32_e32 v11, 20, v5
	s_or_saveexec_b32 s17, s17
                                        ; implicit-def: $sgpr18
	s_delay_alu instid0(SALU_CYCLE_1)
	s_xor_b32 exec_lo, exec_lo, s17
	s_cbranch_execz .LBB88_147
.LBB88_183:                             ;   in Loop: Header=BB88_57 Depth=1
	v_add_f32_e64 v5, 0x46000000, |v10|
	s_and_not1_b32 s16, s16, exec_lo
	s_mov_b32 s18, 0
	s_delay_alu instid0(VALU_DEP_1) | instskip(NEXT) | instid1(VALU_DEP_1)
	v_and_b32_e32 v11, 0xff, v5
	v_cmp_ne_u32_e32 vcc_lo, 0, v11
	s_and_b32 s19, vcc_lo, exec_lo
	s_delay_alu instid0(SALU_CYCLE_1)
	s_or_b32 s16, s16, s19
	s_or_b32 exec_lo, exec_lo, s17
	v_mov_b32_e32 v5, s18
	s_and_saveexec_b32 s17, s16
	s_cbranch_execnz .LBB88_148
	s_branch .LBB88_149
.LBB88_184:                             ;   in Loop: Header=BB88_57 Depth=1
	v_bfe_u32 v3, v4, 20, 1
	s_mov_b32 s16, exec_lo
	s_delay_alu instid0(VALU_DEP_1) | instskip(NEXT) | instid1(VALU_DEP_1)
	v_add3_u32 v3, v4, v3, 0x487ffff
	v_lshrrev_b32_e32 v6, 20, v3
	s_or_saveexec_b32 s17, s17
                                        ; implicit-def: $sgpr18
	s_delay_alu instid0(SALU_CYCLE_1)
	s_xor_b32 exec_lo, exec_lo, s17
	s_cbranch_execz .LBB88_153
.LBB88_185:                             ;   in Loop: Header=BB88_57 Depth=1
	v_add_f32_e64 v3, 0x46000000, |v4|
	s_and_not1_b32 s16, s16, exec_lo
	s_mov_b32 s18, 0
	s_delay_alu instid0(VALU_DEP_1) | instskip(NEXT) | instid1(VALU_DEP_1)
	v_and_b32_e32 v6, 0xff, v3
	v_cmp_ne_u32_e32 vcc_lo, 0, v6
	s_and_b32 s19, vcc_lo, exec_lo
	s_delay_alu instid0(SALU_CYCLE_1)
	s_or_b32 s16, s16, s19
	s_or_b32 exec_lo, exec_lo, s17
	v_mov_b32_e32 v3, s18
	s_and_saveexec_b32 s17, s16
	s_cbranch_execz .LBB88_52
.LBB88_186:                             ;   in Loop: Header=BB88_57 Depth=1
	v_lshrrev_b32_e32 v3, 24, v4
	s_delay_alu instid0(VALU_DEP_1)
	v_and_or_b32 v3, 0x80, v3, v6
	s_branch .LBB88_52
.LBB88_187:
	s_nop 0
	s_sendmsg sendmsg(MSG_DEALLOC_VGPRS)
	s_endpgm
	.section	.rodata,"a",@progbits
	.p2align	6, 0x0
	.amdhsa_kernel _ZN4vllm31rms_norm_per_block_quant_kernelIN3c108BFloat16ENS1_15Float8_e4m3fnuzELb0ELb0ELi64EEEvPT0_PfPKT_S9_PKffiiPS7_l
		.amdhsa_group_segment_fixed_size 4228
		.amdhsa_private_segment_fixed_size 0
		.amdhsa_kernarg_size 328
		.amdhsa_user_sgpr_count 15
		.amdhsa_user_sgpr_dispatch_ptr 0
		.amdhsa_user_sgpr_queue_ptr 0
		.amdhsa_user_sgpr_kernarg_segment_ptr 1
		.amdhsa_user_sgpr_dispatch_id 0
		.amdhsa_user_sgpr_private_segment_size 0
		.amdhsa_wavefront_size32 1
		.amdhsa_uses_dynamic_stack 0
		.amdhsa_enable_private_segment 0
		.amdhsa_system_sgpr_workgroup_id_x 1
		.amdhsa_system_sgpr_workgroup_id_y 0
		.amdhsa_system_sgpr_workgroup_id_z 0
		.amdhsa_system_sgpr_workgroup_info 0
		.amdhsa_system_vgpr_workitem_id 0
		.amdhsa_next_free_vgpr 46
		.amdhsa_next_free_sgpr 34
		.amdhsa_reserve_vcc 1
		.amdhsa_float_round_mode_32 0
		.amdhsa_float_round_mode_16_64 0
		.amdhsa_float_denorm_mode_32 3
		.amdhsa_float_denorm_mode_16_64 3
		.amdhsa_dx10_clamp 1
		.amdhsa_ieee_mode 1
		.amdhsa_fp16_overflow 0
		.amdhsa_workgroup_processor_mode 1
		.amdhsa_memory_ordered 1
		.amdhsa_forward_progress 0
		.amdhsa_shared_vgpr_count 0
		.amdhsa_exception_fp_ieee_invalid_op 0
		.amdhsa_exception_fp_denorm_src 0
		.amdhsa_exception_fp_ieee_div_zero 0
		.amdhsa_exception_fp_ieee_overflow 0
		.amdhsa_exception_fp_ieee_underflow 0
		.amdhsa_exception_fp_ieee_inexact 0
		.amdhsa_exception_int_div_zero 0
	.end_amdhsa_kernel
	.section	.text._ZN4vllm31rms_norm_per_block_quant_kernelIN3c108BFloat16ENS1_15Float8_e4m3fnuzELb0ELb0ELi64EEEvPT0_PfPKT_S9_PKffiiPS7_l,"axG",@progbits,_ZN4vllm31rms_norm_per_block_quant_kernelIN3c108BFloat16ENS1_15Float8_e4m3fnuzELb0ELb0ELi64EEEvPT0_PfPKT_S9_PKffiiPS7_l,comdat
.Lfunc_end88:
	.size	_ZN4vllm31rms_norm_per_block_quant_kernelIN3c108BFloat16ENS1_15Float8_e4m3fnuzELb0ELb0ELi64EEEvPT0_PfPKT_S9_PKffiiPS7_l, .Lfunc_end88-_ZN4vllm31rms_norm_per_block_quant_kernelIN3c108BFloat16ENS1_15Float8_e4m3fnuzELb0ELb0ELi64EEEvPT0_PfPKT_S9_PKffiiPS7_l
                                        ; -- End function
	.section	.AMDGPU.csdata,"",@progbits
; Kernel info:
; codeLenInByte = 14628
; NumSgprs: 36
; NumVgprs: 46
; ScratchSize: 0
; MemoryBound: 0
; FloatMode: 240
; IeeeMode: 1
; LDSByteSize: 4228 bytes/workgroup (compile time only)
; SGPRBlocks: 4
; VGPRBlocks: 5
; NumSGPRsForWavesPerEU: 36
; NumVGPRsForWavesPerEU: 46
; Occupancy: 16
; WaveLimiterHint : 0
; COMPUTE_PGM_RSRC2:SCRATCH_EN: 0
; COMPUTE_PGM_RSRC2:USER_SGPR: 15
; COMPUTE_PGM_RSRC2:TRAP_HANDLER: 0
; COMPUTE_PGM_RSRC2:TGID_X_EN: 1
; COMPUTE_PGM_RSRC2:TGID_Y_EN: 0
; COMPUTE_PGM_RSRC2:TGID_Z_EN: 0
; COMPUTE_PGM_RSRC2:TIDIG_COMP_CNT: 0
	.section	.text._ZN4vllm31rms_norm_per_block_quant_kernelIN3c108BFloat16EaLb0ELb0ELi64EEEvPT0_PfPKT_S8_PKffiiPS6_l,"axG",@progbits,_ZN4vllm31rms_norm_per_block_quant_kernelIN3c108BFloat16EaLb0ELb0ELi64EEEvPT0_PfPKT_S8_PKffiiPS6_l,comdat
	.protected	_ZN4vllm31rms_norm_per_block_quant_kernelIN3c108BFloat16EaLb0ELb0ELi64EEEvPT0_PfPKT_S8_PKffiiPS6_l ; -- Begin function _ZN4vllm31rms_norm_per_block_quant_kernelIN3c108BFloat16EaLb0ELb0ELi64EEEvPT0_PfPKT_S8_PKffiiPS6_l
	.globl	_ZN4vllm31rms_norm_per_block_quant_kernelIN3c108BFloat16EaLb0ELb0ELi64EEEvPT0_PfPKT_S8_PKffiiPS6_l
	.p2align	8
	.type	_ZN4vllm31rms_norm_per_block_quant_kernelIN3c108BFloat16EaLb0ELb0ELi64EEEvPT0_PfPKT_S8_PKffiiPS6_l,@function
_ZN4vllm31rms_norm_per_block_quant_kernelIN3c108BFloat16EaLb0ELb0ELi64EEEvPT0_PfPKT_S8_PKffiiPS6_l: ; @_ZN4vllm31rms_norm_per_block_quant_kernelIN3c108BFloat16EaLb0ELb0ELi64EEEvPT0_PfPKT_S8_PKffiiPS6_l
; %bb.0:
	s_clause 0x1
	s_load_b128 s[16:19], s[0:1], 0x28
	s_load_b256 s[4:11], s[0:1], 0x0
	v_mov_b32_e32 v6, 0
	s_mov_b32 s13, 0
	s_waitcnt lgkmcnt(0)
	s_ashr_i32 s2, s18, 31
	s_mul_hi_u32 s3, s18, s15
	s_mul_i32 s12, s2, s15
	s_mul_i32 s2, s18, s15
	s_add_i32 s3, s3, s12
	s_mov_b32 s18, s17
	s_lshl_b64 s[22:23], s[2:3], 1
	s_delay_alu instid0(SALU_CYCLE_1)
	s_add_u32 s14, s8, s22
	s_addc_u32 s26, s9, s23
	s_ashr_i32 s12, s17, 2
	s_add_u32 s20, s0, 0x48
	v_cmp_gt_u32_e64 s2, s12, v0
	s_addc_u32 s21, s1, 0
	s_delay_alu instid0(VALU_DEP_1)
	s_and_saveexec_b32 s3, s2
	s_cbranch_execz .LBB89_10
; %bb.1:
	s_load_b32 s19, s[20:21], 0x0
	v_dual_mov_b32 v2, 0 :: v_dual_mov_b32 v1, v0
	s_waitcnt lgkmcnt(0)
	s_cmp_lt_u32 s15, s19
	s_cselect_b32 s19, 12, 18
	s_delay_alu instid0(SALU_CYCLE_1)
	s_add_u32 s24, s20, s19
	s_addc_u32 s25, s21, 0
                                        ; implicit-def: $sgpr19
	global_load_u16 v7, v2, s[24:25]
	s_waitcnt vmcnt(0)
	v_lshlrev_b32_e32 v9, 1, v7
	v_mul_lo_u32 v8, v7, 3
	v_add_nc_u32_e32 v10, v7, v7
	v_mov_b32_e32 v6, v2
	s_branch .LBB89_5
.LBB89_2:                               ;   in Loop: Header=BB89_5 Depth=1
	s_or_b32 exec_lo, exec_lo, s27
	s_delay_alu instid0(SALU_CYCLE_1)
	s_or_not1_b32 s27, s28, exec_lo
.LBB89_3:                               ;   in Loop: Header=BB89_5 Depth=1
	s_or_b32 exec_lo, exec_lo, s25
	s_delay_alu instid0(SALU_CYCLE_1) | instskip(SKIP_1) | instid1(SALU_CYCLE_1)
	s_and_not1_b32 s19, s19, exec_lo
	s_and_b32 s25, s27, exec_lo
	s_or_b32 s19, s19, s25
.LBB89_4:                               ;   in Loop: Header=BB89_5 Depth=1
	s_or_b32 exec_lo, exec_lo, s24
	s_delay_alu instid0(SALU_CYCLE_1) | instskip(NEXT) | instid1(SALU_CYCLE_1)
	s_and_b32 s24, exec_lo, s19
	s_or_b32 s13, s24, s13
	s_delay_alu instid0(SALU_CYCLE_1)
	s_and_not1_b32 exec_lo, exec_lo, s13
	s_cbranch_execz .LBB89_9
.LBB89_5:                               ; =>This Inner Loop Header: Depth=1
	v_lshlrev_b64 v[3:4], 3, v[1:2]
	s_or_b32 s19, s19, exec_lo
	s_mov_b32 s24, exec_lo
	s_delay_alu instid0(VALU_DEP_1) | instskip(NEXT) | instid1(VALU_DEP_2)
	v_add_co_u32 v3, vcc_lo, s14, v3
	v_add_co_ci_u32_e32 v4, vcc_lo, s26, v4, vcc_lo
	global_load_b64 v[3:4], v[3:4], off
	s_waitcnt vmcnt(0)
	v_lshlrev_b32_e32 v5, 16, v3
	v_and_b32_e32 v11, 0xffff0000, v3
	v_alignbit_b32 v3, v4, v3, 16
	v_and_b32_e32 v4, 0xffff0000, v4
	s_delay_alu instid0(VALU_DEP_2) | instskip(NEXT) | instid1(VALU_DEP_1)
	v_dual_fmac_f32 v6, v5, v5 :: v_dual_and_b32 v3, 0xffff0000, v3
	v_fmac_f32_e32 v6, v11, v11
	s_delay_alu instid0(VALU_DEP_1) | instskip(NEXT) | instid1(VALU_DEP_1)
	v_fmac_f32_e32 v6, v3, v3
	v_dual_fmac_f32 v6, v4, v4 :: v_dual_add_nc_u32 v3, v1, v7
	s_delay_alu instid0(VALU_DEP_1)
	v_cmpx_gt_u32_e64 s12, v3
	s_cbranch_execz .LBB89_4
; %bb.6:                                ;   in Loop: Header=BB89_5 Depth=1
	v_mov_b32_e32 v4, v2
	s_mov_b32 s27, -1
	s_mov_b32 s25, exec_lo
	s_delay_alu instid0(VALU_DEP_1) | instskip(NEXT) | instid1(VALU_DEP_1)
	v_lshlrev_b64 v[4:5], 3, v[3:4]
	v_add_co_u32 v4, vcc_lo, s14, v4
	s_delay_alu instid0(VALU_DEP_2)
	v_add_co_ci_u32_e32 v5, vcc_lo, s26, v5, vcc_lo
	global_load_b64 v[4:5], v[4:5], off
	s_waitcnt vmcnt(0)
	v_lshlrev_b32_e32 v11, 16, v4
	v_and_b32_e32 v12, 0xffff0000, v4
	v_alignbit_b32 v4, v5, v4, 16
	s_delay_alu instid0(VALU_DEP_3) | instskip(NEXT) | instid1(VALU_DEP_2)
	v_dual_fmac_f32 v6, v11, v11 :: v_dual_and_b32 v5, 0xffff0000, v5
	v_and_b32_e32 v4, 0xffff0000, v4
	s_delay_alu instid0(VALU_DEP_2) | instskip(NEXT) | instid1(VALU_DEP_1)
	v_fmac_f32_e32 v6, v12, v12
	v_fmac_f32_e32 v6, v4, v4
	v_add_nc_u32_e32 v4, v9, v1
	s_delay_alu instid0(VALU_DEP_2) | instskip(NEXT) | instid1(VALU_DEP_2)
	v_fmac_f32_e32 v6, v5, v5
	v_cmpx_gt_u32_e64 s12, v4
	s_cbranch_execz .LBB89_3
; %bb.7:                                ;   in Loop: Header=BB89_5 Depth=1
	v_mov_b32_e32 v5, v2
	v_add_nc_u32_e32 v1, v8, v1
	s_mov_b32 s28, -1
	s_mov_b32 s27, exec_lo
	s_delay_alu instid0(VALU_DEP_2) | instskip(NEXT) | instid1(VALU_DEP_1)
	v_lshlrev_b64 v[4:5], 3, v[4:5]
	v_add_co_u32 v4, vcc_lo, s14, v4
	s_delay_alu instid0(VALU_DEP_2)
	v_add_co_ci_u32_e32 v5, vcc_lo, s26, v5, vcc_lo
	global_load_b64 v[4:5], v[4:5], off
	s_waitcnt vmcnt(0)
	v_and_b32_e32 v12, 0xffff0000, v4
	v_lshlrev_b32_e32 v11, 16, v4
	v_alignbit_b32 v4, v5, v4, 16
	s_delay_alu instid0(VALU_DEP_2) | instskip(NEXT) | instid1(VALU_DEP_2)
	v_dual_fmac_f32 v6, v11, v11 :: v_dual_and_b32 v5, 0xffff0000, v5
	v_and_b32_e32 v4, 0xffff0000, v4
	s_delay_alu instid0(VALU_DEP_2) | instskip(NEXT) | instid1(VALU_DEP_1)
	v_fmac_f32_e32 v6, v12, v12
	v_fmac_f32_e32 v6, v4, v4
	s_delay_alu instid0(VALU_DEP_1)
	v_fmac_f32_e32 v6, v5, v5
	v_cmpx_gt_u32_e64 s12, v1
	s_xor_b32 s27, exec_lo, s27
	s_cbranch_execz .LBB89_2
; %bb.8:                                ;   in Loop: Header=BB89_5 Depth=1
	v_lshlrev_b64 v[4:5], 3, v[1:2]
	s_delay_alu instid0(VALU_DEP_1) | instskip(NEXT) | instid1(VALU_DEP_2)
	v_add_co_u32 v4, vcc_lo, s14, v4
	v_add_co_ci_u32_e32 v5, vcc_lo, s26, v5, vcc_lo
	global_load_b64 v[4:5], v[4:5], off
	s_waitcnt vmcnt(0)
	v_and_b32_e32 v11, 0xffff0000, v4
	v_lshlrev_b32_e32 v1, 16, v4
	v_alignbit_b32 v4, v5, v4, 16
	s_delay_alu instid0(VALU_DEP_2) | instskip(NEXT) | instid1(VALU_DEP_2)
	v_fmac_f32_e32 v6, v1, v1
	v_and_b32_e32 v4, 0xffff0000, v4
	v_add3_u32 v1, v10, v7, v3
	s_delay_alu instid0(VALU_DEP_3) | instskip(NEXT) | instid1(VALU_DEP_2)
	v_dual_fmac_f32 v6, v11, v11 :: v_dual_and_b32 v3, 0xffff0000, v5
	v_cmp_le_u32_e32 vcc_lo, s12, v1
	s_delay_alu instid0(VALU_DEP_2) | instskip(SKIP_1) | instid1(VALU_DEP_1)
	v_fmac_f32_e32 v6, v4, v4
	s_or_not1_b32 s28, vcc_lo, exec_lo
	v_fmac_f32_e32 v6, v3, v3
	s_branch .LBB89_2
.LBB89_9:
	s_or_b32 exec_lo, exec_lo, s13
.LBB89_10:
	s_delay_alu instid0(SALU_CYCLE_1) | instskip(SKIP_3) | instid1(VALU_DEP_2)
	s_or_b32 exec_lo, exec_lo, s3
	v_mbcnt_lo_u32_b32 v1, -1, 0
	s_load_b32 s3, s[20:21], 0xc
	v_and_b32_e32 v7, 0x3e0, v0
	v_cmp_ne_u32_e32 vcc_lo, 31, v1
	v_add_nc_u32_e32 v3, 1, v1
	v_add_co_ci_u32_e32 v2, vcc_lo, 0, v1, vcc_lo
	v_cmp_gt_u32_e32 vcc_lo, 30, v1
	s_delay_alu instid0(VALU_DEP_2)
	v_lshlrev_b32_e32 v2, 2, v2
	v_cndmask_b32_e64 v5, 0, 1, vcc_lo
	ds_bpermute_b32 v4, v2, v6
	s_waitcnt lgkmcnt(0)
	s_and_b32 s27, s3, 0xffff
	v_lshlrev_b32_e32 v5, 1, v5
	v_sub_nc_u32_e64 v12, s27, v7 clamp
	s_mov_b32 s3, exec_lo
	s_delay_alu instid0(VALU_DEP_1) | instskip(SKIP_2) | instid1(VALU_DEP_2)
	v_cmp_lt_u32_e32 vcc_lo, v3, v12
	v_add_f32_e32 v7, v6, v4
	v_add_lshl_u32 v4, v5, v1, 2
	v_cndmask_b32_e32 v7, v6, v7, vcc_lo
	v_cmp_gt_u32_e32 vcc_lo, 28, v1
	v_cndmask_b32_e64 v5, 0, 1, vcc_lo
	s_delay_alu instid0(VALU_DEP_1) | instskip(SKIP_2) | instid1(VALU_DEP_1)
	v_lshlrev_b32_e32 v8, 2, v5
	ds_bpermute_b32 v6, v4, v7
	v_add_nc_u32_e32 v5, 2, v1
	v_cmp_lt_u32_e32 vcc_lo, v5, v12
	s_waitcnt lgkmcnt(0)
	v_add_f32_e32 v9, v7, v6
	v_add_lshl_u32 v6, v8, v1, 2
	s_delay_alu instid0(VALU_DEP_2) | instskip(SKIP_3) | instid1(VALU_DEP_1)
	v_cndmask_b32_e32 v9, v7, v9, vcc_lo
	v_cmp_gt_u32_e32 vcc_lo, 24, v1
	ds_bpermute_b32 v8, v6, v9
	v_cndmask_b32_e64 v7, 0, 1, vcc_lo
	v_lshlrev_b32_e32 v10, 3, v7
	v_add_nc_u32_e32 v7, 4, v1
	s_delay_alu instid0(VALU_DEP_1) | instskip(SKIP_3) | instid1(VALU_DEP_2)
	v_cmp_lt_u32_e32 vcc_lo, v7, v12
	s_waitcnt lgkmcnt(0)
	v_add_f32_e32 v11, v9, v8
	v_add_lshl_u32 v8, v10, v1, 2
	v_cndmask_b32_e32 v11, v9, v11, vcc_lo
	v_cmp_gt_u32_e32 vcc_lo, 16, v1
	ds_bpermute_b32 v10, v8, v11
	v_cndmask_b32_e64 v9, 0, 1, vcc_lo
	s_delay_alu instid0(VALU_DEP_1) | instskip(SKIP_1) | instid1(VALU_DEP_1)
	v_lshlrev_b32_e32 v13, 4, v9
	v_add_nc_u32_e32 v9, 8, v1
	v_cmp_lt_u32_e32 vcc_lo, v9, v12
	s_waitcnt lgkmcnt(0)
	v_add_f32_e32 v14, v11, v10
	v_add_lshl_u32 v10, v13, v1, 2
	s_delay_alu instid0(VALU_DEP_2)
	v_cndmask_b32_e32 v13, v11, v14, vcc_lo
	v_add_nc_u32_e32 v11, 16, v1
	ds_bpermute_b32 v14, v10, v13
	v_cmp_lt_u32_e32 vcc_lo, v11, v12
	s_waitcnt lgkmcnt(0)
	v_add_f32_e32 v14, v13, v14
	s_delay_alu instid0(VALU_DEP_1)
	v_cndmask_b32_e32 v12, v13, v14, vcc_lo
	v_cmpx_eq_u32_e32 0, v1
	s_cbranch_execz .LBB89_12
; %bb.11:
	v_lshrrev_b32_e32 v13, 3, v0
	s_delay_alu instid0(VALU_DEP_1)
	v_and_b32_e32 v13, 0x7c, v13
	ds_store_b32 v13, v12 offset:4096
.LBB89_12:
	s_or_b32 exec_lo, exec_lo, s3
	s_delay_alu instid0(SALU_CYCLE_1)
	s_mov_b32 s3, exec_lo
	s_waitcnt lgkmcnt(0)
	s_barrier
	buffer_gl0_inv
	v_cmpx_gt_u32_e32 32, v0
	s_cbranch_execz .LBB89_14
; %bb.13:
	v_lshlrev_b32_e32 v1, 2, v1
	s_add_i32 s13, s27, 31
	s_delay_alu instid0(SALU_CYCLE_1) | instskip(NEXT) | instid1(SALU_CYCLE_1)
	s_lshr_b32 s13, s13, 5
	v_cmp_gt_u32_e32 vcc_lo, s13, v3
	ds_load_b32 v1, v1 offset:4096
	s_waitcnt lgkmcnt(0)
	ds_bpermute_b32 v2, v2, v1
	s_waitcnt lgkmcnt(0)
	v_add_f32_e32 v2, v1, v2
	s_delay_alu instid0(VALU_DEP_1) | instskip(SKIP_4) | instid1(VALU_DEP_1)
	v_cndmask_b32_e32 v1, v1, v2, vcc_lo
	v_cmp_gt_u32_e32 vcc_lo, s13, v5
	ds_bpermute_b32 v2, v4, v1
	s_waitcnt lgkmcnt(0)
	v_add_f32_e32 v2, v1, v2
	v_cndmask_b32_e32 v1, v1, v2, vcc_lo
	v_cmp_gt_u32_e32 vcc_lo, s13, v7
	ds_bpermute_b32 v2, v6, v1
	s_waitcnt lgkmcnt(0)
	v_add_f32_e32 v2, v1, v2
	s_delay_alu instid0(VALU_DEP_1) | instskip(SKIP_4) | instid1(VALU_DEP_1)
	v_cndmask_b32_e32 v1, v1, v2, vcc_lo
	v_cmp_gt_u32_e32 vcc_lo, s13, v9
	ds_bpermute_b32 v2, v8, v1
	s_waitcnt lgkmcnt(0)
	v_add_f32_e32 v2, v1, v2
	v_cndmask_b32_e32 v1, v1, v2, vcc_lo
	v_cmp_gt_u32_e32 vcc_lo, s13, v11
	ds_bpermute_b32 v2, v10, v1
	s_waitcnt lgkmcnt(0)
	v_add_f32_e32 v2, v1, v2
	s_delay_alu instid0(VALU_DEP_1)
	v_cndmask_b32_e32 v12, v1, v2, vcc_lo
.LBB89_14:
	s_or_b32 exec_lo, exec_lo, s3
	s_delay_alu instid0(SALU_CYCLE_1)
	s_mov_b32 s3, exec_lo
	v_cmpx_eq_u32_e32 0, v0
	s_cbranch_execz .LBB89_16
; %bb.15:
	v_cvt_f32_i32_e32 v1, s17
	s_delay_alu instid0(VALU_DEP_1) | instskip(SKIP_1) | instid1(VALU_DEP_2)
	v_div_scale_f32 v2, null, v1, v1, v12
	v_div_scale_f32 v5, vcc_lo, v12, v1, v12
	v_rcp_f32_e32 v3, v2
	s_waitcnt_depctr 0xfff
	v_fma_f32 v4, -v2, v3, 1.0
	s_delay_alu instid0(VALU_DEP_1) | instskip(NEXT) | instid1(VALU_DEP_1)
	v_fmac_f32_e32 v3, v4, v3
	v_mul_f32_e32 v4, v5, v3
	s_delay_alu instid0(VALU_DEP_1) | instskip(NEXT) | instid1(VALU_DEP_1)
	v_fma_f32 v6, -v2, v4, v5
	v_fmac_f32_e32 v4, v6, v3
	s_delay_alu instid0(VALU_DEP_1) | instskip(NEXT) | instid1(VALU_DEP_1)
	v_fma_f32 v2, -v2, v4, v5
	v_div_fmas_f32 v2, v2, v3, v4
	s_delay_alu instid0(VALU_DEP_1) | instskip(NEXT) | instid1(VALU_DEP_1)
	v_div_fixup_f32 v1, v2, v1, v12
	v_add_f32_e32 v1, s16, v1
	s_delay_alu instid0(VALU_DEP_1) | instskip(SKIP_1) | instid1(VALU_DEP_2)
	v_mul_f32_e32 v2, 0x4b800000, v1
	v_cmp_gt_f32_e32 vcc_lo, 0x800000, v1
	v_cndmask_b32_e32 v1, v1, v2, vcc_lo
	s_delay_alu instid0(VALU_DEP_1) | instskip(SKIP_2) | instid1(VALU_DEP_1)
	v_rsq_f32_e32 v1, v1
	s_waitcnt_depctr 0xfff
	v_mul_f32_e32 v2, 0x45800000, v1
	v_dual_cndmask_b32 v1, v1, v2 :: v_dual_mov_b32 v2, 0
	ds_store_b32 v2, v1 offset:4224
.LBB89_16:
	s_or_b32 exec_lo, exec_lo, s3
	s_ashr_i32 s19, s17, 31
	s_waitcnt lgkmcnt(0)
	s_lshr_b32 s3, s19, 26
	s_barrier
	s_add_i32 s3, s17, s3
	buffer_gl0_inv
	s_ashr_i32 s16, s3, 6
	s_ashr_i32 s3, s3, 31
	s_abs_i32 s13, s16
	s_delay_alu instid0(SALU_CYCLE_1) | instskip(SKIP_1) | instid1(VALU_DEP_1)
	v_cvt_f32_u32_e32 v1, s13
	s_sub_i32 s20, 0, s13
	v_rcp_iflag_f32_e32 v1, v1
	s_waitcnt_depctr 0xfff
	v_mul_f32_e32 v1, 0x4f7ffffe, v1
	s_delay_alu instid0(VALU_DEP_1) | instskip(NEXT) | instid1(VALU_DEP_1)
	v_cvt_u32_f32_e32 v1, v1
	v_readfirstlane_b32 s17, v1
	s_delay_alu instid0(VALU_DEP_1) | instskip(NEXT) | instid1(SALU_CYCLE_1)
	s_mul_i32 s20, s20, s17
	s_mul_hi_u32 s20, s17, s20
	s_delay_alu instid0(SALU_CYCLE_1) | instskip(NEXT) | instid1(SALU_CYCLE_1)
	s_add_i32 s17, s17, s20
	s_mul_hi_u32 s17, s27, s17
	s_delay_alu instid0(SALU_CYCLE_1) | instskip(SKIP_2) | instid1(SALU_CYCLE_1)
	s_mul_i32 s20, s17, s13
	s_add_i32 s21, s17, 1
	s_sub_i32 s20, s27, s20
	s_sub_i32 s24, s20, s13
	s_cmp_ge_u32 s20, s13
	s_cselect_b32 s17, s21, s17
	s_cselect_b32 s20, s24, s20
	s_add_i32 s21, s17, 1
	s_cmp_ge_u32 s20, s13
	s_cselect_b32 s13, s21, s17
	s_delay_alu instid0(SALU_CYCLE_1) | instskip(NEXT) | instid1(SALU_CYCLE_1)
	s_xor_b32 s13, s13, s3
	s_sub_i32 s20, s13, s3
	s_delay_alu instid0(SALU_CYCLE_1) | instskip(SKIP_3) | instid1(VALU_DEP_1)
	s_abs_i32 s3, s20
	s_ashr_i32 s21, s20, 31
	v_cvt_f32_u32_e32 v1, s3
	s_sub_i32 s13, 0, s3
	v_rcp_iflag_f32_e32 v1, v1
	s_waitcnt_depctr 0xfff
	v_mul_f32_e32 v1, 0x4f7ffffe, v1
	s_delay_alu instid0(VALU_DEP_1) | instskip(NEXT) | instid1(VALU_DEP_1)
	v_cvt_u32_f32_e32 v1, v1
	v_mul_lo_u32 v2, s13, v1
	s_ashr_i32 s13, s12, 31
	s_delay_alu instid0(VALU_DEP_1) | instskip(NEXT) | instid1(VALU_DEP_1)
	v_mul_hi_u32 v2, v1, v2
	v_add_nc_u32_e32 v1, v1, v2
	s_delay_alu instid0(VALU_DEP_1) | instskip(NEXT) | instid1(VALU_DEP_1)
	v_mul_hi_u32 v1, v0, v1
	v_mul_lo_u32 v2, v1, s3
	v_add_nc_u32_e32 v3, 1, v1
	s_delay_alu instid0(VALU_DEP_2) | instskip(NEXT) | instid1(VALU_DEP_1)
	v_sub_nc_u32_e32 v2, v0, v2
	v_subrev_nc_u32_e32 v4, s3, v2
	v_cmp_le_u32_e32 vcc_lo, s3, v2
	s_delay_alu instid0(VALU_DEP_2) | instskip(NEXT) | instid1(VALU_DEP_1)
	v_dual_cndmask_b32 v1, v1, v3 :: v_dual_cndmask_b32 v2, v2, v4
	v_dual_mov_b32 v4, 0 :: v_dual_add_nc_u32 v3, 1, v1
	s_delay_alu instid0(VALU_DEP_2) | instskip(SKIP_2) | instid1(VALU_DEP_1)
	v_cmp_le_u32_e32 vcc_lo, s3, v2
	ds_load_b32 v28, v4 offset:4224
	v_cndmask_b32_e32 v1, v1, v3, vcc_lo
	v_xor_b32_e32 v1, s21, v1
	s_delay_alu instid0(VALU_DEP_1) | instskip(NEXT) | instid1(VALU_DEP_1)
	v_subrev_nc_u32_e32 v1, s21, v1
	v_ashrrev_i32_e32 v2, 31, v1
	v_mul_lo_u32 v3, v1, s20
	s_delay_alu instid0(VALU_DEP_2) | instskip(NEXT) | instid1(VALU_DEP_2)
	v_lshlrev_b64 v[7:8], 4, v[1:2]
	v_sub_nc_u32_e32 v3, v0, v3
	s_delay_alu instid0(VALU_DEP_2) | instskip(NEXT) | instid1(VALU_DEP_3)
	v_add_co_u32 v5, vcc_lo, v7, 16
	v_add_co_ci_u32_e32 v6, vcc_lo, 0, v8, vcc_lo
	s_delay_alu instid0(VALU_DEP_1) | instskip(SKIP_4) | instid1(VALU_DEP_3)
	v_cmp_gt_i64_e32 vcc_lo, s[12:13], v[5:6]
	v_cndmask_b32_e32 v6, s13, v6, vcc_lo
	v_cndmask_b32_e32 v5, s12, v5, vcc_lo
	v_add_co_u32 v7, vcc_lo, v7, v3
	v_add_co_ci_u32_e32 v8, vcc_lo, 0, v8, vcc_lo
	v_ashrrev_i32_e32 v10, 31, v5
	v_mov_b32_e32 v9, v5
	s_mov_b32 s13, exec_lo
	s_delay_alu instid0(VALU_DEP_1)
	v_cmpx_lt_i64_e64 v[7:8], v[9:10]
	s_cbranch_execz .LBB89_26
; %bb.17:
	v_lshlrev_b64 v[13:14], 7, v[1:2]
	v_lshlrev_b64 v[11:12], 3, v[3:4]
	s_mul_i32 s3, s20, 24
	s_mul_hi_i32 s17, s20, 24
	s_add_u32 s24, s8, s3
	s_delay_alu instid0(VALU_DEP_2) | instskip(SKIP_2) | instid1(VALU_DEP_2)
	v_add_co_u32 v4, vcc_lo, s22, v13
	v_add_co_ci_u32_e32 v15, vcc_lo, s23, v14, vcc_lo
	s_addc_u32 s22, s9, s17
	v_add_co_u32 v17, vcc_lo, s24, v4
	s_lshl_b64 s[24:25], s[20:21], 4
	s_delay_alu instid0(VALU_DEP_2)
	v_add_co_ci_u32_e32 v18, vcc_lo, s22, v15, vcc_lo
	s_lshl_b64 s[22:23], s[20:21], 5
	s_add_u32 s30, s8, s24
	s_addc_u32 s31, s9, s25
	s_lshl_b64 s[28:29], s[20:21], 3
	v_add_co_u32 v19, vcc_lo, s30, v4
	s_add_u32 s30, s8, s28
	v_add_co_ci_u32_e32 v20, vcc_lo, s31, v15, vcc_lo
	s_addc_u32 s31, s9, s29
	v_add_co_u32 v21, vcc_lo, s30, v4
	v_add_co_ci_u32_e32 v22, vcc_lo, s31, v15, vcc_lo
	v_add_co_u32 v23, vcc_lo, s8, v4
	s_add_u32 s3, s10, s3
	v_add_co_ci_u32_e32 v24, vcc_lo, s9, v15, vcc_lo
	s_addc_u32 s8, s11, s17
	v_add_co_u32 v25, vcc_lo, s3, v13
	s_add_u32 s3, s10, s24
	v_add_co_ci_u32_e32 v26, vcc_lo, s8, v14, vcc_lo
	s_addc_u32 s8, s11, s25
	;; [unrolled: 4-line block ×3, first 2 shown]
	v_add_co_u32 v30, vcc_lo, s3, v13
	v_add_co_ci_u32_e32 v31, vcc_lo, s8, v14, vcc_lo
	v_add_co_u32 v32, vcc_lo, s10, v13
	v_add_co_ci_u32_e32 v33, vcc_lo, s11, v14, vcc_lo
	v_mov_b32_e32 v14, v8
	v_dual_mov_b32 v4, 0 :: v_dual_mov_b32 v13, v7
	s_mul_hi_i32 s17, s20, 3
	s_mul_i32 s24, s20, 3
	s_lshl_b64 s[8:9], s[20:21], 1
	s_mov_b32 s25, 0
                                        ; implicit-def: $sgpr28
	s_branch .LBB89_21
.LBB89_18:                              ;   in Loop: Header=BB89_21 Depth=1
	s_or_b32 exec_lo, exec_lo, s31
	s_delay_alu instid0(SALU_CYCLE_1)
	s_or_not1_b32 s3, s3, exec_lo
.LBB89_19:                              ;   in Loop: Header=BB89_21 Depth=1
	s_or_b32 exec_lo, exec_lo, s30
	s_delay_alu instid0(SALU_CYCLE_1) | instskip(SKIP_1) | instid1(SALU_CYCLE_1)
	s_and_not1_b32 s28, s28, exec_lo
	s_and_b32 s3, s3, exec_lo
	s_or_b32 s28, s28, s3
.LBB89_20:                              ;   in Loop: Header=BB89_21 Depth=1
	s_or_b32 exec_lo, exec_lo, s29
	s_delay_alu instid0(SALU_CYCLE_1) | instskip(NEXT) | instid1(SALU_CYCLE_1)
	s_and_b32 s3, exec_lo, s28
	s_or_b32 s25, s3, s25
	s_delay_alu instid0(SALU_CYCLE_1)
	s_and_not1_b32 exec_lo, exec_lo, s25
	s_cbranch_execz .LBB89_25
.LBB89_21:                              ; =>This Inner Loop Header: Depth=1
	v_add_co_u32 v15, vcc_lo, v23, v11
	v_add_co_ci_u32_e32 v16, vcc_lo, v24, v12, vcc_lo
	v_add_co_u32 v34, vcc_lo, v32, v11
	v_add_co_ci_u32_e32 v35, vcc_lo, v33, v12, vcc_lo
	s_or_b32 s28, s28, exec_lo
	global_load_b64 v[15:16], v[15:16], off
	global_load_b64 v[34:35], v[34:35], off
	s_mov_b32 s29, exec_lo
	s_waitcnt vmcnt(1)
	v_lshlrev_b32_e32 v37, 16, v15
	v_and_b32_e32 v36, 0xffff0000, v15
	v_alignbit_b32 v15, v16, v15, 16
	s_waitcnt vmcnt(0)
	v_lshlrev_b32_e32 v39, 16, v34
	s_waitcnt lgkmcnt(0)
	v_mul_f32_e32 v37, v28, v37
	v_mul_f32_e32 v36, v28, v36
	s_delay_alu instid0(VALU_DEP_2) | instskip(NEXT) | instid1(VALU_DEP_2)
	v_bfe_u32 v40, v37, 16, 1
	v_bfe_u32 v41, v36, 16, 1
	v_cmp_o_f32_e32 vcc_lo, v37, v37
	s_delay_alu instid0(VALU_DEP_3) | instskip(NEXT) | instid1(VALU_DEP_3)
	v_add3_u32 v40, v37, v40, 0x7fff
	v_add3_u32 v41, v36, v41, 0x7fff
	s_delay_alu instid0(VALU_DEP_2) | instskip(NEXT) | instid1(VALU_DEP_2)
	v_and_b32_e32 v40, 0xffff0000, v40
	v_and_b32_e32 v41, 0xffff0000, v41
	s_delay_alu instid0(VALU_DEP_2) | instskip(SKIP_2) | instid1(VALU_DEP_2)
	v_cndmask_b32_e32 v37, 0x7fc00000, v40, vcc_lo
	v_and_b32_e32 v16, 0xffff0000, v16
	v_cmp_o_f32_e32 vcc_lo, v36, v36
	v_dual_mul_f32 v37, v37, v39 :: v_dual_mul_f32 v16, v28, v16
	v_cndmask_b32_e32 v36, 0x7fc00000, v41, vcc_lo
	v_and_b32_e32 v15, 0xffff0000, v15
	v_and_b32_e32 v38, 0xffff0000, v34
	v_alignbit_b32 v34, v35, v34, 16
	v_bfe_u32 v42, v16, 16, 1
	v_cmp_o_f32_e32 vcc_lo, v16, v16
	v_mul_f32_e32 v15, v28, v15
	v_mul_f32_e32 v36, v36, v38
	v_bfe_u32 v38, v37, 16, 1
	v_add3_u32 v42, v16, v42, 0x7fff
	s_delay_alu instid0(VALU_DEP_4) | instskip(NEXT) | instid1(VALU_DEP_2)
	v_bfe_u32 v43, v15, 16, 1
	v_and_b32_e32 v42, 0xffff0000, v42
	s_delay_alu instid0(VALU_DEP_2) | instskip(NEXT) | instid1(VALU_DEP_2)
	v_add3_u32 v43, v15, v43, 0x7fff
	v_cndmask_b32_e32 v16, 0x7fc00000, v42, vcc_lo
	v_cmp_o_f32_e32 vcc_lo, v15, v15
	s_delay_alu instid0(VALU_DEP_3) | instskip(SKIP_1) | instid1(VALU_DEP_2)
	v_and_b32_e32 v40, 0xffff0000, v43
	v_and_b32_e32 v34, 0xffff0000, v34
	v_cndmask_b32_e32 v15, 0x7fc00000, v40, vcc_lo
	v_and_b32_e32 v35, 0xffff0000, v35
	v_cmp_o_f32_e32 vcc_lo, v37, v37
	s_delay_alu instid0(VALU_DEP_2) | instskip(SKIP_2) | instid1(VALU_DEP_3)
	v_dual_mul_f32 v34, v15, v34 :: v_dual_mul_f32 v35, v16, v35
	v_bfe_u32 v16, v36, 16, 1
	v_add3_u32 v15, v37, v38, 0x7fff
	v_bfe_u32 v39, v34, 16, 1
	s_delay_alu instid0(VALU_DEP_4) | instskip(NEXT) | instid1(VALU_DEP_4)
	v_bfe_u32 v38, v35, 16, 1
	v_add3_u32 v16, v36, v16, 0x7fff
	s_delay_alu instid0(VALU_DEP_4) | instskip(NEXT) | instid1(VALU_DEP_4)
	v_and_b32_e32 v15, 0xffff0000, v15
	v_add3_u32 v39, v34, v39, 0x7fff
	s_delay_alu instid0(VALU_DEP_4) | instskip(NEXT) | instid1(VALU_DEP_4)
	v_add3_u32 v38, v35, v38, 0x7fff
	v_and_b32_e32 v16, 0xffff0000, v16
	s_delay_alu instid0(VALU_DEP_4)
	v_cndmask_b32_e64 v37, 0x7fc00000, |v15|, vcc_lo
	v_cmp_o_f32_e32 vcc_lo, v36, v36
	v_and_b32_e32 v39, 0xffff0000, v39
	v_and_b32_e32 v38, 0xffff0000, v38
	v_cndmask_b32_e64 v36, 0x7fc00000, |v16|, vcc_lo
	v_add_co_u32 v15, vcc_lo, v13, s20
	v_add_co_ci_u32_e32 v16, vcc_lo, s21, v14, vcc_lo
	v_cmp_o_f32_e32 vcc_lo, v34, v34
	s_delay_alu instid0(VALU_DEP_4) | instskip(SKIP_3) | instid1(VALU_DEP_1)
	v_max3_f32 v4, v4, v37, v36
	v_cndmask_b32_e64 v34, 0x7fc00000, |v39|, vcc_lo
	v_cmp_o_f32_e32 vcc_lo, v35, v35
	v_cndmask_b32_e64 v35, 0x7fc00000, |v38|, vcc_lo
	v_max3_f32 v4, v4, v34, v35
	v_cmpx_lt_i64_e64 v[15:16], v[9:10]
	s_cbranch_execz .LBB89_20
; %bb.22:                               ;   in Loop: Header=BB89_21 Depth=1
	v_add_co_u32 v34, vcc_lo, v21, v11
	v_add_co_ci_u32_e32 v35, vcc_lo, v22, v12, vcc_lo
	v_add_co_u32 v36, vcc_lo, v30, v11
	v_add_co_ci_u32_e32 v37, vcc_lo, v31, v12, vcc_lo
	s_mov_b32 s3, -1
	global_load_b64 v[34:35], v[34:35], off
	global_load_b64 v[36:37], v[36:37], off
	s_mov_b32 s30, exec_lo
	s_waitcnt vmcnt(1)
	v_lshlrev_b32_e32 v39, 16, v34
	v_and_b32_e32 v38, 0xffff0000, v34
	v_alignbit_b32 v34, v35, v34, 16
	s_delay_alu instid0(VALU_DEP_3) | instskip(NEXT) | instid1(VALU_DEP_3)
	v_mul_f32_e32 v39, v28, v39
	v_dual_mul_f32 v38, v28, v38 :: v_dual_and_b32 v35, 0xffff0000, v35
	s_waitcnt vmcnt(0)
	v_and_b32_e32 v40, 0xffff0000, v36
	s_delay_alu instid0(VALU_DEP_3) | instskip(NEXT) | instid1(VALU_DEP_3)
	v_bfe_u32 v42, v39, 16, 1
	v_mul_f32_e32 v35, v28, v35
	v_cmp_o_f32_e32 vcc_lo, v39, v39
	v_bfe_u32 v43, v38, 16, 1
	s_delay_alu instid0(VALU_DEP_4) | instskip(NEXT) | instid1(VALU_DEP_4)
	v_add3_u32 v42, v39, v42, 0x7fff
	v_bfe_u32 v44, v35, 16, 1
	s_delay_alu instid0(VALU_DEP_3) | instskip(NEXT) | instid1(VALU_DEP_3)
	v_add3_u32 v43, v38, v43, 0x7fff
	v_and_b32_e32 v42, 0xffff0000, v42
	s_delay_alu instid0(VALU_DEP_3) | instskip(NEXT) | instid1(VALU_DEP_3)
	v_add3_u32 v44, v35, v44, 0x7fff
	v_and_b32_e32 v43, 0xffff0000, v43
	s_delay_alu instid0(VALU_DEP_3)
	v_cndmask_b32_e32 v39, 0x7fc00000, v42, vcc_lo
	v_and_b32_e32 v34, 0xffff0000, v34
	v_lshlrev_b32_e32 v41, 16, v36
	v_cmp_o_f32_e32 vcc_lo, v38, v38
	v_and_b32_e32 v44, 0xffff0000, v44
	v_alignbit_b32 v36, v37, v36, 16
	s_delay_alu instid0(VALU_DEP_4) | instskip(SKIP_3) | instid1(VALU_DEP_4)
	v_dual_mul_f32 v34, v28, v34 :: v_dual_mul_f32 v39, v39, v41
	v_cndmask_b32_e32 v38, 0x7fc00000, v43, vcc_lo
	v_cmp_o_f32_e32 vcc_lo, v35, v35
	v_and_b32_e32 v37, 0xffff0000, v37
	v_bfe_u32 v45, v34, 16, 1
	s_delay_alu instid0(VALU_DEP_4) | instskip(SKIP_2) | instid1(VALU_DEP_4)
	v_mul_f32_e32 v38, v38, v40
	v_cndmask_b32_e32 v35, 0x7fc00000, v44, vcc_lo
	v_cmp_o_f32_e32 vcc_lo, v34, v34
	v_add3_u32 v45, v34, v45, 0x7fff
	v_and_b32_e32 v36, 0xffff0000, v36
	v_bfe_u32 v40, v39, 16, 1
	v_mul_f32_e32 v37, v35, v37
	v_bfe_u32 v35, v38, 16, 1
	v_and_b32_e32 v42, 0xffff0000, v45
	s_delay_alu instid0(VALU_DEP_2) | instskip(NEXT) | instid1(VALU_DEP_2)
	v_add3_u32 v35, v38, v35, 0x7fff
	v_cndmask_b32_e32 v34, 0x7fc00000, v42, vcc_lo
	v_cmp_o_f32_e32 vcc_lo, v39, v39
	s_delay_alu instid0(VALU_DEP_2) | instskip(SKIP_2) | instid1(VALU_DEP_3)
	v_dual_mul_f32 v36, v34, v36 :: v_dual_and_b32 v35, 0xffff0000, v35
	v_add3_u32 v34, v39, v40, 0x7fff
	v_bfe_u32 v40, v37, 16, 1
	v_bfe_u32 v41, v36, 16, 1
	s_delay_alu instid0(VALU_DEP_3) | instskip(NEXT) | instid1(VALU_DEP_3)
	v_and_b32_e32 v34, 0xffff0000, v34
	v_add3_u32 v40, v37, v40, 0x7fff
	s_delay_alu instid0(VALU_DEP_3) | instskip(NEXT) | instid1(VALU_DEP_3)
	v_add3_u32 v41, v36, v41, 0x7fff
	v_cndmask_b32_e64 v39, 0x7fc00000, |v34|, vcc_lo
	v_cmp_o_f32_e32 vcc_lo, v38, v38
	s_delay_alu instid0(VALU_DEP_4) | instskip(NEXT) | instid1(VALU_DEP_4)
	v_and_b32_e32 v40, 0xffff0000, v40
	v_and_b32_e32 v41, 0xffff0000, v41
	v_cndmask_b32_e64 v38, 0x7fc00000, |v35|, vcc_lo
	v_add_co_u32 v34, vcc_lo, s8, v13
	v_add_co_ci_u32_e32 v35, vcc_lo, s9, v14, vcc_lo
	v_cmp_o_f32_e32 vcc_lo, v36, v36
	s_delay_alu instid0(VALU_DEP_4) | instskip(SKIP_3) | instid1(VALU_DEP_1)
	v_max3_f32 v4, v4, v39, v38
	v_cndmask_b32_e64 v36, 0x7fc00000, |v41|, vcc_lo
	v_cmp_o_f32_e32 vcc_lo, v37, v37
	v_cndmask_b32_e64 v37, 0x7fc00000, |v40|, vcc_lo
	v_max3_f32 v4, v4, v36, v37
	v_cmpx_lt_i64_e64 v[34:35], v[9:10]
	s_cbranch_execz .LBB89_19
; %bb.23:                               ;   in Loop: Header=BB89_21 Depth=1
	v_add_co_u32 v34, vcc_lo, v19, v11
	v_add_co_ci_u32_e32 v35, vcc_lo, v20, v12, vcc_lo
	v_add_co_u32 v36, vcc_lo, v27, v11
	v_add_co_ci_u32_e32 v37, vcc_lo, v29, v12, vcc_lo
	global_load_b64 v[34:35], v[34:35], off
	global_load_b64 v[36:37], v[36:37], off
	s_waitcnt vmcnt(1)
	v_lshlrev_b32_e32 v39, 16, v34
	v_and_b32_e32 v38, 0xffff0000, v34
	v_alignbit_b32 v34, v35, v34, 16
	s_delay_alu instid0(VALU_DEP_3) | instskip(NEXT) | instid1(VALU_DEP_3)
	v_mul_f32_e32 v39, v28, v39
	v_dual_mul_f32 v38, v28, v38 :: v_dual_and_b32 v35, 0xffff0000, v35
	s_waitcnt vmcnt(0)
	v_and_b32_e32 v40, 0xffff0000, v36
	s_delay_alu instid0(VALU_DEP_3) | instskip(NEXT) | instid1(VALU_DEP_3)
	v_bfe_u32 v42, v39, 16, 1
	v_mul_f32_e32 v35, v28, v35
	v_cmp_o_f32_e32 vcc_lo, v39, v39
	v_bfe_u32 v43, v38, 16, 1
	s_delay_alu instid0(VALU_DEP_4) | instskip(NEXT) | instid1(VALU_DEP_4)
	v_add3_u32 v42, v39, v42, 0x7fff
	v_bfe_u32 v44, v35, 16, 1
	s_delay_alu instid0(VALU_DEP_3) | instskip(NEXT) | instid1(VALU_DEP_3)
	v_add3_u32 v43, v38, v43, 0x7fff
	v_and_b32_e32 v42, 0xffff0000, v42
	s_delay_alu instid0(VALU_DEP_3) | instskip(NEXT) | instid1(VALU_DEP_3)
	v_add3_u32 v44, v35, v44, 0x7fff
	v_and_b32_e32 v43, 0xffff0000, v43
	s_delay_alu instid0(VALU_DEP_3)
	v_cndmask_b32_e32 v39, 0x7fc00000, v42, vcc_lo
	v_and_b32_e32 v34, 0xffff0000, v34
	v_lshlrev_b32_e32 v41, 16, v36
	v_cmp_o_f32_e32 vcc_lo, v38, v38
	v_and_b32_e32 v44, 0xffff0000, v44
	v_alignbit_b32 v36, v37, v36, 16
	s_delay_alu instid0(VALU_DEP_4) | instskip(SKIP_3) | instid1(VALU_DEP_4)
	v_dual_mul_f32 v34, v28, v34 :: v_dual_mul_f32 v39, v39, v41
	v_cndmask_b32_e32 v38, 0x7fc00000, v43, vcc_lo
	v_cmp_o_f32_e32 vcc_lo, v35, v35
	v_and_b32_e32 v37, 0xffff0000, v37
	v_bfe_u32 v45, v34, 16, 1
	s_delay_alu instid0(VALU_DEP_4) | instskip(SKIP_2) | instid1(VALU_DEP_4)
	v_mul_f32_e32 v38, v38, v40
	v_cndmask_b32_e32 v35, 0x7fc00000, v44, vcc_lo
	v_cmp_o_f32_e32 vcc_lo, v34, v34
	v_add3_u32 v45, v34, v45, 0x7fff
	v_and_b32_e32 v36, 0xffff0000, v36
	v_bfe_u32 v40, v39, 16, 1
	v_mul_f32_e32 v35, v35, v37
	v_bfe_u32 v37, v38, 16, 1
	v_and_b32_e32 v42, 0xffff0000, v45
	s_delay_alu instid0(VALU_DEP_2) | instskip(NEXT) | instid1(VALU_DEP_2)
	v_add3_u32 v37, v38, v37, 0x7fff
	v_cndmask_b32_e32 v34, 0x7fc00000, v42, vcc_lo
	v_cmp_o_f32_e32 vcc_lo, v39, v39
	s_delay_alu instid0(VALU_DEP_2) | instskip(SKIP_2) | instid1(VALU_DEP_3)
	v_dual_mul_f32 v34, v34, v36 :: v_dual_and_b32 v37, 0xffff0000, v37
	v_add3_u32 v36, v39, v40, 0x7fff
	v_bfe_u32 v40, v35, 16, 1
	v_bfe_u32 v41, v34, 16, 1
	s_delay_alu instid0(VALU_DEP_3) | instskip(NEXT) | instid1(VALU_DEP_3)
	v_and_b32_e32 v36, 0xffff0000, v36
	v_add3_u32 v40, v35, v40, 0x7fff
	s_delay_alu instid0(VALU_DEP_3) | instskip(NEXT) | instid1(VALU_DEP_3)
	v_add3_u32 v41, v34, v41, 0x7fff
	v_cndmask_b32_e64 v36, 0x7fc00000, |v36|, vcc_lo
	v_cmp_o_f32_e32 vcc_lo, v38, v38
	s_delay_alu instid0(VALU_DEP_4) | instskip(NEXT) | instid1(VALU_DEP_4)
	v_and_b32_e32 v39, 0xffff0000, v40
	v_and_b32_e32 v38, 0xffff0000, v41
	v_cndmask_b32_e64 v37, 0x7fc00000, |v37|, vcc_lo
	v_add_co_u32 v13, vcc_lo, s24, v13
	v_add_co_ci_u32_e32 v14, vcc_lo, s17, v14, vcc_lo
	v_cmp_o_f32_e32 vcc_lo, v34, v34
	s_delay_alu instid0(VALU_DEP_4) | instskip(SKIP_4) | instid1(VALU_DEP_2)
	v_max3_f32 v4, v4, v36, v37
	v_cndmask_b32_e64 v34, 0x7fc00000, |v38|, vcc_lo
	v_cmp_o_f32_e32 vcc_lo, v35, v35
	v_cndmask_b32_e64 v35, 0x7fc00000, |v39|, vcc_lo
	v_cmp_lt_i64_e32 vcc_lo, v[13:14], v[9:10]
                                        ; implicit-def: $vgpr13_vgpr14
	v_max3_f32 v4, v4, v34, v35
	s_and_saveexec_b32 s31, vcc_lo
	s_delay_alu instid0(SALU_CYCLE_1)
	s_xor_b32 s31, exec_lo, s31
	s_cbranch_execz .LBB89_18
; %bb.24:                               ;   in Loop: Header=BB89_21 Depth=1
	v_add_co_u32 v13, vcc_lo, v17, v11
	v_add_co_ci_u32_e32 v14, vcc_lo, v18, v12, vcc_lo
	v_add_co_u32 v34, vcc_lo, v25, v11
	v_add_co_ci_u32_e32 v35, vcc_lo, v26, v12, vcc_lo
	v_add_co_u32 v17, vcc_lo, v17, s22
	global_load_b64 v[13:14], v[13:14], off
	global_load_b64 v[34:35], v[34:35], off
	v_add_co_ci_u32_e32 v18, vcc_lo, s23, v18, vcc_lo
	v_add_co_u32 v19, vcc_lo, v19, s22
	v_add_co_ci_u32_e32 v20, vcc_lo, s23, v20, vcc_lo
	v_add_co_u32 v21, vcc_lo, v21, s22
	;; [unrolled: 2-line block ×5, first 2 shown]
	v_add_co_ci_u32_e32 v29, vcc_lo, s23, v29, vcc_lo
	s_add_u32 s3, s20, s20
	s_addc_u32 s33, s21, s21
	s_add_u32 s3, s3, s20
	s_addc_u32 s33, s33, s21
	s_waitcnt vmcnt(1)
	v_lshlrev_b32_e32 v37, 16, v13
	s_waitcnt vmcnt(0)
	v_and_b32_e32 v38, 0xffff0000, v34
	v_lshlrev_b32_e32 v39, 16, v34
	v_alignbit_b32 v34, v35, v34, 16
	v_mul_f32_e32 v37, v28, v37
	s_delay_alu instid0(VALU_DEP_1) | instskip(SKIP_1) | instid1(VALU_DEP_2)
	v_bfe_u32 v40, v37, 16, 1
	v_cmp_o_f32_e32 vcc_lo, v37, v37
	v_add3_u32 v40, v37, v40, 0x7fff
	s_delay_alu instid0(VALU_DEP_1) | instskip(NEXT) | instid1(VALU_DEP_1)
	v_and_b32_e32 v40, 0xffff0000, v40
	v_cndmask_b32_e32 v37, 0x7fc00000, v40, vcc_lo
	v_and_b32_e32 v36, 0xffff0000, v13
	v_alignbit_b32 v13, v14, v13, 16
	s_delay_alu instid0(VALU_DEP_2) | instskip(NEXT) | instid1(VALU_DEP_2)
	v_dual_mul_f32 v37, v37, v39 :: v_dual_mul_f32 v36, v28, v36
	v_and_b32_e32 v13, 0xffff0000, v13
	v_and_b32_e32 v14, 0xffff0000, v14
	s_delay_alu instid0(VALU_DEP_3) | instskip(NEXT) | instid1(VALU_DEP_3)
	v_bfe_u32 v41, v36, 16, 1
	v_mul_f32_e32 v13, v28, v13
	s_delay_alu instid0(VALU_DEP_3) | instskip(SKIP_1) | instid1(VALU_DEP_4)
	v_mul_f32_e32 v14, v28, v14
	v_cmp_o_f32_e32 vcc_lo, v36, v36
	v_add3_u32 v41, v36, v41, 0x7fff
	s_delay_alu instid0(VALU_DEP_4) | instskip(NEXT) | instid1(VALU_DEP_4)
	v_bfe_u32 v43, v13, 16, 1
	v_bfe_u32 v42, v14, 16, 1
	s_delay_alu instid0(VALU_DEP_3) | instskip(NEXT) | instid1(VALU_DEP_3)
	v_and_b32_e32 v41, 0xffff0000, v41
	v_add3_u32 v43, v13, v43, 0x7fff
	s_delay_alu instid0(VALU_DEP_3) | instskip(NEXT) | instid1(VALU_DEP_3)
	v_add3_u32 v42, v14, v42, 0x7fff
	v_cndmask_b32_e32 v36, 0x7fc00000, v41, vcc_lo
	v_cmp_o_f32_e32 vcc_lo, v14, v14
	s_delay_alu instid0(VALU_DEP_3) | instskip(SKIP_3) | instid1(VALU_DEP_4)
	v_and_b32_e32 v42, 0xffff0000, v42
	v_and_b32_e32 v35, 0xffff0000, v35
	;; [unrolled: 1-line block ×3, first 2 shown]
	v_mul_f32_e32 v36, v36, v38
	v_cndmask_b32_e32 v14, 0x7fc00000, v42, vcc_lo
	v_and_b32_e32 v34, 0xffff0000, v34
	v_cmp_o_f32_e32 vcc_lo, v13, v13
	s_delay_alu instid0(VALU_DEP_4) | instskip(NEXT) | instid1(VALU_DEP_4)
	v_bfe_u32 v38, v36, 16, 1
	v_mul_f32_e32 v35, v14, v35
	v_bfe_u32 v14, v37, 16, 1
	v_cndmask_b32_e32 v13, 0x7fc00000, v40, vcc_lo
	s_delay_alu instid0(VALU_DEP_4) | instskip(SKIP_1) | instid1(VALU_DEP_4)
	v_add3_u32 v38, v36, v38, 0x7fff
	v_cmp_o_f32_e32 vcc_lo, v37, v37
	v_add3_u32 v14, v37, v14, 0x7fff
	s_delay_alu instid0(VALU_DEP_4) | instskip(SKIP_2) | instid1(VALU_DEP_4)
	v_mul_f32_e32 v34, v13, v34
	v_bfe_u32 v13, v35, 16, 1
	v_and_b32_e32 v38, 0xffff0000, v38
	v_and_b32_e32 v14, 0xffff0000, v14
	s_delay_alu instid0(VALU_DEP_4) | instskip(NEXT) | instid1(VALU_DEP_4)
	v_bfe_u32 v39, v34, 16, 1
	v_add3_u32 v13, v35, v13, 0x7fff
	s_delay_alu instid0(VALU_DEP_3) | instskip(SKIP_1) | instid1(VALU_DEP_3)
	v_cndmask_b32_e64 v37, 0x7fc00000, |v14|, vcc_lo
	v_cmp_o_f32_e32 vcc_lo, v36, v36
	v_and_b32_e32 v40, 0xffff0000, v13
	v_add3_u32 v39, v34, v39, 0x7fff
	v_cndmask_b32_e64 v36, 0x7fc00000, |v38|, vcc_lo
	v_add_co_u32 v13, vcc_lo, s3, v15
	v_add_co_ci_u32_e32 v14, vcc_lo, s33, v16, vcc_lo
	v_cmp_o_f32_e32 vcc_lo, v35, v35
	v_and_b32_e32 v15, 0xffff0000, v39
	v_max3_f32 v4, v4, v37, v36
	v_add_co_u32 v32, s3, v32, s22
	v_cndmask_b32_e64 v16, 0x7fc00000, |v40|, vcc_lo
	v_cmp_o_f32_e32 vcc_lo, v34, v34
	v_add_co_ci_u32_e64 v33, s3, s23, v33, s3
	v_cndmask_b32_e64 v15, 0x7fc00000, |v15|, vcc_lo
	v_add_co_u32 v30, vcc_lo, v30, s22
	v_add_co_ci_u32_e32 v31, vcc_lo, s23, v31, vcc_lo
	v_cmp_ge_i64_e32 vcc_lo, v[13:14], v[9:10]
	s_delay_alu instid0(VALU_DEP_4)
	v_max3_f32 v4, v4, v15, v16
	s_or_not1_b32 s3, vcc_lo, exec_lo
	s_branch .LBB89_18
.LBB89_25:
	s_or_b32 exec_lo, exec_lo, s25
.LBB89_26:
	s_delay_alu instid0(SALU_CYCLE_1)
	s_or_b32 exec_lo, exec_lo, s13
	s_lshr_b32 s13, s27, 5
	s_ashr_i32 s17, s16, 31
	v_cvt_f32_u32_e32 v9, s13
	s_sub_i32 s8, 0, s13
	s_add_i32 s9, s16, s13
	v_lshlrev_b32_e32 v29, 2, v0
	s_add_i32 s9, s9, -1
	v_rcp_iflag_f32_e32 v9, v9
	s_abs_i32 s22, s9
	s_ashr_i32 s9, s9, 31
	ds_store_b32 v29, v4
	s_waitcnt lgkmcnt(0)
	s_barrier
	buffer_gl0_inv
	v_mul_f32_e32 v9, 0x4f7ffffe, v9
	s_delay_alu instid0(VALU_DEP_1) | instskip(NEXT) | instid1(VALU_DEP_1)
	v_cvt_u32_f32_e32 v9, v9
	v_readfirstlane_b32 s3, v9
	s_delay_alu instid0(VALU_DEP_1) | instskip(NEXT) | instid1(SALU_CYCLE_1)
	s_mul_i32 s8, s8, s3
	s_mul_hi_u32 s8, s3, s8
	s_delay_alu instid0(SALU_CYCLE_1) | instskip(NEXT) | instid1(SALU_CYCLE_1)
	s_add_i32 s3, s3, s8
	s_mul_hi_u32 s3, s22, s3
	s_delay_alu instid0(SALU_CYCLE_1) | instskip(NEXT) | instid1(SALU_CYCLE_1)
	s_mul_i32 s8, s3, s13
	s_sub_i32 s8, s22, s8
	s_add_i32 s22, s3, 1
	s_sub_i32 s23, s8, s13
	s_cmp_ge_u32 s8, s13
	s_cselect_b32 s3, s22, s3
	s_cselect_b32 s8, s23, s8
	s_add_i32 s22, s3, 1
	s_cmp_ge_u32 s8, s13
	s_cselect_b32 s3, s22, s3
	s_delay_alu instid0(SALU_CYCLE_1) | instskip(NEXT) | instid1(SALU_CYCLE_1)
	s_xor_b32 s3, s3, s9
	s_sub_i32 s8, s3, s9
	s_delay_alu instid0(SALU_CYCLE_1) | instskip(NEXT) | instid1(SALU_CYCLE_1)
	s_ashr_i32 s9, s8, 31
	v_cmp_lt_i64_e64 s3, s[8:9], 1
	s_delay_alu instid0(VALU_DEP_1)
	s_and_b32 vcc_lo, exec_lo, s3
	s_cbranch_vccnz .LBB89_46
; %bb.27:
	v_lshrrev_b32_e32 v9, 5, v0
	v_and_b32_e32 v4, 31, v0
	s_mov_b64 s[22:23], 0
	s_mov_b64 s[24:25], src_shared_base
	s_delay_alu instid0(VALU_DEP_2) | instskip(NEXT) | instid1(VALU_DEP_2)
	v_mul_lo_u32 v19, s20, v9
	v_add_co_u32 v11, s3, v4, 16
	s_delay_alu instid0(VALU_DEP_1) | instskip(SKIP_1) | instid1(VALU_DEP_1)
	v_add_co_ci_u32_e64 v12, null, 0, 0, s3
	v_add_co_u32 v13, s3, v4, 8
	v_add_co_ci_u32_e64 v14, null, 0, 0, s3
	v_add_co_u32 v15, s3, v4, 4
	v_dual_mov_b32 v10, 0 :: v_dual_lshlrev_b32 v21, 2, v19
	v_lshlrev_b32_e32 v22, 2, v4
	v_add_co_ci_u32_e64 v16, null, 0, 0, s3
	v_add_co_u32 v17, s3, v4, 2
	s_delay_alu instid0(VALU_DEP_1) | instskip(SKIP_1) | instid1(VALU_DEP_1)
	v_add_co_ci_u32_e64 v18, null, 0, 0, s3
	v_add_co_u32 v19, s3, v4, 1
	v_add_co_ci_u32_e64 v20, null, 0, 0, s3
	v_add3_u32 v30, v21, v22, 0x80
	s_mul_i32 s3, s20, s13
	s_delay_alu instid0(SALU_CYCLE_1)
	s_lshl_b32 s28, s3, 2
	s_branch .LBB89_30
.LBB89_28:                              ;   in Loop: Header=BB89_30 Depth=1
	s_or_b32 exec_lo, exec_lo, s3
	v_mov_b32_e32 v22, s25
	flat_load_b32 v21, v[21:22] glc dlc
	s_waitcnt vmcnt(0)
.LBB89_29:                              ;   in Loop: Header=BB89_30 Depth=1
	s_or_b32 exec_lo, exec_lo, s24
	s_add_u32 s22, s22, 1
	v_add_nc_u32_e32 v30, s28, v30
	s_addc_u32 s23, s23, 0
	s_delay_alu instid0(SALU_CYCLE_1)
	s_cmp_eq_u64 s[22:23], s[8:9]
	s_cbranch_scc1 .LBB89_46
.LBB89_30:                              ; =>This Loop Header: Depth=1
                                        ;     Child Loop BB89_33 Depth 2
	s_waitcnt lgkmcnt(0)
	v_mad_u64_u32 v[21:22], null, s22, s13, v[9:10]
	s_mov_b32 s24, exec_lo
	s_delay_alu instid0(VALU_DEP_1) | instskip(NEXT) | instid1(VALU_DEP_1)
	v_mad_u64_u32 v[23:24], null, s23, s13, v[22:23]
	v_mov_b32_e32 v22, v23
	s_delay_alu instid0(VALU_DEP_1)
	v_cmpx_gt_i64_e64 s[16:17], v[21:22]
	s_cbranch_execz .LBB89_29
; %bb.31:                               ;   in Loop: Header=BB89_30 Depth=1
	v_mul_lo_u32 v24, v22, s20
	v_mul_lo_u32 v25, v21, s21
	v_mad_u64_u32 v[22:23], null, v21, s20, 0
	s_delay_alu instid0(VALU_DEP_1) | instskip(NEXT) | instid1(VALU_DEP_2)
	v_add3_u32 v23, v23, v25, v24
	v_add_co_u32 v24, vcc_lo, v22, s20
	v_add_co_u32 v31, s3, v22, v4
	s_delay_alu instid0(VALU_DEP_3) | instskip(SKIP_2) | instid1(VALU_DEP_2)
	v_add_co_ci_u32_e32 v25, vcc_lo, s21, v23, vcc_lo
	v_add_co_ci_u32_e64 v21, s3, 0, v23, s3
	s_mov_b32 s3, exec_lo
	v_cmp_gt_i64_e32 vcc_lo, s[18:19], v[24:25]
	v_cndmask_b32_e32 v25, s19, v25, vcc_lo
	v_cndmask_b32_e32 v24, s18, v24, vcc_lo
	v_add_co_u32 v26, vcc_lo, v31, 32
	v_add_co_ci_u32_e32 v27, vcc_lo, 0, v21, vcc_lo
	v_lshlrev_b32_e32 v21, 2, v31
	s_delay_alu instid0(VALU_DEP_2)
	v_cmpx_lt_i64_e64 v[26:27], v[24:25]
	s_cbranch_execz .LBB89_34
; %bb.32:                               ;   in Loop: Header=BB89_30 Depth=1
	ds_load_b32 v33, v21
	v_mov_b32_e32 v32, v30
	s_mov_b32 s29, 0
.LBB89_33:                              ;   Parent Loop BB89_30 Depth=1
                                        ; =>  This Inner Loop Header: Depth=2
	ds_load_b32 v34, v32
	v_add_co_u32 v26, vcc_lo, v26, 32
	v_add_co_ci_u32_e32 v27, vcc_lo, 0, v27, vcc_lo
	s_waitcnt lgkmcnt(1)
	v_dual_max_f32 v33, v33, v33 :: v_dual_add_nc_u32 v32, 0x80, v32
	s_delay_alu instid0(VALU_DEP_2) | instskip(SKIP_3) | instid1(VALU_DEP_1)
	v_cmp_ge_i64_e32 vcc_lo, v[26:27], v[24:25]
	s_or_b32 s29, vcc_lo, s29
	s_waitcnt lgkmcnt(0)
	v_max_f32_e32 v34, v34, v34
	v_max_f32_e32 v33, v33, v34
	ds_store_b32 v21, v33
	s_and_not1_b32 exec_lo, exec_lo, s29
	s_cbranch_execnz .LBB89_33
.LBB89_34:                              ;   in Loop: Header=BB89_30 Depth=1
	s_or_b32 exec_lo, exec_lo, s3
	v_sub_co_u32 v22, vcc_lo, v24, v22
	v_sub_co_ci_u32_e32 v23, vcc_lo, v25, v23, vcc_lo
	s_mov_b32 s3, exec_lo
	s_delay_alu instid0(VALU_DEP_1) | instskip(SKIP_1) | instid1(VALU_DEP_1)
	v_cmp_gt_i64_e32 vcc_lo, 32, v[22:23]
	v_dual_cndmask_b32 v24, 0, v23 :: v_dual_cndmask_b32 v23, 32, v22
	v_cmpx_lt_i64_e64 v[11:12], v[23:24]
	s_cbranch_execz .LBB89_36
; %bb.35:                               ;   in Loop: Header=BB89_30 Depth=1
	v_dual_mov_b32 v22, s25 :: v_dual_add_nc_u32 v25, 64, v21
	v_mov_b32_e32 v26, s25
	flat_load_b32 v27, v[21:22] glc dlc
	s_waitcnt vmcnt(0)
	flat_load_b32 v25, v[25:26] glc dlc
	s_waitcnt vmcnt(0) lgkmcnt(0)
	v_dual_max_f32 v26, v27, v27 :: v_dual_max_f32 v25, v25, v25
	s_delay_alu instid0(VALU_DEP_1)
	v_max_f32_e32 v25, v26, v25
	flat_store_b32 v[21:22], v25 dlc
	s_waitcnt_vscnt null, 0x0
.LBB89_36:                              ;   in Loop: Header=BB89_30 Depth=1
	s_or_b32 exec_lo, exec_lo, s3
	s_delay_alu instid0(SALU_CYCLE_1)
	s_mov_b32 s3, exec_lo
	v_cmpx_lt_i64_e64 v[13:14], v[23:24]
	s_cbranch_execz .LBB89_38
; %bb.37:                               ;   in Loop: Header=BB89_30 Depth=1
	v_dual_mov_b32 v22, s25 :: v_dual_add_nc_u32 v25, 32, v21
	v_mov_b32_e32 v26, s25
	flat_load_b32 v27, v[21:22] glc dlc
	s_waitcnt vmcnt(0)
	flat_load_b32 v25, v[25:26] glc dlc
	s_waitcnt vmcnt(0) lgkmcnt(0)
	v_dual_max_f32 v26, v27, v27 :: v_dual_max_f32 v25, v25, v25
	s_delay_alu instid0(VALU_DEP_1)
	v_max_f32_e32 v25, v26, v25
	flat_store_b32 v[21:22], v25 dlc
	s_waitcnt_vscnt null, 0x0
.LBB89_38:                              ;   in Loop: Header=BB89_30 Depth=1
	s_or_b32 exec_lo, exec_lo, s3
	s_delay_alu instid0(SALU_CYCLE_1)
	s_mov_b32 s3, exec_lo
	v_cmpx_ge_i64_e64 v[15:16], v[23:24]
	s_xor_b32 s3, exec_lo, s3
; %bb.39:                               ;   in Loop: Header=BB89_30 Depth=1
                                        ; implicit-def: $vgpr21
; %bb.40:                               ;   in Loop: Header=BB89_30 Depth=1
	s_delay_alu instid0(SALU_CYCLE_1)
	s_and_not1_saveexec_b32 s3, s3
	s_cbranch_execz .LBB89_42
; %bb.41:                               ;   in Loop: Header=BB89_30 Depth=1
	v_dual_mov_b32 v22, s25 :: v_dual_add_nc_u32 v25, 16, v21
	v_mov_b32_e32 v26, s25
	flat_load_b32 v27, v[21:22] glc dlc
	s_waitcnt vmcnt(0)
	flat_load_b32 v25, v[25:26] glc dlc
	s_waitcnt vmcnt(0) lgkmcnt(0)
	v_dual_max_f32 v26, v27, v27 :: v_dual_max_f32 v25, v25, v25
	s_delay_alu instid0(VALU_DEP_1)
	v_max_f32_e32 v25, v26, v25
	flat_store_b32 v[21:22], v25 dlc
	s_waitcnt_vscnt null, 0x0
.LBB89_42:                              ;   in Loop: Header=BB89_30 Depth=1
	s_or_b32 exec_lo, exec_lo, s3
	v_lshlrev_b32_e32 v21, 2, v31
	s_mov_b32 s3, exec_lo
	v_cmpx_lt_i64_e64 v[17:18], v[23:24]
	s_cbranch_execz .LBB89_44
; %bb.43:                               ;   in Loop: Header=BB89_30 Depth=1
	s_delay_alu instid0(VALU_DEP_2)
	v_dual_mov_b32 v22, s25 :: v_dual_add_nc_u32 v25, 8, v21
	v_mov_b32_e32 v26, s25
	flat_load_b32 v27, v[21:22] glc dlc
	s_waitcnt vmcnt(0)
	flat_load_b32 v25, v[25:26] glc dlc
	s_waitcnt vmcnt(0) lgkmcnt(0)
	v_dual_max_f32 v26, v27, v27 :: v_dual_max_f32 v25, v25, v25
	s_delay_alu instid0(VALU_DEP_1)
	v_max_f32_e32 v25, v26, v25
	flat_store_b32 v[21:22], v25 dlc
	s_waitcnt_vscnt null, 0x0
.LBB89_44:                              ;   in Loop: Header=BB89_30 Depth=1
	s_or_b32 exec_lo, exec_lo, s3
	s_delay_alu instid0(SALU_CYCLE_1)
	s_mov_b32 s3, exec_lo
	v_cmpx_lt_i64_e64 v[19:20], v[23:24]
	s_cbranch_execz .LBB89_28
; %bb.45:                               ;   in Loop: Header=BB89_30 Depth=1
	v_dual_mov_b32 v22, s25 :: v_dual_add_nc_u32 v23, 4, v21
	v_mov_b32_e32 v24, s25
	flat_load_b32 v25, v[21:22] glc dlc
	s_waitcnt vmcnt(0)
	flat_load_b32 v23, v[23:24] glc dlc
	s_waitcnt vmcnt(0) lgkmcnt(0)
	v_dual_max_f32 v24, v25, v25 :: v_dual_max_f32 v23, v23, v23
	s_delay_alu instid0(VALU_DEP_1)
	v_max_f32_e32 v23, v24, v23
	flat_store_b32 v[21:22], v23 dlc
	s_waitcnt_vscnt null, 0x0
	s_branch .LBB89_28
.LBB89_46:
	v_cmp_lt_i64_e32 vcc_lo, v[7:8], v[5:6]
	v_cmp_eq_u32_e64 s3, 0, v3
	s_mul_i32 s13, s17, s15
	s_mul_hi_u32 s17, s16, s15
	s_mul_i32 s8, s16, s15
	s_waitcnt lgkmcnt(0)
	s_and_b32 s9, s3, vcc_lo
	s_barrier
	buffer_gl0_inv
	s_and_saveexec_b32 s3, s9
	s_cbranch_execz .LBB89_50
; %bb.47:
	s_load_b64 s[0:1], s[0:1], 0x20
	ds_load_b32 v3, v29
	s_waitcnt lgkmcnt(0)
	s_cmp_eq_u64 s[0:1], 0
	s_cbranch_scc1 .LBB89_49
; %bb.48:
	s_load_b32 s0, s[0:1], 0x0
	v_max_f32_e32 v3, v3, v3
	s_waitcnt lgkmcnt(0)
	v_max_f32_e64 v4, s0, s0
	s_delay_alu instid0(VALU_DEP_1)
	v_min_f32_e32 v3, v3, v4
.LBB89_49:
	s_delay_alu instid0(VALU_DEP_1) | instskip(SKIP_2) | instid1(VALU_DEP_2)
	v_div_scale_f32 v4, null, 0x42fe0000, 0x42fe0000, v3
	v_div_scale_f32 v7, vcc_lo, v3, 0x42fe0000, v3
	s_add_i32 s9, s17, s13
	v_rcp_f32_e32 v5, v4
	v_lshlrev_b64 v[1:2], 2, v[1:2]
	s_lshl_b64 s[0:1], s[8:9], 2
	s_delay_alu instid0(SALU_CYCLE_1) | instskip(SKIP_3) | instid1(VALU_DEP_1)
	s_add_u32 s0, s6, s0
	s_addc_u32 s1, s7, s1
	s_waitcnt_depctr 0xfff
	v_fma_f32 v6, -v4, v5, 1.0
	v_fmac_f32_e32 v5, v6, v5
	s_delay_alu instid0(VALU_DEP_1) | instskip(NEXT) | instid1(VALU_DEP_1)
	v_mul_f32_e32 v6, v7, v5
	v_fma_f32 v8, -v4, v6, v7
	s_delay_alu instid0(VALU_DEP_1) | instskip(NEXT) | instid1(VALU_DEP_1)
	v_fmac_f32_e32 v6, v8, v5
	v_fma_f32 v4, -v4, v6, v7
	s_delay_alu instid0(VALU_DEP_1) | instskip(SKIP_2) | instid1(VALU_DEP_3)
	v_div_fmas_f32 v4, v4, v5, v6
	v_add_co_u32 v1, vcc_lo, s0, v1
	v_add_co_ci_u32_e32 v2, vcc_lo, s1, v2, vcc_lo
	v_div_fixup_f32 v3, v4, 0x42fe0000, v3
	s_delay_alu instid0(VALU_DEP_1)
	v_max_f32_e32 v3, 0x34000000, v3
	global_store_b32 v[1:2], v3, off
.LBB89_50:
	s_or_b32 exec_lo, exec_lo, s3
	s_waitcnt_vscnt null, 0x0
	s_barrier
	buffer_gl0_inv
	s_and_saveexec_b32 s0, s2
	s_cbranch_execz .LBB89_59
; %bb.51:
	s_mul_i32 s0, s19, s15
	s_mul_hi_u32 s1, s18, s15
	s_mul_i32 s2, s18, s15
	s_add_i32 s0, s1, s0
	s_add_u32 s1, s4, s2
	s_addc_u32 s4, s5, s0
	s_add_i32 s9, s17, s13
	v_mov_b32_e32 v1, 0
	s_lshl_b64 s[2:3], s[8:9], 2
	s_mul_i32 s5, s27, 3
	s_add_u32 s2, s6, s2
	s_addc_u32 s3, s7, s3
	s_lshl_b32 s6, s27, 1
	s_mov_b32 s7, 0
	s_add_i32 s8, s27, s27
                                        ; implicit-def: $sgpr9
	s_branch .LBB89_55
.LBB89_52:                              ;   in Loop: Header=BB89_55 Depth=1
	s_or_b32 exec_lo, exec_lo, s16
	s_delay_alu instid0(SALU_CYCLE_1)
	s_or_not1_b32 s0, s0, exec_lo
.LBB89_53:                              ;   in Loop: Header=BB89_55 Depth=1
	s_or_b32 exec_lo, exec_lo, s15
	s_delay_alu instid0(SALU_CYCLE_1) | instskip(SKIP_1) | instid1(SALU_CYCLE_1)
	s_and_not1_b32 s9, s9, exec_lo
	s_and_b32 s0, s0, exec_lo
	s_or_b32 s9, s9, s0
.LBB89_54:                              ;   in Loop: Header=BB89_55 Depth=1
	s_or_b32 exec_lo, exec_lo, s13
	s_delay_alu instid0(SALU_CYCLE_1) | instskip(NEXT) | instid1(SALU_CYCLE_1)
	s_and_b32 s0, exec_lo, s9
	s_or_b32 s7, s0, s7
	s_delay_alu instid0(SALU_CYCLE_1)
	s_and_not1_b32 exec_lo, exec_lo, s7
	s_cbranch_execz .LBB89_59
.LBB89_55:                              ; =>This Inner Loop Header: Depth=1
	v_lshlrev_b64 v[2:3], 3, v[0:1]
	v_lshrrev_b32_e32 v4, 2, v0
	s_or_b32 s9, s9, exec_lo
	s_mov_b32 s13, exec_lo
	s_delay_alu instid0(VALU_DEP_1) | instskip(NEXT) | instid1(VALU_DEP_3)
	v_and_b32_e32 v6, 0xffffffc, v4
	v_add_co_u32 v4, vcc_lo, s14, v2
	v_add_co_ci_u32_e32 v5, vcc_lo, s26, v3, vcc_lo
	v_add_co_u32 v2, vcc_lo, s10, v2
	v_add_co_ci_u32_e32 v3, vcc_lo, s11, v3, vcc_lo
	global_load_b32 v6, v6, s[2:3]
	global_load_b64 v[4:5], v[4:5], off
	global_load_b64 v[2:3], v[2:3], off
	s_waitcnt vmcnt(2)
	v_div_scale_f32 v7, null, v6, v6, 1.0
	s_waitcnt vmcnt(1)
	v_lshlrev_b32_e32 v11, 16, v4
	v_div_scale_f32 v8, vcc_lo, 1.0, v6, 1.0
	s_delay_alu instid0(VALU_DEP_3) | instskip(NEXT) | instid1(VALU_DEP_2)
	v_rcp_f32_e32 v13, v7
	v_mul_f32_e32 v11, v28, v11
	s_delay_alu instid0(VALU_DEP_1) | instskip(SKIP_4) | instid1(VALU_DEP_1)
	v_bfe_u32 v14, v11, 16, 1
	v_cmp_o_f32_e64 s0, v11, v11
	s_waitcnt_depctr 0xfff
	v_fma_f32 v17, -v7, v13, 1.0
	v_add3_u32 v14, v11, v14, 0x7fff
	v_dual_fmac_f32 v13, v17, v13 :: v_dual_and_b32 v14, 0xffff0000, v14
	v_and_b32_e32 v9, 0xffff0000, v4
	v_alignbit_b32 v4, v5, v4, 16
	s_delay_alu instid0(VALU_DEP_3) | instskip(NEXT) | instid1(VALU_DEP_2)
	v_cndmask_b32_e64 v11, 0x7fc00000, v14, s0
	v_and_b32_e32 v4, 0xffff0000, v4
	s_delay_alu instid0(VALU_DEP_1) | instskip(SKIP_1) | instid1(VALU_DEP_1)
	v_dual_mul_f32 v4, v28, v4 :: v_dual_and_b32 v5, 0xffff0000, v5
	s_waitcnt vmcnt(0)
	v_dual_mul_f32 v5, v28, v5 :: v_dual_lshlrev_b32 v12, 16, v2
	s_delay_alu instid0(VALU_DEP_2) | instskip(NEXT) | instid1(VALU_DEP_2)
	v_bfe_u32 v18, v4, 16, 1
	v_mul_f32_e32 v11, v11, v12
	s_delay_alu instid0(VALU_DEP_3) | instskip(NEXT) | instid1(VALU_DEP_3)
	v_bfe_u32 v16, v5, 16, 1
	v_add3_u32 v17, v4, v18, 0x7fff
	v_mul_f32_e32 v18, v8, v13
	v_dual_mul_f32 v9, v28, v9 :: v_dual_and_b32 v10, 0xffff0000, v2
	s_delay_alu instid0(VALU_DEP_4) | instskip(NEXT) | instid1(VALU_DEP_4)
	v_add3_u32 v16, v5, v16, 0x7fff
	v_and_b32_e32 v14, 0xffff0000, v17
	v_alignbit_b32 v2, v3, v2, 16
	s_delay_alu instid0(VALU_DEP_4) | instskip(SKIP_2) | instid1(VALU_DEP_4)
	v_bfe_u32 v15, v9, 16, 1
	v_cmp_o_f32_e64 s0, v9, v9
	v_and_b32_e32 v16, 0xffff0000, v16
	v_and_b32_e32 v2, 0xffff0000, v2
	s_delay_alu instid0(VALU_DEP_4) | instskip(NEXT) | instid1(VALU_DEP_1)
	v_add3_u32 v15, v9, v15, 0x7fff
	v_and_b32_e32 v15, 0xffff0000, v15
	s_delay_alu instid0(VALU_DEP_1) | instskip(SKIP_1) | instid1(VALU_DEP_2)
	v_cndmask_b32_e64 v9, 0x7fc00000, v15, s0
	v_cmp_o_f32_e64 s0, v5, v5
	v_mul_f32_e32 v9, v9, v10
	s_delay_alu instid0(VALU_DEP_2) | instskip(SKIP_1) | instid1(VALU_DEP_1)
	v_cndmask_b32_e64 v5, 0x7fc00000, v16, s0
	v_cmp_o_f32_e64 s0, v4, v4
	v_cndmask_b32_e64 v4, 0x7fc00000, v14, s0
	v_fma_f32 v14, -v7, v18, v8
	s_delay_alu instid0(VALU_DEP_2) | instskip(NEXT) | instid1(VALU_DEP_1)
	v_dual_mul_f32 v2, v4, v2 :: v_dual_and_b32 v3, 0xffff0000, v3
	v_dual_fmac_f32 v18, v14, v13 :: v_dual_mul_f32 v3, v5, v3
	v_bfe_u32 v4, v11, 16, 1
	v_bfe_u32 v5, v9, 16, 1
	s_delay_alu instid0(VALU_DEP_4) | instskip(NEXT) | instid1(VALU_DEP_4)
	v_bfe_u32 v12, v2, 16, 1
	v_fma_f32 v7, -v7, v18, v8
	v_bfe_u32 v10, v3, 16, 1
	v_add3_u32 v4, v11, v4, 0x7fff
	v_add3_u32 v5, v9, v5, 0x7fff
	s_delay_alu instid0(VALU_DEP_4) | instskip(NEXT) | instid1(VALU_DEP_4)
	v_div_fmas_f32 v7, v7, v13, v18
	v_add3_u32 v8, v3, v10, 0x7fff
	v_add3_u32 v10, v2, v12, 0x7fff
	v_cmp_o_f32_e32 vcc_lo, v11, v11
	s_delay_alu instid0(VALU_DEP_4) | instskip(SKIP_1) | instid1(VALU_DEP_4)
	v_div_fixup_f32 v6, v7, v6, 1.0
	v_and_b32_e32 v4, 0xffff0000, v4
	v_and_b32_e32 v10, 0xffff0000, v10
	;; [unrolled: 1-line block ×3, first 2 shown]
	s_delay_alu instid0(VALU_DEP_3) | instskip(SKIP_1) | instid1(VALU_DEP_2)
	v_cndmask_b32_e32 v4, 0x7fc00000, v4, vcc_lo
	v_cmp_o_f32_e32 vcc_lo, v2, v2
	v_dual_mul_f32 v4, v6, v4 :: v_dual_and_b32 v5, 0xffff0000, v5
	v_cndmask_b32_e32 v2, 0x7fc00000, v10, vcc_lo
	v_cmp_o_f32_e32 vcc_lo, v9, v9
	s_delay_alu instid0(VALU_DEP_3) | instskip(NEXT) | instid1(VALU_DEP_3)
	v_rndne_f32_e32 v4, v4
	v_dual_mul_f32 v2, v6, v2 :: v_dual_cndmask_b32 v5, 0x7fc00000, v5
	v_cmp_o_f32_e32 vcc_lo, v3, v3
	s_delay_alu instid0(VALU_DEP_2) | instskip(NEXT) | instid1(VALU_DEP_3)
	v_rndne_f32_e32 v2, v2
	v_mul_f32_e32 v5, v6, v5
	v_cndmask_b32_e32 v3, 0x7fc00000, v8, vcc_lo
	s_delay_alu instid0(VALU_DEP_3) | instskip(NEXT) | instid1(VALU_DEP_3)
	v_cmp_nlt_f32_e32 vcc_lo, 0x42fe0000, v2
	v_rndne_f32_e32 v5, v5
	s_delay_alu instid0(VALU_DEP_3) | instskip(SKIP_1) | instid1(VALU_DEP_2)
	v_dual_mul_f32 v3, v6, v3 :: v_dual_cndmask_b32 v6, 0x42fe0000, v2
	v_cmp_nlt_f32_e32 vcc_lo, 0x42fe0000, v4
	v_rndne_f32_e32 v3, v3
	v_cndmask_b32_e32 v7, 0x42fe0000, v4, vcc_lo
	v_cmp_nlt_f32_e32 vcc_lo, 0x42fe0000, v5
	v_cndmask_b32_e32 v8, 0x42fe0000, v5, vcc_lo
	v_cmp_ngt_f32_e32 vcc_lo, 0xc3000000, v2
	v_cndmask_b32_e32 v2, 0xc3000000, v6, vcc_lo
	v_cmp_nlt_f32_e32 vcc_lo, 0x42fe0000, v3
	s_delay_alu instid0(VALU_DEP_2) | instskip(SKIP_2) | instid1(VALU_DEP_3)
	v_cvt_i32_f32_e32 v2, v2
	v_cndmask_b32_e32 v6, 0x42fe0000, v3, vcc_lo
	v_cmp_ngt_f32_e32 vcc_lo, 0xc3000000, v5
	v_and_b32_e32 v2, 0xff, v2
	v_cndmask_b32_e32 v5, 0xc3000000, v8, vcc_lo
	v_cmp_ngt_f32_e32 vcc_lo, 0xc3000000, v4
	s_delay_alu instid0(VALU_DEP_3) | instskip(NEXT) | instid1(VALU_DEP_3)
	v_lshlrev_b32_e32 v2, 16, v2
	v_cvt_i32_f32_e32 v5, v5
	v_cndmask_b32_e32 v4, 0xc3000000, v7, vcc_lo
	v_cmp_ngt_f32_e32 vcc_lo, 0xc3000000, v3
	s_delay_alu instid0(VALU_DEP_3) | instskip(SKIP_1) | instid1(VALU_DEP_4)
	v_and_b32_e32 v5, 0xff, v5
	v_cndmask_b32_e32 v3, 0xc3000000, v6, vcc_lo
	v_cvt_i32_f32_e32 v6, v4
	s_delay_alu instid0(VALU_DEP_3) | instskip(NEXT) | instid1(VALU_DEP_3)
	v_lshlrev_b32_e32 v5, 8, v5
	v_cvt_i32_f32_e32 v7, v3
	v_lshlrev_b64 v[3:4], 2, v[0:1]
	s_delay_alu instid0(VALU_DEP_4) | instskip(NEXT) | instid1(VALU_DEP_3)
	v_and_b32_e32 v6, 0xff, v6
	v_lshl_or_b32 v7, v7, 24, v2
	v_add_nc_u32_e32 v2, s27, v0
	s_delay_alu instid0(VALU_DEP_4) | instskip(SKIP_1) | instid1(VALU_DEP_4)
	v_add_co_u32 v3, vcc_lo, s1, v3
	v_add_co_ci_u32_e32 v4, vcc_lo, s4, v4, vcc_lo
	v_or3_b32 v5, v7, v5, v6
	global_store_b32 v[3:4], v5, off
	v_cmpx_gt_u32_e64 s12, v2
	s_cbranch_execz .LBB89_54
; %bb.56:                               ;   in Loop: Header=BB89_55 Depth=1
	v_lshrrev_b32_e32 v4, 2, v2
	v_mov_b32_e32 v3, v1
	s_mov_b32 s15, exec_lo
	s_delay_alu instid0(VALU_DEP_2) | instskip(NEXT) | instid1(VALU_DEP_2)
	v_and_b32_e32 v6, 0xffffffc, v4
	v_lshlrev_b64 v[4:5], 3, v[2:3]
	global_load_b32 v8, v6, s[2:3]
	v_add_co_u32 v6, vcc_lo, s14, v4
	v_add_co_ci_u32_e32 v7, vcc_lo, s26, v5, vcc_lo
	v_add_co_u32 v4, vcc_lo, s10, v4
	v_add_co_ci_u32_e32 v5, vcc_lo, s11, v5, vcc_lo
	global_load_b64 v[6:7], v[6:7], off
	global_load_b64 v[4:5], v[4:5], off
	s_waitcnt vmcnt(2)
	v_div_scale_f32 v9, null, v8, v8, 1.0
	v_div_scale_f32 v10, vcc_lo, 1.0, v8, 1.0
	s_delay_alu instid0(VALU_DEP_2)
	v_rcp_f32_e32 v11, v9
	s_waitcnt vmcnt(1)
	v_and_b32_e32 v12, 0xffff0000, v6
	s_waitcnt_depctr 0xfff
	v_fma_f32 v16, -v9, v11, 1.0
	v_lshlrev_b32_e32 v14, 16, v6
	v_alignbit_b32 v6, v7, v6, 16
	v_and_b32_e32 v7, 0xffff0000, v7
	s_delay_alu instid0(VALU_DEP_4) | instskip(SKIP_2) | instid1(VALU_DEP_3)
	v_fmac_f32_e32 v11, v16, v11
	s_waitcnt vmcnt(0)
	v_dual_mul_f32 v14, v28, v14 :: v_dual_and_b32 v13, 0xffff0000, v4
	v_mul_f32_e32 v7, v28, v7
	v_mul_f32_e32 v12, v28, v12
	;; [unrolled: 1-line block ×3, first 2 shown]
	s_delay_alu instid0(VALU_DEP_4) | instskip(NEXT) | instid1(VALU_DEP_4)
	v_bfe_u32 v17, v14, 16, 1
	v_bfe_u32 v19, v7, 16, 1
	s_delay_alu instid0(VALU_DEP_4)
	v_bfe_u32 v18, v12, 16, 1
	v_cmp_o_f32_e64 s0, v14, v14
	v_fma_f32 v21, -v9, v20, v10
	v_add3_u32 v16, v14, v17, 0x7fff
	v_add3_u32 v19, v7, v19, 0x7fff
	;; [unrolled: 1-line block ×3, first 2 shown]
	s_delay_alu instid0(VALU_DEP_4) | instskip(NEXT) | instid1(VALU_DEP_4)
	v_fmac_f32_e32 v20, v21, v11
	v_and_b32_e32 v16, 0xffff0000, v16
	s_delay_alu instid0(VALU_DEP_3) | instskip(NEXT) | instid1(VALU_DEP_2)
	v_and_b32_e32 v17, 0xffff0000, v17
	v_cndmask_b32_e64 v14, 0x7fc00000, v16, s0
	v_cmp_o_f32_e64 s0, v12, v12
	s_delay_alu instid0(VALU_DEP_1) | instskip(SKIP_2) | instid1(VALU_DEP_3)
	v_cndmask_b32_e64 v12, 0x7fc00000, v17, s0
	v_and_b32_e32 v19, 0xffff0000, v19
	v_cmp_o_f32_e64 s0, v7, v7
	v_mul_f32_e32 v12, v12, v13
	s_delay_alu instid0(VALU_DEP_2) | instskip(SKIP_4) | instid1(VALU_DEP_1)
	v_cndmask_b32_e64 v7, 0x7fc00000, v19, s0
	v_and_b32_e32 v6, 0xffff0000, v6
	v_lshlrev_b32_e32 v15, 16, v4
	v_alignbit_b32 v4, v5, v4, 16
	v_and_b32_e32 v5, 0xffff0000, v5
	v_dual_mul_f32 v5, v7, v5 :: v_dual_and_b32 v4, 0xffff0000, v4
	v_mul_f32_e32 v6, v28, v6
	s_delay_alu instid0(VALU_DEP_1) | instskip(SKIP_1) | instid1(VALU_DEP_2)
	v_bfe_u32 v18, v6, 16, 1
	v_cmp_o_f32_e64 s0, v6, v6
	v_add3_u32 v18, v6, v18, 0x7fff
	s_delay_alu instid0(VALU_DEP_1) | instskip(NEXT) | instid1(VALU_DEP_1)
	v_and_b32_e32 v16, 0xffff0000, v18
	v_cndmask_b32_e64 v6, 0x7fc00000, v16, s0
	s_mov_b32 s0, -1
	s_delay_alu instid0(VALU_DEP_1) | instskip(SKIP_3) | instid1(VALU_DEP_3)
	v_mul_f32_e32 v4, v6, v4
	v_fma_f32 v6, -v9, v20, v10
	v_bfe_u32 v10, v5, 16, 1
	v_bfe_u32 v9, v12, 16, 1
	v_div_fmas_f32 v6, v6, v11, v20
	s_delay_alu instid0(VALU_DEP_3) | instskip(NEXT) | instid1(VALU_DEP_3)
	v_add3_u32 v10, v5, v10, 0x7fff
	v_add3_u32 v9, v12, v9, 0x7fff
	s_delay_alu instid0(VALU_DEP_3) | instskip(NEXT) | instid1(VALU_DEP_3)
	v_div_fixup_f32 v6, v6, v8, 1.0
	v_and_b32_e32 v10, 0xffff0000, v10
	v_mul_f32_e32 v14, v14, v15
	s_delay_alu instid0(VALU_DEP_4) | instskip(NEXT) | instid1(VALU_DEP_2)
	v_and_b32_e32 v8, 0xffff0000, v9
	v_bfe_u32 v7, v14, 16, 1
	v_cmp_o_f32_e32 vcc_lo, v14, v14
	s_delay_alu instid0(VALU_DEP_2) | instskip(NEXT) | instid1(VALU_DEP_1)
	v_add3_u32 v7, v14, v7, 0x7fff
	v_and_b32_e32 v7, 0xffff0000, v7
	v_bfe_u32 v13, v4, 16, 1
	s_delay_alu instid0(VALU_DEP_2) | instskip(NEXT) | instid1(VALU_DEP_2)
	v_cndmask_b32_e32 v7, 0x7fc00000, v7, vcc_lo
	v_add3_u32 v11, v4, v13, 0x7fff
	v_cmp_o_f32_e32 vcc_lo, v4, v4
	s_delay_alu instid0(VALU_DEP_2) | instskip(NEXT) | instid1(VALU_DEP_1)
	v_and_b32_e32 v9, 0xffff0000, v11
	v_cndmask_b32_e32 v4, 0x7fc00000, v9, vcc_lo
	v_cmp_o_f32_e32 vcc_lo, v12, v12
	s_delay_alu instid0(VALU_DEP_2) | instskip(SKIP_2) | instid1(VALU_DEP_3)
	v_mul_f32_e32 v4, v6, v4
	v_cndmask_b32_e32 v8, 0x7fc00000, v8, vcc_lo
	v_cmp_o_f32_e32 vcc_lo, v5, v5
	v_rndne_f32_e32 v4, v4
	s_delay_alu instid0(VALU_DEP_3) | instskip(SKIP_1) | instid1(VALU_DEP_3)
	v_dual_mul_f32 v8, v6, v8 :: v_dual_cndmask_b32 v5, 0x7fc00000, v10
	v_mul_f32_e32 v7, v6, v7
	v_cmp_nlt_f32_e32 vcc_lo, 0x42fe0000, v4
	s_delay_alu instid0(VALU_DEP_3) | instskip(NEXT) | instid1(VALU_DEP_3)
	v_mul_f32_e32 v5, v6, v5
	v_rndne_f32_e32 v6, v7
	v_rndne_f32_e32 v7, v8
	v_cndmask_b32_e32 v8, 0x42fe0000, v4, vcc_lo
	s_delay_alu instid0(VALU_DEP_4) | instskip(NEXT) | instid1(VALU_DEP_4)
	v_rndne_f32_e32 v5, v5
	v_cmp_nlt_f32_e32 vcc_lo, 0x42fe0000, v6
	v_cndmask_b32_e32 v9, 0x42fe0000, v6, vcc_lo
	v_cmp_nlt_f32_e32 vcc_lo, 0x42fe0000, v7
	v_cndmask_b32_e32 v10, 0x42fe0000, v7, vcc_lo
	v_cmp_ngt_f32_e32 vcc_lo, 0xc3000000, v4
	v_cndmask_b32_e32 v4, 0xc3000000, v8, vcc_lo
	v_cmp_nlt_f32_e32 vcc_lo, 0x42fe0000, v5
	s_delay_alu instid0(VALU_DEP_2) | instskip(SKIP_2) | instid1(VALU_DEP_3)
	v_cvt_i32_f32_e32 v4, v4
	v_cndmask_b32_e32 v8, 0x42fe0000, v5, vcc_lo
	v_cmp_ngt_f32_e32 vcc_lo, 0xc3000000, v7
	v_and_b32_e32 v4, 0xff, v4
	v_cndmask_b32_e32 v7, 0xc3000000, v10, vcc_lo
	v_cmp_ngt_f32_e32 vcc_lo, 0xc3000000, v6
	s_delay_alu instid0(VALU_DEP_2) | instskip(NEXT) | instid1(VALU_DEP_4)
	v_cvt_i32_f32_e32 v7, v7
	v_dual_cndmask_b32 v6, 0xc3000000, v9 :: v_dual_lshlrev_b32 v9, 16, v4
	v_cmp_ngt_f32_e32 vcc_lo, 0xc3000000, v5
	s_delay_alu instid0(VALU_DEP_3) | instskip(NEXT) | instid1(VALU_DEP_3)
	v_and_b32_e32 v7, 0xff, v7
	v_cvt_i32_f32_e32 v6, v6
	v_cndmask_b32_e32 v5, 0xc3000000, v8, vcc_lo
	s_delay_alu instid0(VALU_DEP_3) | instskip(NEXT) | instid1(VALU_DEP_3)
	v_lshlrev_b32_e32 v7, 8, v7
	v_and_b32_e32 v6, 0xff, v6
	s_delay_alu instid0(VALU_DEP_3) | instskip(SKIP_2) | instid1(VALU_DEP_3)
	v_cvt_i32_f32_e32 v8, v5
	v_lshlrev_b64 v[4:5], 2, v[2:3]
	v_add_nc_u32_e32 v3, s6, v0
	v_lshl_or_b32 v8, v8, 24, v9
	s_delay_alu instid0(VALU_DEP_3) | instskip(NEXT) | instid1(VALU_DEP_4)
	v_add_co_u32 v4, vcc_lo, s1, v4
	v_add_co_ci_u32_e32 v5, vcc_lo, s4, v5, vcc_lo
	s_delay_alu instid0(VALU_DEP_3)
	v_or3_b32 v6, v8, v7, v6
	global_store_b32 v[4:5], v6, off
	v_cmpx_gt_u32_e64 s12, v3
	s_cbranch_execz .LBB89_53
; %bb.57:                               ;   in Loop: Header=BB89_55 Depth=1
	v_lshrrev_b32_e32 v5, 2, v3
	v_mov_b32_e32 v4, v1
	v_add_nc_u32_e32 v0, s5, v0
	s_mov_b32 s16, exec_lo
	s_delay_alu instid0(VALU_DEP_3) | instskip(NEXT) | instid1(VALU_DEP_3)
	v_and_b32_e32 v7, 0xffffffc, v5
	v_lshlrev_b64 v[5:6], 3, v[3:4]
	v_lshlrev_b64 v[3:4], 2, v[3:4]
	global_load_b32 v9, v7, s[2:3]
	v_add_co_u32 v7, vcc_lo, s14, v5
	v_add_co_ci_u32_e32 v8, vcc_lo, s26, v6, vcc_lo
	v_add_co_u32 v5, vcc_lo, s10, v5
	v_add_co_ci_u32_e32 v6, vcc_lo, s11, v6, vcc_lo
	global_load_b64 v[7:8], v[7:8], off
	global_load_b64 v[5:6], v[5:6], off
	s_waitcnt vmcnt(2)
	v_div_scale_f32 v10, null, v9, v9, 1.0
	v_div_scale_f32 v11, vcc_lo, 1.0, v9, 1.0
	s_delay_alu instid0(VALU_DEP_2)
	v_rcp_f32_e32 v12, v10
	s_waitcnt vmcnt(1)
	v_and_b32_e32 v13, 0xffff0000, v7
	s_waitcnt_depctr 0xfff
	v_fma_f32 v17, -v10, v12, 1.0
	v_lshlrev_b32_e32 v15, 16, v7
	v_alignbit_b32 v7, v8, v7, 16
	v_and_b32_e32 v8, 0xffff0000, v8
	s_delay_alu instid0(VALU_DEP_4) | instskip(SKIP_2) | instid1(VALU_DEP_3)
	v_fmac_f32_e32 v12, v17, v12
	s_waitcnt vmcnt(0)
	v_dual_mul_f32 v15, v28, v15 :: v_dual_and_b32 v14, 0xffff0000, v5
	v_mul_f32_e32 v8, v28, v8
	v_mul_f32_e32 v13, v28, v13
	;; [unrolled: 1-line block ×3, first 2 shown]
	s_delay_alu instid0(VALU_DEP_4) | instskip(NEXT) | instid1(VALU_DEP_4)
	v_bfe_u32 v18, v15, 16, 1
	v_bfe_u32 v20, v8, 16, 1
	s_delay_alu instid0(VALU_DEP_4)
	v_bfe_u32 v19, v13, 16, 1
	v_cmp_o_f32_e64 s0, v15, v15
	v_fma_f32 v22, -v10, v21, v11
	v_add3_u32 v17, v15, v18, 0x7fff
	v_add3_u32 v20, v8, v20, 0x7fff
	;; [unrolled: 1-line block ×3, first 2 shown]
	s_delay_alu instid0(VALU_DEP_4) | instskip(NEXT) | instid1(VALU_DEP_4)
	v_fmac_f32_e32 v21, v22, v12
	v_and_b32_e32 v17, 0xffff0000, v17
	s_delay_alu instid0(VALU_DEP_3) | instskip(NEXT) | instid1(VALU_DEP_2)
	v_and_b32_e32 v18, 0xffff0000, v18
	v_cndmask_b32_e64 v15, 0x7fc00000, v17, s0
	v_cmp_o_f32_e64 s0, v13, v13
	s_delay_alu instid0(VALU_DEP_1) | instskip(SKIP_2) | instid1(VALU_DEP_3)
	v_cndmask_b32_e64 v13, 0x7fc00000, v18, s0
	v_and_b32_e32 v20, 0xffff0000, v20
	v_cmp_o_f32_e64 s0, v8, v8
	v_mul_f32_e32 v13, v13, v14
	s_delay_alu instid0(VALU_DEP_2) | instskip(SKIP_4) | instid1(VALU_DEP_1)
	v_cndmask_b32_e64 v8, 0x7fc00000, v20, s0
	v_and_b32_e32 v7, 0xffff0000, v7
	v_lshlrev_b32_e32 v16, 16, v5
	v_alignbit_b32 v5, v6, v5, 16
	v_and_b32_e32 v6, 0xffff0000, v6
	v_dual_mul_f32 v6, v8, v6 :: v_dual_and_b32 v5, 0xffff0000, v5
	v_mul_f32_e32 v7, v28, v7
	s_delay_alu instid0(VALU_DEP_1) | instskip(SKIP_1) | instid1(VALU_DEP_2)
	v_bfe_u32 v19, v7, 16, 1
	v_cmp_o_f32_e64 s0, v7, v7
	v_add3_u32 v19, v7, v19, 0x7fff
	s_delay_alu instid0(VALU_DEP_1) | instskip(NEXT) | instid1(VALU_DEP_1)
	v_and_b32_e32 v17, 0xffff0000, v19
	v_cndmask_b32_e64 v7, 0x7fc00000, v17, s0
	s_mov_b32 s0, -1
	s_delay_alu instid0(VALU_DEP_1) | instskip(SKIP_3) | instid1(VALU_DEP_3)
	v_mul_f32_e32 v5, v7, v5
	v_fma_f32 v7, -v10, v21, v11
	v_bfe_u32 v11, v6, 16, 1
	v_bfe_u32 v10, v13, 16, 1
	v_div_fmas_f32 v7, v7, v12, v21
	s_delay_alu instid0(VALU_DEP_3) | instskip(NEXT) | instid1(VALU_DEP_3)
	v_add3_u32 v11, v6, v11, 0x7fff
	v_add3_u32 v10, v13, v10, 0x7fff
	s_delay_alu instid0(VALU_DEP_3) | instskip(NEXT) | instid1(VALU_DEP_3)
	v_div_fixup_f32 v7, v7, v9, 1.0
	v_and_b32_e32 v11, 0xffff0000, v11
	v_mul_f32_e32 v15, v15, v16
	s_delay_alu instid0(VALU_DEP_4) | instskip(NEXT) | instid1(VALU_DEP_2)
	v_and_b32_e32 v9, 0xffff0000, v10
	v_bfe_u32 v8, v15, 16, 1
	v_cmp_o_f32_e32 vcc_lo, v15, v15
	s_delay_alu instid0(VALU_DEP_2) | instskip(NEXT) | instid1(VALU_DEP_1)
	v_add3_u32 v8, v15, v8, 0x7fff
	v_and_b32_e32 v8, 0xffff0000, v8
	v_bfe_u32 v14, v5, 16, 1
	s_delay_alu instid0(VALU_DEP_2) | instskip(NEXT) | instid1(VALU_DEP_2)
	v_cndmask_b32_e32 v8, 0x7fc00000, v8, vcc_lo
	v_add3_u32 v12, v5, v14, 0x7fff
	v_cmp_o_f32_e32 vcc_lo, v5, v5
	s_delay_alu instid0(VALU_DEP_2) | instskip(NEXT) | instid1(VALU_DEP_1)
	v_and_b32_e32 v10, 0xffff0000, v12
	v_cndmask_b32_e32 v5, 0x7fc00000, v10, vcc_lo
	v_cmp_o_f32_e32 vcc_lo, v13, v13
	s_delay_alu instid0(VALU_DEP_2) | instskip(SKIP_2) | instid1(VALU_DEP_3)
	v_mul_f32_e32 v5, v7, v5
	v_cndmask_b32_e32 v9, 0x7fc00000, v9, vcc_lo
	v_cmp_o_f32_e32 vcc_lo, v6, v6
	v_rndne_f32_e32 v5, v5
	s_delay_alu instid0(VALU_DEP_3) | instskip(SKIP_1) | instid1(VALU_DEP_3)
	v_dual_mul_f32 v9, v7, v9 :: v_dual_cndmask_b32 v6, 0x7fc00000, v11
	v_mul_f32_e32 v8, v7, v8
	v_cmp_nlt_f32_e32 vcc_lo, 0x42fe0000, v5
	s_delay_alu instid0(VALU_DEP_3) | instskip(NEXT) | instid1(VALU_DEP_3)
	v_mul_f32_e32 v6, v7, v6
	v_rndne_f32_e32 v7, v8
	v_rndne_f32_e32 v8, v9
	v_cndmask_b32_e32 v9, 0x42fe0000, v5, vcc_lo
	s_delay_alu instid0(VALU_DEP_4) | instskip(NEXT) | instid1(VALU_DEP_4)
	v_rndne_f32_e32 v6, v6
	v_cmp_nlt_f32_e32 vcc_lo, 0x42fe0000, v7
	v_cndmask_b32_e32 v10, 0x42fe0000, v7, vcc_lo
	v_cmp_nlt_f32_e32 vcc_lo, 0x42fe0000, v8
	v_cndmask_b32_e32 v11, 0x42fe0000, v8, vcc_lo
	v_cmp_ngt_f32_e32 vcc_lo, 0xc3000000, v5
	v_cndmask_b32_e32 v5, 0xc3000000, v9, vcc_lo
	v_cmp_nlt_f32_e32 vcc_lo, 0x42fe0000, v6
	s_delay_alu instid0(VALU_DEP_2) | instskip(SKIP_2) | instid1(VALU_DEP_3)
	v_cvt_i32_f32_e32 v5, v5
	v_cndmask_b32_e32 v9, 0x42fe0000, v6, vcc_lo
	v_cmp_ngt_f32_e32 vcc_lo, 0xc3000000, v8
	v_and_b32_e32 v5, 0xff, v5
	v_cndmask_b32_e32 v8, 0xc3000000, v11, vcc_lo
	v_cmp_ngt_f32_e32 vcc_lo, 0xc3000000, v7
	s_delay_alu instid0(VALU_DEP_3) | instskip(NEXT) | instid1(VALU_DEP_3)
	v_lshlrev_b32_e32 v5, 16, v5
	v_cvt_i32_f32_e32 v8, v8
	v_cndmask_b32_e32 v7, 0xc3000000, v10, vcc_lo
	v_cmp_ngt_f32_e32 vcc_lo, 0xc3000000, v6
	s_delay_alu instid0(VALU_DEP_3) | instskip(NEXT) | instid1(VALU_DEP_3)
	v_and_b32_e32 v8, 0xff, v8
	v_cvt_i32_f32_e32 v7, v7
	v_cndmask_b32_e32 v6, 0xc3000000, v9, vcc_lo
	v_add_co_u32 v3, vcc_lo, s1, v3
	s_delay_alu instid0(VALU_DEP_4) | instskip(NEXT) | instid1(VALU_DEP_4)
	v_lshlrev_b32_e32 v8, 8, v8
	v_and_b32_e32 v7, 0xff, v7
	s_delay_alu instid0(VALU_DEP_4) | instskip(SKIP_1) | instid1(VALU_DEP_2)
	v_cvt_i32_f32_e32 v6, v6
	v_add_co_ci_u32_e32 v4, vcc_lo, s4, v4, vcc_lo
	v_lshl_or_b32 v5, v6, 24, v5
	s_delay_alu instid0(VALU_DEP_1)
	v_or3_b32 v5, v5, v8, v7
	global_store_b32 v[3:4], v5, off
	v_cmpx_gt_u32_e64 s12, v0
	s_cbranch_execz .LBB89_52
; %bb.58:                               ;   in Loop: Header=BB89_55 Depth=1
	v_lshlrev_b64 v[3:4], 3, v[0:1]
	v_lshrrev_b32_e32 v5, 2, v0
	s_delay_alu instid0(VALU_DEP_1) | instskip(NEXT) | instid1(VALU_DEP_3)
	v_and_b32_e32 v7, 0xffffffc, v5
	v_add_co_u32 v5, vcc_lo, s14, v3
	s_delay_alu instid0(VALU_DEP_4)
	v_add_co_ci_u32_e32 v6, vcc_lo, s26, v4, vcc_lo
	v_add_co_u32 v3, vcc_lo, s10, v3
	v_add_co_ci_u32_e32 v4, vcc_lo, s11, v4, vcc_lo
	global_load_b32 v7, v7, s[2:3]
	global_load_b64 v[5:6], v[5:6], off
	global_load_b64 v[3:4], v[3:4], off
	s_waitcnt vmcnt(2)
	v_div_scale_f32 v8, null, v7, v7, 1.0
	s_waitcnt vmcnt(1)
	v_lshlrev_b32_e32 v12, 16, v5
	v_div_scale_f32 v9, vcc_lo, 1.0, v7, 1.0
	s_delay_alu instid0(VALU_DEP_3) | instskip(NEXT) | instid1(VALU_DEP_2)
	v_rcp_f32_e32 v14, v8
	v_mul_f32_e32 v12, v28, v12
	s_delay_alu instid0(VALU_DEP_1) | instskip(SKIP_4) | instid1(VALU_DEP_1)
	v_bfe_u32 v15, v12, 16, 1
	v_cmp_o_f32_e64 s0, v12, v12
	s_waitcnt_depctr 0xfff
	v_fma_f32 v18, -v8, v14, 1.0
	v_add3_u32 v15, v12, v15, 0x7fff
	v_dual_fmac_f32 v14, v18, v14 :: v_dual_and_b32 v15, 0xffff0000, v15
	v_and_b32_e32 v10, 0xffff0000, v5
	v_alignbit_b32 v5, v6, v5, 16
	s_delay_alu instid0(VALU_DEP_3) | instskip(NEXT) | instid1(VALU_DEP_2)
	v_cndmask_b32_e64 v12, 0x7fc00000, v15, s0
	v_and_b32_e32 v5, 0xffff0000, v5
	s_delay_alu instid0(VALU_DEP_1) | instskip(SKIP_1) | instid1(VALU_DEP_1)
	v_dual_mul_f32 v5, v28, v5 :: v_dual_and_b32 v6, 0xffff0000, v6
	s_waitcnt vmcnt(0)
	v_dual_mul_f32 v6, v28, v6 :: v_dual_lshlrev_b32 v13, 16, v3
	s_delay_alu instid0(VALU_DEP_2) | instskip(NEXT) | instid1(VALU_DEP_2)
	v_bfe_u32 v19, v5, 16, 1
	v_mul_f32_e32 v12, v12, v13
	s_delay_alu instid0(VALU_DEP_3) | instskip(NEXT) | instid1(VALU_DEP_3)
	v_bfe_u32 v17, v6, 16, 1
	v_add3_u32 v18, v5, v19, 0x7fff
	v_mul_f32_e32 v19, v9, v14
	v_dual_mul_f32 v10, v28, v10 :: v_dual_and_b32 v11, 0xffff0000, v3
	s_delay_alu instid0(VALU_DEP_4) | instskip(NEXT) | instid1(VALU_DEP_4)
	v_add3_u32 v17, v6, v17, 0x7fff
	v_and_b32_e32 v15, 0xffff0000, v18
	v_alignbit_b32 v3, v4, v3, 16
	s_delay_alu instid0(VALU_DEP_4) | instskip(SKIP_2) | instid1(VALU_DEP_4)
	v_bfe_u32 v16, v10, 16, 1
	v_cmp_o_f32_e64 s0, v10, v10
	v_and_b32_e32 v17, 0xffff0000, v17
	v_and_b32_e32 v3, 0xffff0000, v3
	s_delay_alu instid0(VALU_DEP_4) | instskip(NEXT) | instid1(VALU_DEP_1)
	v_add3_u32 v16, v10, v16, 0x7fff
	v_and_b32_e32 v16, 0xffff0000, v16
	s_delay_alu instid0(VALU_DEP_1) | instskip(SKIP_1) | instid1(VALU_DEP_2)
	v_cndmask_b32_e64 v10, 0x7fc00000, v16, s0
	v_cmp_o_f32_e64 s0, v6, v6
	v_mul_f32_e32 v10, v10, v11
	s_delay_alu instid0(VALU_DEP_2) | instskip(SKIP_1) | instid1(VALU_DEP_1)
	v_cndmask_b32_e64 v6, 0x7fc00000, v17, s0
	v_cmp_o_f32_e64 s0, v5, v5
	v_cndmask_b32_e64 v5, 0x7fc00000, v15, s0
	v_fma_f32 v15, -v8, v19, v9
	s_delay_alu instid0(VALU_DEP_2) | instskip(NEXT) | instid1(VALU_DEP_1)
	v_dual_mul_f32 v3, v5, v3 :: v_dual_and_b32 v4, 0xffff0000, v4
	v_dual_fmac_f32 v19, v15, v14 :: v_dual_mul_f32 v4, v6, v4
	v_bfe_u32 v5, v12, 16, 1
	v_bfe_u32 v6, v10, 16, 1
	s_delay_alu instid0(VALU_DEP_4) | instskip(NEXT) | instid1(VALU_DEP_4)
	v_bfe_u32 v13, v3, 16, 1
	v_fma_f32 v8, -v8, v19, v9
	v_bfe_u32 v11, v4, 16, 1
	v_add3_u32 v5, v12, v5, 0x7fff
	v_add3_u32 v6, v10, v6, 0x7fff
	s_delay_alu instid0(VALU_DEP_4) | instskip(NEXT) | instid1(VALU_DEP_4)
	v_div_fmas_f32 v8, v8, v14, v19
	v_add3_u32 v9, v4, v11, 0x7fff
	v_add3_u32 v11, v3, v13, 0x7fff
	v_cmp_o_f32_e32 vcc_lo, v12, v12
	s_delay_alu instid0(VALU_DEP_4) | instskip(SKIP_1) | instid1(VALU_DEP_4)
	v_div_fixup_f32 v7, v8, v7, 1.0
	v_and_b32_e32 v5, 0xffff0000, v5
	v_and_b32_e32 v11, 0xffff0000, v11
	v_and_b32_e32 v9, 0xffff0000, v9
	s_delay_alu instid0(VALU_DEP_3) | instskip(SKIP_1) | instid1(VALU_DEP_2)
	v_cndmask_b32_e32 v5, 0x7fc00000, v5, vcc_lo
	v_cmp_o_f32_e32 vcc_lo, v3, v3
	v_dual_mul_f32 v5, v7, v5 :: v_dual_and_b32 v6, 0xffff0000, v6
	v_cndmask_b32_e32 v3, 0x7fc00000, v11, vcc_lo
	v_cmp_o_f32_e32 vcc_lo, v10, v10
	s_delay_alu instid0(VALU_DEP_3) | instskip(NEXT) | instid1(VALU_DEP_3)
	v_rndne_f32_e32 v5, v5
	v_dual_mul_f32 v3, v7, v3 :: v_dual_cndmask_b32 v6, 0x7fc00000, v6
	v_cmp_o_f32_e32 vcc_lo, v4, v4
	s_delay_alu instid0(VALU_DEP_2) | instskip(NEXT) | instid1(VALU_DEP_3)
	v_rndne_f32_e32 v3, v3
	v_mul_f32_e32 v6, v7, v6
	v_cndmask_b32_e32 v4, 0x7fc00000, v9, vcc_lo
	s_delay_alu instid0(VALU_DEP_3) | instskip(NEXT) | instid1(VALU_DEP_3)
	v_cmp_nlt_f32_e32 vcc_lo, 0x42fe0000, v3
	v_rndne_f32_e32 v6, v6
	s_delay_alu instid0(VALU_DEP_3) | instskip(SKIP_1) | instid1(VALU_DEP_2)
	v_dual_mul_f32 v4, v7, v4 :: v_dual_cndmask_b32 v7, 0x42fe0000, v3
	v_cmp_nlt_f32_e32 vcc_lo, 0x42fe0000, v5
	v_rndne_f32_e32 v4, v4
	v_cndmask_b32_e32 v8, 0x42fe0000, v5, vcc_lo
	v_cmp_nlt_f32_e32 vcc_lo, 0x42fe0000, v6
	v_cndmask_b32_e32 v9, 0x42fe0000, v6, vcc_lo
	v_cmp_ngt_f32_e32 vcc_lo, 0xc3000000, v3
	v_cndmask_b32_e32 v3, 0xc3000000, v7, vcc_lo
	v_cmp_nlt_f32_e32 vcc_lo, 0x42fe0000, v4
	s_delay_alu instid0(VALU_DEP_2) | instskip(SKIP_2) | instid1(VALU_DEP_3)
	v_cvt_i32_f32_e32 v3, v3
	v_cndmask_b32_e32 v7, 0x42fe0000, v4, vcc_lo
	v_cmp_ngt_f32_e32 vcc_lo, 0xc3000000, v6
	v_and_b32_e32 v3, 0xff, v3
	v_cndmask_b32_e32 v6, 0xc3000000, v9, vcc_lo
	v_cmp_ngt_f32_e32 vcc_lo, 0xc3000000, v5
	s_delay_alu instid0(VALU_DEP_2) | instskip(SKIP_3) | instid1(VALU_DEP_4)
	v_cvt_i32_f32_e32 v6, v6
	v_cndmask_b32_e32 v5, 0xc3000000, v8, vcc_lo
	v_cmp_ngt_f32_e32 vcc_lo, 0xc3000000, v4
	v_lshlrev_b32_e32 v8, 16, v3
	v_and_b32_e32 v6, 0xff, v6
	s_delay_alu instid0(VALU_DEP_4) | instskip(SKIP_1) | instid1(VALU_DEP_3)
	v_cvt_i32_f32_e32 v5, v5
	v_cndmask_b32_e32 v4, 0xc3000000, v7, vcc_lo
	v_lshlrev_b32_e32 v6, 8, v6
	s_delay_alu instid0(VALU_DEP_3) | instskip(NEXT) | instid1(VALU_DEP_3)
	v_and_b32_e32 v5, 0xff, v5
	v_cvt_i32_f32_e32 v7, v4
	v_lshlrev_b64 v[3:4], 2, v[0:1]
	v_add3_u32 v0, s8, s27, v2
	s_delay_alu instid0(VALU_DEP_3) | instskip(NEXT) | instid1(VALU_DEP_3)
	v_lshl_or_b32 v7, v7, 24, v8
	v_add_co_u32 v2, vcc_lo, s1, v3
	s_delay_alu instid0(VALU_DEP_4) | instskip(NEXT) | instid1(VALU_DEP_4)
	v_add_co_ci_u32_e32 v3, vcc_lo, s4, v4, vcc_lo
	v_cmp_le_u32_e32 vcc_lo, s12, v0
	s_delay_alu instid0(VALU_DEP_4)
	v_or3_b32 v4, v7, v6, v5
	s_or_not1_b32 s0, vcc_lo, exec_lo
	global_store_b32 v[2:3], v4, off
	s_branch .LBB89_52
.LBB89_59:
	s_nop 0
	s_sendmsg sendmsg(MSG_DEALLOC_VGPRS)
	s_endpgm
	.section	.rodata,"a",@progbits
	.p2align	6, 0x0
	.amdhsa_kernel _ZN4vllm31rms_norm_per_block_quant_kernelIN3c108BFloat16EaLb0ELb0ELi64EEEvPT0_PfPKT_S8_PKffiiPS6_l
		.amdhsa_group_segment_fixed_size 4228
		.amdhsa_private_segment_fixed_size 0
		.amdhsa_kernarg_size 328
		.amdhsa_user_sgpr_count 15
		.amdhsa_user_sgpr_dispatch_ptr 0
		.amdhsa_user_sgpr_queue_ptr 0
		.amdhsa_user_sgpr_kernarg_segment_ptr 1
		.amdhsa_user_sgpr_dispatch_id 0
		.amdhsa_user_sgpr_private_segment_size 0
		.amdhsa_wavefront_size32 1
		.amdhsa_uses_dynamic_stack 0
		.amdhsa_enable_private_segment 0
		.amdhsa_system_sgpr_workgroup_id_x 1
		.amdhsa_system_sgpr_workgroup_id_y 0
		.amdhsa_system_sgpr_workgroup_id_z 0
		.amdhsa_system_sgpr_workgroup_info 0
		.amdhsa_system_vgpr_workitem_id 0
		.amdhsa_next_free_vgpr 46
		.amdhsa_next_free_sgpr 34
		.amdhsa_reserve_vcc 1
		.amdhsa_float_round_mode_32 0
		.amdhsa_float_round_mode_16_64 0
		.amdhsa_float_denorm_mode_32 3
		.amdhsa_float_denorm_mode_16_64 3
		.amdhsa_dx10_clamp 1
		.amdhsa_ieee_mode 1
		.amdhsa_fp16_overflow 0
		.amdhsa_workgroup_processor_mode 1
		.amdhsa_memory_ordered 1
		.amdhsa_forward_progress 0
		.amdhsa_shared_vgpr_count 0
		.amdhsa_exception_fp_ieee_invalid_op 0
		.amdhsa_exception_fp_denorm_src 0
		.amdhsa_exception_fp_ieee_div_zero 0
		.amdhsa_exception_fp_ieee_overflow 0
		.amdhsa_exception_fp_ieee_underflow 0
		.amdhsa_exception_fp_ieee_inexact 0
		.amdhsa_exception_int_div_zero 0
	.end_amdhsa_kernel
	.section	.text._ZN4vllm31rms_norm_per_block_quant_kernelIN3c108BFloat16EaLb0ELb0ELi64EEEvPT0_PfPKT_S8_PKffiiPS6_l,"axG",@progbits,_ZN4vllm31rms_norm_per_block_quant_kernelIN3c108BFloat16EaLb0ELb0ELi64EEEvPT0_PfPKT_S8_PKffiiPS6_l,comdat
.Lfunc_end89:
	.size	_ZN4vllm31rms_norm_per_block_quant_kernelIN3c108BFloat16EaLb0ELb0ELi64EEEvPT0_PfPKT_S8_PKffiiPS6_l, .Lfunc_end89-_ZN4vllm31rms_norm_per_block_quant_kernelIN3c108BFloat16EaLb0ELb0ELi64EEEvPT0_PfPKT_S8_PKffiiPS6_l
                                        ; -- End function
	.section	.AMDGPU.csdata,"",@progbits
; Kernel info:
; codeLenInByte = 10300
; NumSgprs: 36
; NumVgprs: 46
; ScratchSize: 0
; MemoryBound: 0
; FloatMode: 240
; IeeeMode: 1
; LDSByteSize: 4228 bytes/workgroup (compile time only)
; SGPRBlocks: 4
; VGPRBlocks: 5
; NumSGPRsForWavesPerEU: 36
; NumVGPRsForWavesPerEU: 46
; Occupancy: 16
; WaveLimiterHint : 0
; COMPUTE_PGM_RSRC2:SCRATCH_EN: 0
; COMPUTE_PGM_RSRC2:USER_SGPR: 15
; COMPUTE_PGM_RSRC2:TRAP_HANDLER: 0
; COMPUTE_PGM_RSRC2:TGID_X_EN: 1
; COMPUTE_PGM_RSRC2:TGID_Y_EN: 0
; COMPUTE_PGM_RSRC2:TGID_Z_EN: 0
; COMPUTE_PGM_RSRC2:TIDIG_COMP_CNT: 0
	.text
	.p2alignl 7, 3214868480
	.fill 96, 4, 3214868480
	.type	__hip_cuid_4a0831f2b4d40358,@object ; @__hip_cuid_4a0831f2b4d40358
	.section	.bss,"aw",@nobits
	.globl	__hip_cuid_4a0831f2b4d40358
__hip_cuid_4a0831f2b4d40358:
	.byte	0                               ; 0x0
	.size	__hip_cuid_4a0831f2b4d40358, 1

	.ident	"AMD clang version 19.0.0git (https://github.com/RadeonOpenCompute/llvm-project roc-6.4.0 25133 c7fe45cf4b819c5991fe208aaa96edf142730f1d)"
	.section	".note.GNU-stack","",@progbits
	.addrsig
	.addrsig_sym __hip_cuid_4a0831f2b4d40358
	.amdgpu_metadata
---
amdhsa.kernels:
  - .args:
      - .actual_access:  write_only
        .address_space:  global
        .offset:         0
        .size:           8
        .value_kind:     global_buffer
      - .actual_access:  write_only
        .address_space:  global
        .offset:         8
        .size:           8
        .value_kind:     global_buffer
      - .actual_access:  read_only
        .address_space:  global
        .offset:         16
        .size:           8
        .value_kind:     global_buffer
      - .actual_access:  read_only
        .address_space:  global
        .offset:         24
        .size:           8
        .value_kind:     global_buffer
      - .address_space:  global
        .offset:         32
        .size:           8
        .value_kind:     global_buffer
      - .offset:         40
        .size:           4
        .value_kind:     by_value
      - .offset:         44
        .size:           4
        .value_kind:     by_value
      - .offset:         48
        .size:           4
        .value_kind:     by_value
      - .address_space:  global
        .offset:         56
        .size:           8
        .value_kind:     global_buffer
      - .offset:         64
        .size:           4
        .value_kind:     hidden_block_count_x
      - .offset:         68
        .size:           4
        .value_kind:     hidden_block_count_y
      - .offset:         72
        .size:           4
        .value_kind:     hidden_block_count_z
      - .offset:         76
        .size:           2
        .value_kind:     hidden_group_size_x
      - .offset:         78
        .size:           2
        .value_kind:     hidden_group_size_y
      - .offset:         80
        .size:           2
        .value_kind:     hidden_group_size_z
      - .offset:         82
        .size:           2
        .value_kind:     hidden_remainder_x
      - .offset:         84
        .size:           2
        .value_kind:     hidden_remainder_y
      - .offset:         86
        .size:           2
        .value_kind:     hidden_remainder_z
      - .offset:         104
        .size:           8
        .value_kind:     hidden_global_offset_x
      - .offset:         112
        .size:           8
        .value_kind:     hidden_global_offset_y
      - .offset:         120
        .size:           8
        .value_kind:     hidden_global_offset_z
      - .offset:         128
        .size:           2
        .value_kind:     hidden_grid_dims
    .group_segment_fixed_size: 528
    .kernarg_segment_align: 8
    .kernarg_segment_size: 320
    .language:       OpenCL C
    .language_version:
      - 2
      - 0
    .max_flat_workgroup_size: 1024
    .name:           _ZN4vllm39rms_norm_dynamic_per_token_quant_kernelIfN3c1013Float8_e4m3fnELb1EEEvPT0_PfPKT_S8_PKffiiPS6_
    .private_segment_fixed_size: 0
    .sgpr_count:     40
    .sgpr_spill_count: 0
    .symbol:         _ZN4vllm39rms_norm_dynamic_per_token_quant_kernelIfN3c1013Float8_e4m3fnELb1EEEvPT0_PfPKT_S8_PKffiiPS6_.kd
    .uniform_work_group_size: 1
    .uses_dynamic_stack: false
    .vgpr_count:     31
    .vgpr_spill_count: 0
    .wavefront_size: 32
    .workgroup_processor_mode: 1
  - .args:
      - .actual_access:  write_only
        .address_space:  global
        .offset:         0
        .size:           8
        .value_kind:     global_buffer
      - .actual_access:  write_only
        .address_space:  global
        .offset:         8
        .size:           8
        .value_kind:     global_buffer
      - .actual_access:  read_only
        .address_space:  global
        .offset:         16
        .size:           8
        .value_kind:     global_buffer
      - .actual_access:  read_only
        .address_space:  global
        .offset:         24
        .size:           8
        .value_kind:     global_buffer
      - .address_space:  global
        .offset:         32
        .size:           8
        .value_kind:     global_buffer
      - .offset:         40
        .size:           4
        .value_kind:     by_value
      - .offset:         44
        .size:           4
        .value_kind:     by_value
      - .offset:         48
        .size:           4
        .value_kind:     by_value
      - .address_space:  global
        .offset:         56
        .size:           8
        .value_kind:     global_buffer
      - .offset:         64
        .size:           4
        .value_kind:     hidden_block_count_x
      - .offset:         68
        .size:           4
        .value_kind:     hidden_block_count_y
      - .offset:         72
        .size:           4
        .value_kind:     hidden_block_count_z
      - .offset:         76
        .size:           2
        .value_kind:     hidden_group_size_x
      - .offset:         78
        .size:           2
        .value_kind:     hidden_group_size_y
      - .offset:         80
        .size:           2
        .value_kind:     hidden_group_size_z
      - .offset:         82
        .size:           2
        .value_kind:     hidden_remainder_x
      - .offset:         84
        .size:           2
        .value_kind:     hidden_remainder_y
      - .offset:         86
        .size:           2
        .value_kind:     hidden_remainder_z
      - .offset:         104
        .size:           8
        .value_kind:     hidden_global_offset_x
      - .offset:         112
        .size:           8
        .value_kind:     hidden_global_offset_y
      - .offset:         120
        .size:           8
        .value_kind:     hidden_global_offset_z
      - .offset:         128
        .size:           2
        .value_kind:     hidden_grid_dims
    .group_segment_fixed_size: 528
    .kernarg_segment_align: 8
    .kernarg_segment_size: 320
    .language:       OpenCL C
    .language_version:
      - 2
      - 0
    .max_flat_workgroup_size: 1024
    .name:           _ZN4vllm39rms_norm_dynamic_per_token_quant_kernelIfN3c1015Float8_e4m3fnuzELb1EEEvPT0_PfPKT_S8_PKffiiPS6_
    .private_segment_fixed_size: 0
    .sgpr_count:     40
    .sgpr_spill_count: 0
    .symbol:         _ZN4vllm39rms_norm_dynamic_per_token_quant_kernelIfN3c1015Float8_e4m3fnuzELb1EEEvPT0_PfPKT_S8_PKffiiPS6_.kd
    .uniform_work_group_size: 1
    .uses_dynamic_stack: false
    .vgpr_count:     31
    .vgpr_spill_count: 0
    .wavefront_size: 32
    .workgroup_processor_mode: 1
  - .args:
      - .actual_access:  write_only
        .address_space:  global
        .offset:         0
        .size:           8
        .value_kind:     global_buffer
      - .actual_access:  write_only
        .address_space:  global
        .offset:         8
        .size:           8
        .value_kind:     global_buffer
      - .actual_access:  read_only
        .address_space:  global
        .offset:         16
        .size:           8
        .value_kind:     global_buffer
      - .actual_access:  read_only
        .address_space:  global
        .offset:         24
        .size:           8
        .value_kind:     global_buffer
      - .address_space:  global
        .offset:         32
        .size:           8
        .value_kind:     global_buffer
      - .offset:         40
        .size:           4
        .value_kind:     by_value
      - .offset:         44
        .size:           4
        .value_kind:     by_value
      - .offset:         48
        .size:           4
        .value_kind:     by_value
      - .address_space:  global
        .offset:         56
        .size:           8
        .value_kind:     global_buffer
      - .offset:         64
        .size:           4
        .value_kind:     hidden_block_count_x
      - .offset:         68
        .size:           4
        .value_kind:     hidden_block_count_y
      - .offset:         72
        .size:           4
        .value_kind:     hidden_block_count_z
      - .offset:         76
        .size:           2
        .value_kind:     hidden_group_size_x
      - .offset:         78
        .size:           2
        .value_kind:     hidden_group_size_y
      - .offset:         80
        .size:           2
        .value_kind:     hidden_group_size_z
      - .offset:         82
        .size:           2
        .value_kind:     hidden_remainder_x
      - .offset:         84
        .size:           2
        .value_kind:     hidden_remainder_y
      - .offset:         86
        .size:           2
        .value_kind:     hidden_remainder_z
      - .offset:         104
        .size:           8
        .value_kind:     hidden_global_offset_x
      - .offset:         112
        .size:           8
        .value_kind:     hidden_global_offset_y
      - .offset:         120
        .size:           8
        .value_kind:     hidden_global_offset_z
      - .offset:         128
        .size:           2
        .value_kind:     hidden_grid_dims
    .group_segment_fixed_size: 528
    .kernarg_segment_align: 8
    .kernarg_segment_size: 320
    .language:       OpenCL C
    .language_version:
      - 2
      - 0
    .max_flat_workgroup_size: 1024
    .name:           _ZN4vllm39rms_norm_dynamic_per_token_quant_kernelIfaLb1EEEvPT0_PfPKT_S6_PKffiiPS4_
    .private_segment_fixed_size: 0
    .sgpr_count:     40
    .sgpr_spill_count: 0
    .symbol:         _ZN4vllm39rms_norm_dynamic_per_token_quant_kernelIfaLb1EEEvPT0_PfPKT_S6_PKffiiPS4_.kd
    .uniform_work_group_size: 1
    .uses_dynamic_stack: false
    .vgpr_count:     31
    .vgpr_spill_count: 0
    .wavefront_size: 32
    .workgroup_processor_mode: 1
  - .args:
      - .actual_access:  write_only
        .address_space:  global
        .offset:         0
        .size:           8
        .value_kind:     global_buffer
      - .actual_access:  write_only
        .address_space:  global
        .offset:         8
        .size:           8
        .value_kind:     global_buffer
      - .actual_access:  read_only
        .address_space:  global
        .offset:         16
        .size:           8
        .value_kind:     global_buffer
      - .actual_access:  read_only
        .address_space:  global
        .offset:         24
        .size:           8
        .value_kind:     global_buffer
      - .address_space:  global
        .offset:         32
        .size:           8
        .value_kind:     global_buffer
      - .offset:         40
        .size:           4
        .value_kind:     by_value
      - .offset:         44
        .size:           4
        .value_kind:     by_value
      - .offset:         48
        .size:           4
        .value_kind:     by_value
      - .actual_access:  read_only
        .address_space:  global
        .offset:         56
        .size:           8
        .value_kind:     global_buffer
      - .offset:         64
        .size:           4
        .value_kind:     hidden_block_count_x
      - .offset:         68
        .size:           4
        .value_kind:     hidden_block_count_y
      - .offset:         72
        .size:           4
        .value_kind:     hidden_block_count_z
      - .offset:         76
        .size:           2
        .value_kind:     hidden_group_size_x
      - .offset:         78
        .size:           2
        .value_kind:     hidden_group_size_y
      - .offset:         80
        .size:           2
        .value_kind:     hidden_group_size_z
      - .offset:         82
        .size:           2
        .value_kind:     hidden_remainder_x
      - .offset:         84
        .size:           2
        .value_kind:     hidden_remainder_y
      - .offset:         86
        .size:           2
        .value_kind:     hidden_remainder_z
      - .offset:         104
        .size:           8
        .value_kind:     hidden_global_offset_x
      - .offset:         112
        .size:           8
        .value_kind:     hidden_global_offset_y
      - .offset:         120
        .size:           8
        .value_kind:     hidden_global_offset_z
      - .offset:         128
        .size:           2
        .value_kind:     hidden_grid_dims
    .group_segment_fixed_size: 528
    .kernarg_segment_align: 8
    .kernarg_segment_size: 320
    .language:       OpenCL C
    .language_version:
      - 2
      - 0
    .max_flat_workgroup_size: 1024
    .name:           _ZN4vllm39rms_norm_dynamic_per_token_quant_kernelIfN3c1013Float8_e4m3fnELb0EEEvPT0_PfPKT_S8_PKffiiPS6_
    .private_segment_fixed_size: 0
    .sgpr_count:     37
    .sgpr_spill_count: 0
    .symbol:         _ZN4vllm39rms_norm_dynamic_per_token_quant_kernelIfN3c1013Float8_e4m3fnELb0EEEvPT0_PfPKT_S8_PKffiiPS6_.kd
    .uniform_work_group_size: 1
    .uses_dynamic_stack: false
    .vgpr_count:     27
    .vgpr_spill_count: 0
    .wavefront_size: 32
    .workgroup_processor_mode: 1
  - .args:
      - .actual_access:  write_only
        .address_space:  global
        .offset:         0
        .size:           8
        .value_kind:     global_buffer
      - .actual_access:  write_only
        .address_space:  global
        .offset:         8
        .size:           8
        .value_kind:     global_buffer
      - .actual_access:  read_only
        .address_space:  global
        .offset:         16
        .size:           8
        .value_kind:     global_buffer
      - .actual_access:  read_only
        .address_space:  global
        .offset:         24
        .size:           8
        .value_kind:     global_buffer
      - .address_space:  global
        .offset:         32
        .size:           8
        .value_kind:     global_buffer
      - .offset:         40
        .size:           4
        .value_kind:     by_value
      - .offset:         44
        .size:           4
        .value_kind:     by_value
      - .offset:         48
        .size:           4
        .value_kind:     by_value
      - .actual_access:  read_only
        .address_space:  global
        .offset:         56
        .size:           8
        .value_kind:     global_buffer
      - .offset:         64
        .size:           4
        .value_kind:     hidden_block_count_x
      - .offset:         68
        .size:           4
        .value_kind:     hidden_block_count_y
      - .offset:         72
        .size:           4
        .value_kind:     hidden_block_count_z
      - .offset:         76
        .size:           2
        .value_kind:     hidden_group_size_x
      - .offset:         78
        .size:           2
        .value_kind:     hidden_group_size_y
      - .offset:         80
        .size:           2
        .value_kind:     hidden_group_size_z
      - .offset:         82
        .size:           2
        .value_kind:     hidden_remainder_x
      - .offset:         84
        .size:           2
        .value_kind:     hidden_remainder_y
      - .offset:         86
        .size:           2
        .value_kind:     hidden_remainder_z
      - .offset:         104
        .size:           8
        .value_kind:     hidden_global_offset_x
      - .offset:         112
        .size:           8
        .value_kind:     hidden_global_offset_y
      - .offset:         120
        .size:           8
        .value_kind:     hidden_global_offset_z
      - .offset:         128
        .size:           2
        .value_kind:     hidden_grid_dims
    .group_segment_fixed_size: 528
    .kernarg_segment_align: 8
    .kernarg_segment_size: 320
    .language:       OpenCL C
    .language_version:
      - 2
      - 0
    .max_flat_workgroup_size: 1024
    .name:           _ZN4vllm39rms_norm_dynamic_per_token_quant_kernelIfN3c1015Float8_e4m3fnuzELb0EEEvPT0_PfPKT_S8_PKffiiPS6_
    .private_segment_fixed_size: 0
    .sgpr_count:     37
    .sgpr_spill_count: 0
    .symbol:         _ZN4vllm39rms_norm_dynamic_per_token_quant_kernelIfN3c1015Float8_e4m3fnuzELb0EEEvPT0_PfPKT_S8_PKffiiPS6_.kd
    .uniform_work_group_size: 1
    .uses_dynamic_stack: false
    .vgpr_count:     27
    .vgpr_spill_count: 0
    .wavefront_size: 32
    .workgroup_processor_mode: 1
  - .args:
      - .actual_access:  write_only
        .address_space:  global
        .offset:         0
        .size:           8
        .value_kind:     global_buffer
      - .actual_access:  write_only
        .address_space:  global
        .offset:         8
        .size:           8
        .value_kind:     global_buffer
      - .actual_access:  read_only
        .address_space:  global
        .offset:         16
        .size:           8
        .value_kind:     global_buffer
      - .actual_access:  read_only
        .address_space:  global
        .offset:         24
        .size:           8
        .value_kind:     global_buffer
      - .address_space:  global
        .offset:         32
        .size:           8
        .value_kind:     global_buffer
      - .offset:         40
        .size:           4
        .value_kind:     by_value
      - .offset:         44
        .size:           4
        .value_kind:     by_value
      - .offset:         48
        .size:           4
        .value_kind:     by_value
      - .actual_access:  read_only
        .address_space:  global
        .offset:         56
        .size:           8
        .value_kind:     global_buffer
      - .offset:         64
        .size:           4
        .value_kind:     hidden_block_count_x
      - .offset:         68
        .size:           4
        .value_kind:     hidden_block_count_y
      - .offset:         72
        .size:           4
        .value_kind:     hidden_block_count_z
      - .offset:         76
        .size:           2
        .value_kind:     hidden_group_size_x
      - .offset:         78
        .size:           2
        .value_kind:     hidden_group_size_y
      - .offset:         80
        .size:           2
        .value_kind:     hidden_group_size_z
      - .offset:         82
        .size:           2
        .value_kind:     hidden_remainder_x
      - .offset:         84
        .size:           2
        .value_kind:     hidden_remainder_y
      - .offset:         86
        .size:           2
        .value_kind:     hidden_remainder_z
      - .offset:         104
        .size:           8
        .value_kind:     hidden_global_offset_x
      - .offset:         112
        .size:           8
        .value_kind:     hidden_global_offset_y
      - .offset:         120
        .size:           8
        .value_kind:     hidden_global_offset_z
      - .offset:         128
        .size:           2
        .value_kind:     hidden_grid_dims
    .group_segment_fixed_size: 528
    .kernarg_segment_align: 8
    .kernarg_segment_size: 320
    .language:       OpenCL C
    .language_version:
      - 2
      - 0
    .max_flat_workgroup_size: 1024
    .name:           _ZN4vllm39rms_norm_dynamic_per_token_quant_kernelIfaLb0EEEvPT0_PfPKT_S6_PKffiiPS4_
    .private_segment_fixed_size: 0
    .sgpr_count:     37
    .sgpr_spill_count: 0
    .symbol:         _ZN4vllm39rms_norm_dynamic_per_token_quant_kernelIfaLb0EEEvPT0_PfPKT_S6_PKffiiPS4_.kd
    .uniform_work_group_size: 1
    .uses_dynamic_stack: false
    .vgpr_count:     27
    .vgpr_spill_count: 0
    .wavefront_size: 32
    .workgroup_processor_mode: 1
  - .args:
      - .actual_access:  write_only
        .address_space:  global
        .offset:         0
        .size:           8
        .value_kind:     global_buffer
      - .actual_access:  write_only
        .address_space:  global
        .offset:         8
        .size:           8
        .value_kind:     global_buffer
      - .actual_access:  read_only
        .address_space:  global
        .offset:         16
        .size:           8
        .value_kind:     global_buffer
      - .actual_access:  read_only
        .address_space:  global
        .offset:         24
        .size:           8
        .value_kind:     global_buffer
      - .address_space:  global
        .offset:         32
        .size:           8
        .value_kind:     global_buffer
      - .offset:         40
        .size:           4
        .value_kind:     by_value
      - .offset:         44
        .size:           4
        .value_kind:     by_value
      - .offset:         48
        .size:           4
        .value_kind:     by_value
      - .address_space:  global
        .offset:         56
        .size:           8
        .value_kind:     global_buffer
      - .offset:         64
        .size:           4
        .value_kind:     hidden_block_count_x
      - .offset:         68
        .size:           4
        .value_kind:     hidden_block_count_y
      - .offset:         72
        .size:           4
        .value_kind:     hidden_block_count_z
      - .offset:         76
        .size:           2
        .value_kind:     hidden_group_size_x
      - .offset:         78
        .size:           2
        .value_kind:     hidden_group_size_y
      - .offset:         80
        .size:           2
        .value_kind:     hidden_group_size_z
      - .offset:         82
        .size:           2
        .value_kind:     hidden_remainder_x
      - .offset:         84
        .size:           2
        .value_kind:     hidden_remainder_y
      - .offset:         86
        .size:           2
        .value_kind:     hidden_remainder_z
      - .offset:         104
        .size:           8
        .value_kind:     hidden_global_offset_x
      - .offset:         112
        .size:           8
        .value_kind:     hidden_global_offset_y
      - .offset:         120
        .size:           8
        .value_kind:     hidden_global_offset_z
      - .offset:         128
        .size:           2
        .value_kind:     hidden_grid_dims
    .group_segment_fixed_size: 528
    .kernarg_segment_align: 8
    .kernarg_segment_size: 320
    .language:       OpenCL C
    .language_version:
      - 2
      - 0
    .max_flat_workgroup_size: 1024
    .name:           _ZN4vllm39rms_norm_dynamic_per_token_quant_kernelIN3c104HalfENS1_13Float8_e4m3fnELb1EEEvPT0_PfPKT_S9_PKffiiPS7_
    .private_segment_fixed_size: 0
    .sgpr_count:     40
    .sgpr_spill_count: 0
    .symbol:         _ZN4vllm39rms_norm_dynamic_per_token_quant_kernelIN3c104HalfENS1_13Float8_e4m3fnELb1EEEvPT0_PfPKT_S9_PKffiiPS7_.kd
    .uniform_work_group_size: 1
    .uses_dynamic_stack: false
    .vgpr_count:     27
    .vgpr_spill_count: 0
    .wavefront_size: 32
    .workgroup_processor_mode: 1
  - .args:
      - .actual_access:  write_only
        .address_space:  global
        .offset:         0
        .size:           8
        .value_kind:     global_buffer
      - .actual_access:  write_only
        .address_space:  global
        .offset:         8
        .size:           8
        .value_kind:     global_buffer
      - .actual_access:  read_only
        .address_space:  global
        .offset:         16
        .size:           8
        .value_kind:     global_buffer
      - .actual_access:  read_only
        .address_space:  global
        .offset:         24
        .size:           8
        .value_kind:     global_buffer
      - .address_space:  global
        .offset:         32
        .size:           8
        .value_kind:     global_buffer
      - .offset:         40
        .size:           4
        .value_kind:     by_value
      - .offset:         44
        .size:           4
        .value_kind:     by_value
      - .offset:         48
        .size:           4
        .value_kind:     by_value
      - .address_space:  global
        .offset:         56
        .size:           8
        .value_kind:     global_buffer
      - .offset:         64
        .size:           4
        .value_kind:     hidden_block_count_x
      - .offset:         68
        .size:           4
        .value_kind:     hidden_block_count_y
      - .offset:         72
        .size:           4
        .value_kind:     hidden_block_count_z
      - .offset:         76
        .size:           2
        .value_kind:     hidden_group_size_x
      - .offset:         78
        .size:           2
        .value_kind:     hidden_group_size_y
      - .offset:         80
        .size:           2
        .value_kind:     hidden_group_size_z
      - .offset:         82
        .size:           2
        .value_kind:     hidden_remainder_x
      - .offset:         84
        .size:           2
        .value_kind:     hidden_remainder_y
      - .offset:         86
        .size:           2
        .value_kind:     hidden_remainder_z
      - .offset:         104
        .size:           8
        .value_kind:     hidden_global_offset_x
      - .offset:         112
        .size:           8
        .value_kind:     hidden_global_offset_y
      - .offset:         120
        .size:           8
        .value_kind:     hidden_global_offset_z
      - .offset:         128
        .size:           2
        .value_kind:     hidden_grid_dims
    .group_segment_fixed_size: 528
    .kernarg_segment_align: 8
    .kernarg_segment_size: 320
    .language:       OpenCL C
    .language_version:
      - 2
      - 0
    .max_flat_workgroup_size: 1024
    .name:           _ZN4vllm39rms_norm_dynamic_per_token_quant_kernelIN3c104HalfENS1_15Float8_e4m3fnuzELb1EEEvPT0_PfPKT_S9_PKffiiPS7_
    .private_segment_fixed_size: 0
    .sgpr_count:     40
    .sgpr_spill_count: 0
    .symbol:         _ZN4vllm39rms_norm_dynamic_per_token_quant_kernelIN3c104HalfENS1_15Float8_e4m3fnuzELb1EEEvPT0_PfPKT_S9_PKffiiPS7_.kd
    .uniform_work_group_size: 1
    .uses_dynamic_stack: false
    .vgpr_count:     27
    .vgpr_spill_count: 0
    .wavefront_size: 32
    .workgroup_processor_mode: 1
  - .args:
      - .actual_access:  write_only
        .address_space:  global
        .offset:         0
        .size:           8
        .value_kind:     global_buffer
      - .actual_access:  write_only
        .address_space:  global
        .offset:         8
        .size:           8
        .value_kind:     global_buffer
      - .actual_access:  read_only
        .address_space:  global
        .offset:         16
        .size:           8
        .value_kind:     global_buffer
      - .actual_access:  read_only
        .address_space:  global
        .offset:         24
        .size:           8
        .value_kind:     global_buffer
      - .address_space:  global
        .offset:         32
        .size:           8
        .value_kind:     global_buffer
      - .offset:         40
        .size:           4
        .value_kind:     by_value
      - .offset:         44
        .size:           4
        .value_kind:     by_value
      - .offset:         48
        .size:           4
        .value_kind:     by_value
      - .address_space:  global
        .offset:         56
        .size:           8
        .value_kind:     global_buffer
      - .offset:         64
        .size:           4
        .value_kind:     hidden_block_count_x
      - .offset:         68
        .size:           4
        .value_kind:     hidden_block_count_y
      - .offset:         72
        .size:           4
        .value_kind:     hidden_block_count_z
      - .offset:         76
        .size:           2
        .value_kind:     hidden_group_size_x
      - .offset:         78
        .size:           2
        .value_kind:     hidden_group_size_y
      - .offset:         80
        .size:           2
        .value_kind:     hidden_group_size_z
      - .offset:         82
        .size:           2
        .value_kind:     hidden_remainder_x
      - .offset:         84
        .size:           2
        .value_kind:     hidden_remainder_y
      - .offset:         86
        .size:           2
        .value_kind:     hidden_remainder_z
      - .offset:         104
        .size:           8
        .value_kind:     hidden_global_offset_x
      - .offset:         112
        .size:           8
        .value_kind:     hidden_global_offset_y
      - .offset:         120
        .size:           8
        .value_kind:     hidden_global_offset_z
      - .offset:         128
        .size:           2
        .value_kind:     hidden_grid_dims
    .group_segment_fixed_size: 528
    .kernarg_segment_align: 8
    .kernarg_segment_size: 320
    .language:       OpenCL C
    .language_version:
      - 2
      - 0
    .max_flat_workgroup_size: 1024
    .name:           _ZN4vllm39rms_norm_dynamic_per_token_quant_kernelIN3c104HalfEaLb1EEEvPT0_PfPKT_S8_PKffiiPS6_
    .private_segment_fixed_size: 0
    .sgpr_count:     40
    .sgpr_spill_count: 0
    .symbol:         _ZN4vllm39rms_norm_dynamic_per_token_quant_kernelIN3c104HalfEaLb1EEEvPT0_PfPKT_S8_PKffiiPS6_.kd
    .uniform_work_group_size: 1
    .uses_dynamic_stack: false
    .vgpr_count:     27
    .vgpr_spill_count: 0
    .wavefront_size: 32
    .workgroup_processor_mode: 1
  - .args:
      - .actual_access:  write_only
        .address_space:  global
        .offset:         0
        .size:           8
        .value_kind:     global_buffer
      - .actual_access:  write_only
        .address_space:  global
        .offset:         8
        .size:           8
        .value_kind:     global_buffer
      - .actual_access:  read_only
        .address_space:  global
        .offset:         16
        .size:           8
        .value_kind:     global_buffer
      - .actual_access:  read_only
        .address_space:  global
        .offset:         24
        .size:           8
        .value_kind:     global_buffer
      - .address_space:  global
        .offset:         32
        .size:           8
        .value_kind:     global_buffer
      - .offset:         40
        .size:           4
        .value_kind:     by_value
      - .offset:         44
        .size:           4
        .value_kind:     by_value
      - .offset:         48
        .size:           4
        .value_kind:     by_value
      - .actual_access:  read_only
        .address_space:  global
        .offset:         56
        .size:           8
        .value_kind:     global_buffer
      - .offset:         64
        .size:           4
        .value_kind:     hidden_block_count_x
      - .offset:         68
        .size:           4
        .value_kind:     hidden_block_count_y
      - .offset:         72
        .size:           4
        .value_kind:     hidden_block_count_z
      - .offset:         76
        .size:           2
        .value_kind:     hidden_group_size_x
      - .offset:         78
        .size:           2
        .value_kind:     hidden_group_size_y
      - .offset:         80
        .size:           2
        .value_kind:     hidden_group_size_z
      - .offset:         82
        .size:           2
        .value_kind:     hidden_remainder_x
      - .offset:         84
        .size:           2
        .value_kind:     hidden_remainder_y
      - .offset:         86
        .size:           2
        .value_kind:     hidden_remainder_z
      - .offset:         104
        .size:           8
        .value_kind:     hidden_global_offset_x
      - .offset:         112
        .size:           8
        .value_kind:     hidden_global_offset_y
      - .offset:         120
        .size:           8
        .value_kind:     hidden_global_offset_z
      - .offset:         128
        .size:           2
        .value_kind:     hidden_grid_dims
    .group_segment_fixed_size: 528
    .kernarg_segment_align: 8
    .kernarg_segment_size: 320
    .language:       OpenCL C
    .language_version:
      - 2
      - 0
    .max_flat_workgroup_size: 1024
    .name:           _ZN4vllm39rms_norm_dynamic_per_token_quant_kernelIN3c104HalfENS1_13Float8_e4m3fnELb0EEEvPT0_PfPKT_S9_PKffiiPS7_
    .private_segment_fixed_size: 0
    .sgpr_count:     37
    .sgpr_spill_count: 0
    .symbol:         _ZN4vllm39rms_norm_dynamic_per_token_quant_kernelIN3c104HalfENS1_13Float8_e4m3fnELb0EEEvPT0_PfPKT_S9_PKffiiPS7_.kd
    .uniform_work_group_size: 1
    .uses_dynamic_stack: false
    .vgpr_count:     25
    .vgpr_spill_count: 0
    .wavefront_size: 32
    .workgroup_processor_mode: 1
  - .args:
      - .actual_access:  write_only
        .address_space:  global
        .offset:         0
        .size:           8
        .value_kind:     global_buffer
      - .actual_access:  write_only
        .address_space:  global
        .offset:         8
        .size:           8
        .value_kind:     global_buffer
      - .actual_access:  read_only
        .address_space:  global
        .offset:         16
        .size:           8
        .value_kind:     global_buffer
      - .actual_access:  read_only
        .address_space:  global
        .offset:         24
        .size:           8
        .value_kind:     global_buffer
      - .address_space:  global
        .offset:         32
        .size:           8
        .value_kind:     global_buffer
      - .offset:         40
        .size:           4
        .value_kind:     by_value
      - .offset:         44
        .size:           4
        .value_kind:     by_value
      - .offset:         48
        .size:           4
        .value_kind:     by_value
      - .actual_access:  read_only
        .address_space:  global
        .offset:         56
        .size:           8
        .value_kind:     global_buffer
      - .offset:         64
        .size:           4
        .value_kind:     hidden_block_count_x
      - .offset:         68
        .size:           4
        .value_kind:     hidden_block_count_y
      - .offset:         72
        .size:           4
        .value_kind:     hidden_block_count_z
      - .offset:         76
        .size:           2
        .value_kind:     hidden_group_size_x
      - .offset:         78
        .size:           2
        .value_kind:     hidden_group_size_y
      - .offset:         80
        .size:           2
        .value_kind:     hidden_group_size_z
      - .offset:         82
        .size:           2
        .value_kind:     hidden_remainder_x
      - .offset:         84
        .size:           2
        .value_kind:     hidden_remainder_y
      - .offset:         86
        .size:           2
        .value_kind:     hidden_remainder_z
      - .offset:         104
        .size:           8
        .value_kind:     hidden_global_offset_x
      - .offset:         112
        .size:           8
        .value_kind:     hidden_global_offset_y
      - .offset:         120
        .size:           8
        .value_kind:     hidden_global_offset_z
      - .offset:         128
        .size:           2
        .value_kind:     hidden_grid_dims
    .group_segment_fixed_size: 528
    .kernarg_segment_align: 8
    .kernarg_segment_size: 320
    .language:       OpenCL C
    .language_version:
      - 2
      - 0
    .max_flat_workgroup_size: 1024
    .name:           _ZN4vllm39rms_norm_dynamic_per_token_quant_kernelIN3c104HalfENS1_15Float8_e4m3fnuzELb0EEEvPT0_PfPKT_S9_PKffiiPS7_
    .private_segment_fixed_size: 0
    .sgpr_count:     37
    .sgpr_spill_count: 0
    .symbol:         _ZN4vllm39rms_norm_dynamic_per_token_quant_kernelIN3c104HalfENS1_15Float8_e4m3fnuzELb0EEEvPT0_PfPKT_S9_PKffiiPS7_.kd
    .uniform_work_group_size: 1
    .uses_dynamic_stack: false
    .vgpr_count:     25
    .vgpr_spill_count: 0
    .wavefront_size: 32
    .workgroup_processor_mode: 1
  - .args:
      - .actual_access:  write_only
        .address_space:  global
        .offset:         0
        .size:           8
        .value_kind:     global_buffer
      - .actual_access:  write_only
        .address_space:  global
        .offset:         8
        .size:           8
        .value_kind:     global_buffer
      - .actual_access:  read_only
        .address_space:  global
        .offset:         16
        .size:           8
        .value_kind:     global_buffer
      - .actual_access:  read_only
        .address_space:  global
        .offset:         24
        .size:           8
        .value_kind:     global_buffer
      - .address_space:  global
        .offset:         32
        .size:           8
        .value_kind:     global_buffer
      - .offset:         40
        .size:           4
        .value_kind:     by_value
      - .offset:         44
        .size:           4
        .value_kind:     by_value
      - .offset:         48
        .size:           4
        .value_kind:     by_value
      - .actual_access:  read_only
        .address_space:  global
        .offset:         56
        .size:           8
        .value_kind:     global_buffer
      - .offset:         64
        .size:           4
        .value_kind:     hidden_block_count_x
      - .offset:         68
        .size:           4
        .value_kind:     hidden_block_count_y
      - .offset:         72
        .size:           4
        .value_kind:     hidden_block_count_z
      - .offset:         76
        .size:           2
        .value_kind:     hidden_group_size_x
      - .offset:         78
        .size:           2
        .value_kind:     hidden_group_size_y
      - .offset:         80
        .size:           2
        .value_kind:     hidden_group_size_z
      - .offset:         82
        .size:           2
        .value_kind:     hidden_remainder_x
      - .offset:         84
        .size:           2
        .value_kind:     hidden_remainder_y
      - .offset:         86
        .size:           2
        .value_kind:     hidden_remainder_z
      - .offset:         104
        .size:           8
        .value_kind:     hidden_global_offset_x
      - .offset:         112
        .size:           8
        .value_kind:     hidden_global_offset_y
      - .offset:         120
        .size:           8
        .value_kind:     hidden_global_offset_z
      - .offset:         128
        .size:           2
        .value_kind:     hidden_grid_dims
    .group_segment_fixed_size: 528
    .kernarg_segment_align: 8
    .kernarg_segment_size: 320
    .language:       OpenCL C
    .language_version:
      - 2
      - 0
    .max_flat_workgroup_size: 1024
    .name:           _ZN4vllm39rms_norm_dynamic_per_token_quant_kernelIN3c104HalfEaLb0EEEvPT0_PfPKT_S8_PKffiiPS6_
    .private_segment_fixed_size: 0
    .sgpr_count:     37
    .sgpr_spill_count: 0
    .symbol:         _ZN4vllm39rms_norm_dynamic_per_token_quant_kernelIN3c104HalfEaLb0EEEvPT0_PfPKT_S8_PKffiiPS6_.kd
    .uniform_work_group_size: 1
    .uses_dynamic_stack: false
    .vgpr_count:     25
    .vgpr_spill_count: 0
    .wavefront_size: 32
    .workgroup_processor_mode: 1
  - .args:
      - .actual_access:  write_only
        .address_space:  global
        .offset:         0
        .size:           8
        .value_kind:     global_buffer
      - .actual_access:  write_only
        .address_space:  global
        .offset:         8
        .size:           8
        .value_kind:     global_buffer
      - .actual_access:  read_only
        .address_space:  global
        .offset:         16
        .size:           8
        .value_kind:     global_buffer
      - .actual_access:  read_only
        .address_space:  global
        .offset:         24
        .size:           8
        .value_kind:     global_buffer
      - .address_space:  global
        .offset:         32
        .size:           8
        .value_kind:     global_buffer
      - .offset:         40
        .size:           4
        .value_kind:     by_value
      - .offset:         44
        .size:           4
        .value_kind:     by_value
      - .offset:         48
        .size:           4
        .value_kind:     by_value
      - .address_space:  global
        .offset:         56
        .size:           8
        .value_kind:     global_buffer
      - .offset:         64
        .size:           4
        .value_kind:     hidden_block_count_x
      - .offset:         68
        .size:           4
        .value_kind:     hidden_block_count_y
      - .offset:         72
        .size:           4
        .value_kind:     hidden_block_count_z
      - .offset:         76
        .size:           2
        .value_kind:     hidden_group_size_x
      - .offset:         78
        .size:           2
        .value_kind:     hidden_group_size_y
      - .offset:         80
        .size:           2
        .value_kind:     hidden_group_size_z
      - .offset:         82
        .size:           2
        .value_kind:     hidden_remainder_x
      - .offset:         84
        .size:           2
        .value_kind:     hidden_remainder_y
      - .offset:         86
        .size:           2
        .value_kind:     hidden_remainder_z
      - .offset:         104
        .size:           8
        .value_kind:     hidden_global_offset_x
      - .offset:         112
        .size:           8
        .value_kind:     hidden_global_offset_y
      - .offset:         120
        .size:           8
        .value_kind:     hidden_global_offset_z
      - .offset:         128
        .size:           2
        .value_kind:     hidden_grid_dims
    .group_segment_fixed_size: 528
    .kernarg_segment_align: 8
    .kernarg_segment_size: 320
    .language:       OpenCL C
    .language_version:
      - 2
      - 0
    .max_flat_workgroup_size: 1024
    .name:           _ZN4vllm39rms_norm_dynamic_per_token_quant_kernelIN3c108BFloat16ENS1_13Float8_e4m3fnELb1EEEvPT0_PfPKT_S9_PKffiiPS7_
    .private_segment_fixed_size: 0
    .sgpr_count:     40
    .sgpr_spill_count: 0
    .symbol:         _ZN4vllm39rms_norm_dynamic_per_token_quant_kernelIN3c108BFloat16ENS1_13Float8_e4m3fnELb1EEEvPT0_PfPKT_S9_PKffiiPS7_.kd
    .uniform_work_group_size: 1
    .uses_dynamic_stack: false
    .vgpr_count:     29
    .vgpr_spill_count: 0
    .wavefront_size: 32
    .workgroup_processor_mode: 1
  - .args:
      - .actual_access:  write_only
        .address_space:  global
        .offset:         0
        .size:           8
        .value_kind:     global_buffer
      - .actual_access:  write_only
        .address_space:  global
        .offset:         8
        .size:           8
        .value_kind:     global_buffer
      - .actual_access:  read_only
        .address_space:  global
        .offset:         16
        .size:           8
        .value_kind:     global_buffer
      - .actual_access:  read_only
        .address_space:  global
        .offset:         24
        .size:           8
        .value_kind:     global_buffer
      - .address_space:  global
        .offset:         32
        .size:           8
        .value_kind:     global_buffer
      - .offset:         40
        .size:           4
        .value_kind:     by_value
      - .offset:         44
        .size:           4
        .value_kind:     by_value
      - .offset:         48
        .size:           4
        .value_kind:     by_value
      - .address_space:  global
        .offset:         56
        .size:           8
        .value_kind:     global_buffer
      - .offset:         64
        .size:           4
        .value_kind:     hidden_block_count_x
      - .offset:         68
        .size:           4
        .value_kind:     hidden_block_count_y
      - .offset:         72
        .size:           4
        .value_kind:     hidden_block_count_z
      - .offset:         76
        .size:           2
        .value_kind:     hidden_group_size_x
      - .offset:         78
        .size:           2
        .value_kind:     hidden_group_size_y
      - .offset:         80
        .size:           2
        .value_kind:     hidden_group_size_z
      - .offset:         82
        .size:           2
        .value_kind:     hidden_remainder_x
      - .offset:         84
        .size:           2
        .value_kind:     hidden_remainder_y
      - .offset:         86
        .size:           2
        .value_kind:     hidden_remainder_z
      - .offset:         104
        .size:           8
        .value_kind:     hidden_global_offset_x
      - .offset:         112
        .size:           8
        .value_kind:     hidden_global_offset_y
      - .offset:         120
        .size:           8
        .value_kind:     hidden_global_offset_z
      - .offset:         128
        .size:           2
        .value_kind:     hidden_grid_dims
    .group_segment_fixed_size: 528
    .kernarg_segment_align: 8
    .kernarg_segment_size: 320
    .language:       OpenCL C
    .language_version:
      - 2
      - 0
    .max_flat_workgroup_size: 1024
    .name:           _ZN4vllm39rms_norm_dynamic_per_token_quant_kernelIN3c108BFloat16ENS1_15Float8_e4m3fnuzELb1EEEvPT0_PfPKT_S9_PKffiiPS7_
    .private_segment_fixed_size: 0
    .sgpr_count:     40
    .sgpr_spill_count: 0
    .symbol:         _ZN4vllm39rms_norm_dynamic_per_token_quant_kernelIN3c108BFloat16ENS1_15Float8_e4m3fnuzELb1EEEvPT0_PfPKT_S9_PKffiiPS7_.kd
    .uniform_work_group_size: 1
    .uses_dynamic_stack: false
    .vgpr_count:     29
    .vgpr_spill_count: 0
    .wavefront_size: 32
    .workgroup_processor_mode: 1
  - .args:
      - .actual_access:  write_only
        .address_space:  global
        .offset:         0
        .size:           8
        .value_kind:     global_buffer
      - .actual_access:  write_only
        .address_space:  global
        .offset:         8
        .size:           8
        .value_kind:     global_buffer
      - .actual_access:  read_only
        .address_space:  global
        .offset:         16
        .size:           8
        .value_kind:     global_buffer
      - .actual_access:  read_only
        .address_space:  global
        .offset:         24
        .size:           8
        .value_kind:     global_buffer
      - .address_space:  global
        .offset:         32
        .size:           8
        .value_kind:     global_buffer
      - .offset:         40
        .size:           4
        .value_kind:     by_value
      - .offset:         44
        .size:           4
        .value_kind:     by_value
      - .offset:         48
        .size:           4
        .value_kind:     by_value
      - .address_space:  global
        .offset:         56
        .size:           8
        .value_kind:     global_buffer
      - .offset:         64
        .size:           4
        .value_kind:     hidden_block_count_x
      - .offset:         68
        .size:           4
        .value_kind:     hidden_block_count_y
      - .offset:         72
        .size:           4
        .value_kind:     hidden_block_count_z
      - .offset:         76
        .size:           2
        .value_kind:     hidden_group_size_x
      - .offset:         78
        .size:           2
        .value_kind:     hidden_group_size_y
      - .offset:         80
        .size:           2
        .value_kind:     hidden_group_size_z
      - .offset:         82
        .size:           2
        .value_kind:     hidden_remainder_x
      - .offset:         84
        .size:           2
        .value_kind:     hidden_remainder_y
      - .offset:         86
        .size:           2
        .value_kind:     hidden_remainder_z
      - .offset:         104
        .size:           8
        .value_kind:     hidden_global_offset_x
      - .offset:         112
        .size:           8
        .value_kind:     hidden_global_offset_y
      - .offset:         120
        .size:           8
        .value_kind:     hidden_global_offset_z
      - .offset:         128
        .size:           2
        .value_kind:     hidden_grid_dims
    .group_segment_fixed_size: 528
    .kernarg_segment_align: 8
    .kernarg_segment_size: 320
    .language:       OpenCL C
    .language_version:
      - 2
      - 0
    .max_flat_workgroup_size: 1024
    .name:           _ZN4vllm39rms_norm_dynamic_per_token_quant_kernelIN3c108BFloat16EaLb1EEEvPT0_PfPKT_S8_PKffiiPS6_
    .private_segment_fixed_size: 0
    .sgpr_count:     40
    .sgpr_spill_count: 0
    .symbol:         _ZN4vllm39rms_norm_dynamic_per_token_quant_kernelIN3c108BFloat16EaLb1EEEvPT0_PfPKT_S8_PKffiiPS6_.kd
    .uniform_work_group_size: 1
    .uses_dynamic_stack: false
    .vgpr_count:     29
    .vgpr_spill_count: 0
    .wavefront_size: 32
    .workgroup_processor_mode: 1
  - .args:
      - .actual_access:  write_only
        .address_space:  global
        .offset:         0
        .size:           8
        .value_kind:     global_buffer
      - .actual_access:  write_only
        .address_space:  global
        .offset:         8
        .size:           8
        .value_kind:     global_buffer
      - .actual_access:  read_only
        .address_space:  global
        .offset:         16
        .size:           8
        .value_kind:     global_buffer
      - .actual_access:  read_only
        .address_space:  global
        .offset:         24
        .size:           8
        .value_kind:     global_buffer
      - .address_space:  global
        .offset:         32
        .size:           8
        .value_kind:     global_buffer
      - .offset:         40
        .size:           4
        .value_kind:     by_value
      - .offset:         44
        .size:           4
        .value_kind:     by_value
      - .offset:         48
        .size:           4
        .value_kind:     by_value
      - .actual_access:  read_only
        .address_space:  global
        .offset:         56
        .size:           8
        .value_kind:     global_buffer
      - .offset:         64
        .size:           4
        .value_kind:     hidden_block_count_x
      - .offset:         68
        .size:           4
        .value_kind:     hidden_block_count_y
      - .offset:         72
        .size:           4
        .value_kind:     hidden_block_count_z
      - .offset:         76
        .size:           2
        .value_kind:     hidden_group_size_x
      - .offset:         78
        .size:           2
        .value_kind:     hidden_group_size_y
      - .offset:         80
        .size:           2
        .value_kind:     hidden_group_size_z
      - .offset:         82
        .size:           2
        .value_kind:     hidden_remainder_x
      - .offset:         84
        .size:           2
        .value_kind:     hidden_remainder_y
      - .offset:         86
        .size:           2
        .value_kind:     hidden_remainder_z
      - .offset:         104
        .size:           8
        .value_kind:     hidden_global_offset_x
      - .offset:         112
        .size:           8
        .value_kind:     hidden_global_offset_y
      - .offset:         120
        .size:           8
        .value_kind:     hidden_global_offset_z
      - .offset:         128
        .size:           2
        .value_kind:     hidden_grid_dims
    .group_segment_fixed_size: 528
    .kernarg_segment_align: 8
    .kernarg_segment_size: 320
    .language:       OpenCL C
    .language_version:
      - 2
      - 0
    .max_flat_workgroup_size: 1024
    .name:           _ZN4vllm39rms_norm_dynamic_per_token_quant_kernelIN3c108BFloat16ENS1_13Float8_e4m3fnELb0EEEvPT0_PfPKT_S9_PKffiiPS7_
    .private_segment_fixed_size: 0
    .sgpr_count:     37
    .sgpr_spill_count: 0
    .symbol:         _ZN4vllm39rms_norm_dynamic_per_token_quant_kernelIN3c108BFloat16ENS1_13Float8_e4m3fnELb0EEEvPT0_PfPKT_S9_PKffiiPS7_.kd
    .uniform_work_group_size: 1
    .uses_dynamic_stack: false
    .vgpr_count:     29
    .vgpr_spill_count: 0
    .wavefront_size: 32
    .workgroup_processor_mode: 1
  - .args:
      - .actual_access:  write_only
        .address_space:  global
        .offset:         0
        .size:           8
        .value_kind:     global_buffer
      - .actual_access:  write_only
        .address_space:  global
        .offset:         8
        .size:           8
        .value_kind:     global_buffer
      - .actual_access:  read_only
        .address_space:  global
        .offset:         16
        .size:           8
        .value_kind:     global_buffer
      - .actual_access:  read_only
        .address_space:  global
        .offset:         24
        .size:           8
        .value_kind:     global_buffer
      - .address_space:  global
        .offset:         32
        .size:           8
        .value_kind:     global_buffer
      - .offset:         40
        .size:           4
        .value_kind:     by_value
      - .offset:         44
        .size:           4
        .value_kind:     by_value
      - .offset:         48
        .size:           4
        .value_kind:     by_value
      - .actual_access:  read_only
        .address_space:  global
        .offset:         56
        .size:           8
        .value_kind:     global_buffer
      - .offset:         64
        .size:           4
        .value_kind:     hidden_block_count_x
      - .offset:         68
        .size:           4
        .value_kind:     hidden_block_count_y
      - .offset:         72
        .size:           4
        .value_kind:     hidden_block_count_z
      - .offset:         76
        .size:           2
        .value_kind:     hidden_group_size_x
      - .offset:         78
        .size:           2
        .value_kind:     hidden_group_size_y
      - .offset:         80
        .size:           2
        .value_kind:     hidden_group_size_z
      - .offset:         82
        .size:           2
        .value_kind:     hidden_remainder_x
      - .offset:         84
        .size:           2
        .value_kind:     hidden_remainder_y
      - .offset:         86
        .size:           2
        .value_kind:     hidden_remainder_z
      - .offset:         104
        .size:           8
        .value_kind:     hidden_global_offset_x
      - .offset:         112
        .size:           8
        .value_kind:     hidden_global_offset_y
      - .offset:         120
        .size:           8
        .value_kind:     hidden_global_offset_z
      - .offset:         128
        .size:           2
        .value_kind:     hidden_grid_dims
    .group_segment_fixed_size: 528
    .kernarg_segment_align: 8
    .kernarg_segment_size: 320
    .language:       OpenCL C
    .language_version:
      - 2
      - 0
    .max_flat_workgroup_size: 1024
    .name:           _ZN4vllm39rms_norm_dynamic_per_token_quant_kernelIN3c108BFloat16ENS1_15Float8_e4m3fnuzELb0EEEvPT0_PfPKT_S9_PKffiiPS7_
    .private_segment_fixed_size: 0
    .sgpr_count:     37
    .sgpr_spill_count: 0
    .symbol:         _ZN4vllm39rms_norm_dynamic_per_token_quant_kernelIN3c108BFloat16ENS1_15Float8_e4m3fnuzELb0EEEvPT0_PfPKT_S9_PKffiiPS7_.kd
    .uniform_work_group_size: 1
    .uses_dynamic_stack: false
    .vgpr_count:     29
    .vgpr_spill_count: 0
    .wavefront_size: 32
    .workgroup_processor_mode: 1
  - .args:
      - .actual_access:  write_only
        .address_space:  global
        .offset:         0
        .size:           8
        .value_kind:     global_buffer
      - .actual_access:  write_only
        .address_space:  global
        .offset:         8
        .size:           8
        .value_kind:     global_buffer
      - .actual_access:  read_only
        .address_space:  global
        .offset:         16
        .size:           8
        .value_kind:     global_buffer
      - .actual_access:  read_only
        .address_space:  global
        .offset:         24
        .size:           8
        .value_kind:     global_buffer
      - .address_space:  global
        .offset:         32
        .size:           8
        .value_kind:     global_buffer
      - .offset:         40
        .size:           4
        .value_kind:     by_value
      - .offset:         44
        .size:           4
        .value_kind:     by_value
      - .offset:         48
        .size:           4
        .value_kind:     by_value
      - .actual_access:  read_only
        .address_space:  global
        .offset:         56
        .size:           8
        .value_kind:     global_buffer
      - .offset:         64
        .size:           4
        .value_kind:     hidden_block_count_x
      - .offset:         68
        .size:           4
        .value_kind:     hidden_block_count_y
      - .offset:         72
        .size:           4
        .value_kind:     hidden_block_count_z
      - .offset:         76
        .size:           2
        .value_kind:     hidden_group_size_x
      - .offset:         78
        .size:           2
        .value_kind:     hidden_group_size_y
      - .offset:         80
        .size:           2
        .value_kind:     hidden_group_size_z
      - .offset:         82
        .size:           2
        .value_kind:     hidden_remainder_x
      - .offset:         84
        .size:           2
        .value_kind:     hidden_remainder_y
      - .offset:         86
        .size:           2
        .value_kind:     hidden_remainder_z
      - .offset:         104
        .size:           8
        .value_kind:     hidden_global_offset_x
      - .offset:         112
        .size:           8
        .value_kind:     hidden_global_offset_y
      - .offset:         120
        .size:           8
        .value_kind:     hidden_global_offset_z
      - .offset:         128
        .size:           2
        .value_kind:     hidden_grid_dims
    .group_segment_fixed_size: 528
    .kernarg_segment_align: 8
    .kernarg_segment_size: 320
    .language:       OpenCL C
    .language_version:
      - 2
      - 0
    .max_flat_workgroup_size: 1024
    .name:           _ZN4vllm39rms_norm_dynamic_per_token_quant_kernelIN3c108BFloat16EaLb0EEEvPT0_PfPKT_S8_PKffiiPS6_
    .private_segment_fixed_size: 0
    .sgpr_count:     37
    .sgpr_spill_count: 0
    .symbol:         _ZN4vllm39rms_norm_dynamic_per_token_quant_kernelIN3c108BFloat16EaLb0EEEvPT0_PfPKT_S8_PKffiiPS6_.kd
    .uniform_work_group_size: 1
    .uses_dynamic_stack: false
    .vgpr_count:     29
    .vgpr_spill_count: 0
    .wavefront_size: 32
    .workgroup_processor_mode: 1
  - .args:
      - .actual_access:  write_only
        .address_space:  global
        .offset:         0
        .size:           8
        .value_kind:     global_buffer
      - .address_space:  global
        .offset:         8
        .size:           8
        .value_kind:     global_buffer
      - .actual_access:  read_only
        .address_space:  global
        .offset:         16
        .size:           8
        .value_kind:     global_buffer
      - .actual_access:  read_only
        .address_space:  global
        .offset:         24
        .size:           8
        .value_kind:     global_buffer
      - .address_space:  global
        .offset:         32
        .size:           8
        .value_kind:     global_buffer
      - .offset:         40
        .size:           4
        .value_kind:     by_value
      - .offset:         44
        .size:           4
        .value_kind:     by_value
      - .offset:         48
        .size:           4
        .value_kind:     by_value
      - .address_space:  global
        .offset:         56
        .size:           8
        .value_kind:     global_buffer
      - .offset:         64
        .size:           8
        .value_kind:     by_value
      - .offset:         72
        .size:           4
        .value_kind:     hidden_block_count_x
      - .offset:         76
        .size:           4
        .value_kind:     hidden_block_count_y
      - .offset:         80
        .size:           4
        .value_kind:     hidden_block_count_z
      - .offset:         84
        .size:           2
        .value_kind:     hidden_group_size_x
      - .offset:         86
        .size:           2
        .value_kind:     hidden_group_size_y
      - .offset:         88
        .size:           2
        .value_kind:     hidden_group_size_z
      - .offset:         90
        .size:           2
        .value_kind:     hidden_remainder_x
      - .offset:         92
        .size:           2
        .value_kind:     hidden_remainder_y
      - .offset:         94
        .size:           2
        .value_kind:     hidden_remainder_z
      - .offset:         112
        .size:           8
        .value_kind:     hidden_global_offset_x
      - .offset:         120
        .size:           8
        .value_kind:     hidden_global_offset_y
      - .offset:         128
        .size:           8
        .value_kind:     hidden_global_offset_z
      - .offset:         136
        .size:           2
        .value_kind:     hidden_grid_dims
    .group_segment_fixed_size: 4228
    .kernarg_segment_align: 8
    .kernarg_segment_size: 328
    .language:       OpenCL C
    .language_version:
      - 2
      - 0
    .max_flat_workgroup_size: 1024
    .name:           _ZN4vllm31rms_norm_per_block_quant_kernelIfN3c1013Float8_e4m3fnELb1ELb1ELi128EEEvPT0_PfPKT_S8_PKffiiPS6_l
    .private_segment_fixed_size: 0
    .sgpr_count:     44
    .sgpr_spill_count: 0
    .symbol:         _ZN4vllm31rms_norm_per_block_quant_kernelIfN3c1013Float8_e4m3fnELb1ELb1ELi128EEEvPT0_PfPKT_S8_PKffiiPS6_l.kd
    .uniform_work_group_size: 1
    .uses_dynamic_stack: false
    .vgpr_count:     37
    .vgpr_spill_count: 0
    .wavefront_size: 32
    .workgroup_processor_mode: 1
  - .args:
      - .actual_access:  write_only
        .address_space:  global
        .offset:         0
        .size:           8
        .value_kind:     global_buffer
      - .address_space:  global
        .offset:         8
        .size:           8
        .value_kind:     global_buffer
      - .actual_access:  read_only
        .address_space:  global
        .offset:         16
        .size:           8
        .value_kind:     global_buffer
      - .actual_access:  read_only
        .address_space:  global
        .offset:         24
        .size:           8
        .value_kind:     global_buffer
      - .address_space:  global
        .offset:         32
        .size:           8
        .value_kind:     global_buffer
      - .offset:         40
        .size:           4
        .value_kind:     by_value
      - .offset:         44
        .size:           4
        .value_kind:     by_value
      - .offset:         48
        .size:           4
        .value_kind:     by_value
      - .address_space:  global
        .offset:         56
        .size:           8
        .value_kind:     global_buffer
      - .offset:         64
        .size:           8
        .value_kind:     by_value
      - .offset:         72
        .size:           4
        .value_kind:     hidden_block_count_x
      - .offset:         76
        .size:           4
        .value_kind:     hidden_block_count_y
      - .offset:         80
        .size:           4
        .value_kind:     hidden_block_count_z
      - .offset:         84
        .size:           2
        .value_kind:     hidden_group_size_x
      - .offset:         86
        .size:           2
        .value_kind:     hidden_group_size_y
      - .offset:         88
        .size:           2
        .value_kind:     hidden_group_size_z
      - .offset:         90
        .size:           2
        .value_kind:     hidden_remainder_x
      - .offset:         92
        .size:           2
        .value_kind:     hidden_remainder_y
      - .offset:         94
        .size:           2
        .value_kind:     hidden_remainder_z
      - .offset:         112
        .size:           8
        .value_kind:     hidden_global_offset_x
      - .offset:         120
        .size:           8
        .value_kind:     hidden_global_offset_y
      - .offset:         128
        .size:           8
        .value_kind:     hidden_global_offset_z
      - .offset:         136
        .size:           2
        .value_kind:     hidden_grid_dims
    .group_segment_fixed_size: 4228
    .kernarg_segment_align: 8
    .kernarg_segment_size: 328
    .language:       OpenCL C
    .language_version:
      - 2
      - 0
    .max_flat_workgroup_size: 1024
    .name:           _ZN4vllm31rms_norm_per_block_quant_kernelIfN3c1015Float8_e4m3fnuzELb1ELb1ELi128EEEvPT0_PfPKT_S8_PKffiiPS6_l
    .private_segment_fixed_size: 0
    .sgpr_count:     44
    .sgpr_spill_count: 0
    .symbol:         _ZN4vllm31rms_norm_per_block_quant_kernelIfN3c1015Float8_e4m3fnuzELb1ELb1ELi128EEEvPT0_PfPKT_S8_PKffiiPS6_l.kd
    .uniform_work_group_size: 1
    .uses_dynamic_stack: false
    .vgpr_count:     37
    .vgpr_spill_count: 0
    .wavefront_size: 32
    .workgroup_processor_mode: 1
  - .args:
      - .actual_access:  write_only
        .address_space:  global
        .offset:         0
        .size:           8
        .value_kind:     global_buffer
      - .address_space:  global
        .offset:         8
        .size:           8
        .value_kind:     global_buffer
      - .actual_access:  read_only
        .address_space:  global
        .offset:         16
        .size:           8
        .value_kind:     global_buffer
      - .actual_access:  read_only
        .address_space:  global
        .offset:         24
        .size:           8
        .value_kind:     global_buffer
      - .address_space:  global
        .offset:         32
        .size:           8
        .value_kind:     global_buffer
      - .offset:         40
        .size:           4
        .value_kind:     by_value
      - .offset:         44
        .size:           4
        .value_kind:     by_value
      - .offset:         48
        .size:           4
        .value_kind:     by_value
      - .address_space:  global
        .offset:         56
        .size:           8
        .value_kind:     global_buffer
      - .offset:         64
        .size:           8
        .value_kind:     by_value
      - .offset:         72
        .size:           4
        .value_kind:     hidden_block_count_x
      - .offset:         76
        .size:           4
        .value_kind:     hidden_block_count_y
      - .offset:         80
        .size:           4
        .value_kind:     hidden_block_count_z
      - .offset:         84
        .size:           2
        .value_kind:     hidden_group_size_x
      - .offset:         86
        .size:           2
        .value_kind:     hidden_group_size_y
      - .offset:         88
        .size:           2
        .value_kind:     hidden_group_size_z
      - .offset:         90
        .size:           2
        .value_kind:     hidden_remainder_x
      - .offset:         92
        .size:           2
        .value_kind:     hidden_remainder_y
      - .offset:         94
        .size:           2
        .value_kind:     hidden_remainder_z
      - .offset:         112
        .size:           8
        .value_kind:     hidden_global_offset_x
      - .offset:         120
        .size:           8
        .value_kind:     hidden_global_offset_y
      - .offset:         128
        .size:           8
        .value_kind:     hidden_global_offset_z
      - .offset:         136
        .size:           2
        .value_kind:     hidden_grid_dims
    .group_segment_fixed_size: 4228
    .kernarg_segment_align: 8
    .kernarg_segment_size: 328
    .language:       OpenCL C
    .language_version:
      - 2
      - 0
    .max_flat_workgroup_size: 1024
    .name:           _ZN4vllm31rms_norm_per_block_quant_kernelIfaLb1ELb1ELi128EEEvPT0_PfPKT_S6_PKffiiPS4_l
    .private_segment_fixed_size: 0
    .sgpr_count:     44
    .sgpr_spill_count: 0
    .symbol:         _ZN4vllm31rms_norm_per_block_quant_kernelIfaLb1ELb1ELi128EEEvPT0_PfPKT_S6_PKffiiPS4_l.kd
    .uniform_work_group_size: 1
    .uses_dynamic_stack: false
    .vgpr_count:     37
    .vgpr_spill_count: 0
    .wavefront_size: 32
    .workgroup_processor_mode: 1
  - .args:
      - .actual_access:  write_only
        .address_space:  global
        .offset:         0
        .size:           8
        .value_kind:     global_buffer
      - .address_space:  global
        .offset:         8
        .size:           8
        .value_kind:     global_buffer
      - .actual_access:  read_only
        .address_space:  global
        .offset:         16
        .size:           8
        .value_kind:     global_buffer
      - .actual_access:  read_only
        .address_space:  global
        .offset:         24
        .size:           8
        .value_kind:     global_buffer
      - .address_space:  global
        .offset:         32
        .size:           8
        .value_kind:     global_buffer
      - .offset:         40
        .size:           4
        .value_kind:     by_value
      - .offset:         44
        .size:           4
        .value_kind:     by_value
      - .offset:         48
        .size:           4
        .value_kind:     by_value
      - .address_space:  global
        .offset:         56
        .size:           8
        .value_kind:     global_buffer
      - .offset:         64
        .size:           8
        .value_kind:     by_value
      - .offset:         72
        .size:           4
        .value_kind:     hidden_block_count_x
      - .offset:         76
        .size:           4
        .value_kind:     hidden_block_count_y
      - .offset:         80
        .size:           4
        .value_kind:     hidden_block_count_z
      - .offset:         84
        .size:           2
        .value_kind:     hidden_group_size_x
      - .offset:         86
        .size:           2
        .value_kind:     hidden_group_size_y
      - .offset:         88
        .size:           2
        .value_kind:     hidden_group_size_z
      - .offset:         90
        .size:           2
        .value_kind:     hidden_remainder_x
      - .offset:         92
        .size:           2
        .value_kind:     hidden_remainder_y
      - .offset:         94
        .size:           2
        .value_kind:     hidden_remainder_z
      - .offset:         112
        .size:           8
        .value_kind:     hidden_global_offset_x
      - .offset:         120
        .size:           8
        .value_kind:     hidden_global_offset_y
      - .offset:         128
        .size:           8
        .value_kind:     hidden_global_offset_z
      - .offset:         136
        .size:           2
        .value_kind:     hidden_grid_dims
    .group_segment_fixed_size: 4228
    .kernarg_segment_align: 8
    .kernarg_segment_size: 328
    .language:       OpenCL C
    .language_version:
      - 2
      - 0
    .max_flat_workgroup_size: 1024
    .name:           _ZN4vllm31rms_norm_per_block_quant_kernelIfN3c1013Float8_e4m3fnELb1ELb0ELi128EEEvPT0_PfPKT_S8_PKffiiPS6_l
    .private_segment_fixed_size: 0
    .sgpr_count:     42
    .sgpr_spill_count: 0
    .symbol:         _ZN4vllm31rms_norm_per_block_quant_kernelIfN3c1013Float8_e4m3fnELb1ELb0ELi128EEEvPT0_PfPKT_S8_PKffiiPS6_l.kd
    .uniform_work_group_size: 1
    .uses_dynamic_stack: false
    .vgpr_count:     37
    .vgpr_spill_count: 0
    .wavefront_size: 32
    .workgroup_processor_mode: 1
  - .args:
      - .actual_access:  write_only
        .address_space:  global
        .offset:         0
        .size:           8
        .value_kind:     global_buffer
      - .address_space:  global
        .offset:         8
        .size:           8
        .value_kind:     global_buffer
      - .actual_access:  read_only
        .address_space:  global
        .offset:         16
        .size:           8
        .value_kind:     global_buffer
      - .actual_access:  read_only
        .address_space:  global
        .offset:         24
        .size:           8
        .value_kind:     global_buffer
      - .address_space:  global
        .offset:         32
        .size:           8
        .value_kind:     global_buffer
      - .offset:         40
        .size:           4
        .value_kind:     by_value
      - .offset:         44
        .size:           4
        .value_kind:     by_value
      - .offset:         48
        .size:           4
        .value_kind:     by_value
      - .address_space:  global
        .offset:         56
        .size:           8
        .value_kind:     global_buffer
      - .offset:         64
        .size:           8
        .value_kind:     by_value
      - .offset:         72
        .size:           4
        .value_kind:     hidden_block_count_x
      - .offset:         76
        .size:           4
        .value_kind:     hidden_block_count_y
      - .offset:         80
        .size:           4
        .value_kind:     hidden_block_count_z
      - .offset:         84
        .size:           2
        .value_kind:     hidden_group_size_x
      - .offset:         86
        .size:           2
        .value_kind:     hidden_group_size_y
      - .offset:         88
        .size:           2
        .value_kind:     hidden_group_size_z
      - .offset:         90
        .size:           2
        .value_kind:     hidden_remainder_x
      - .offset:         92
        .size:           2
        .value_kind:     hidden_remainder_y
      - .offset:         94
        .size:           2
        .value_kind:     hidden_remainder_z
      - .offset:         112
        .size:           8
        .value_kind:     hidden_global_offset_x
      - .offset:         120
        .size:           8
        .value_kind:     hidden_global_offset_y
      - .offset:         128
        .size:           8
        .value_kind:     hidden_global_offset_z
      - .offset:         136
        .size:           2
        .value_kind:     hidden_grid_dims
    .group_segment_fixed_size: 4228
    .kernarg_segment_align: 8
    .kernarg_segment_size: 328
    .language:       OpenCL C
    .language_version:
      - 2
      - 0
    .max_flat_workgroup_size: 1024
    .name:           _ZN4vllm31rms_norm_per_block_quant_kernelIfN3c1015Float8_e4m3fnuzELb1ELb0ELi128EEEvPT0_PfPKT_S8_PKffiiPS6_l
    .private_segment_fixed_size: 0
    .sgpr_count:     42
    .sgpr_spill_count: 0
    .symbol:         _ZN4vllm31rms_norm_per_block_quant_kernelIfN3c1015Float8_e4m3fnuzELb1ELb0ELi128EEEvPT0_PfPKT_S8_PKffiiPS6_l.kd
    .uniform_work_group_size: 1
    .uses_dynamic_stack: false
    .vgpr_count:     37
    .vgpr_spill_count: 0
    .wavefront_size: 32
    .workgroup_processor_mode: 1
  - .args:
      - .actual_access:  write_only
        .address_space:  global
        .offset:         0
        .size:           8
        .value_kind:     global_buffer
      - .address_space:  global
        .offset:         8
        .size:           8
        .value_kind:     global_buffer
      - .actual_access:  read_only
        .address_space:  global
        .offset:         16
        .size:           8
        .value_kind:     global_buffer
      - .actual_access:  read_only
        .address_space:  global
        .offset:         24
        .size:           8
        .value_kind:     global_buffer
      - .address_space:  global
        .offset:         32
        .size:           8
        .value_kind:     global_buffer
      - .offset:         40
        .size:           4
        .value_kind:     by_value
      - .offset:         44
        .size:           4
        .value_kind:     by_value
      - .offset:         48
        .size:           4
        .value_kind:     by_value
      - .address_space:  global
        .offset:         56
        .size:           8
        .value_kind:     global_buffer
      - .offset:         64
        .size:           8
        .value_kind:     by_value
      - .offset:         72
        .size:           4
        .value_kind:     hidden_block_count_x
      - .offset:         76
        .size:           4
        .value_kind:     hidden_block_count_y
      - .offset:         80
        .size:           4
        .value_kind:     hidden_block_count_z
      - .offset:         84
        .size:           2
        .value_kind:     hidden_group_size_x
      - .offset:         86
        .size:           2
        .value_kind:     hidden_group_size_y
      - .offset:         88
        .size:           2
        .value_kind:     hidden_group_size_z
      - .offset:         90
        .size:           2
        .value_kind:     hidden_remainder_x
      - .offset:         92
        .size:           2
        .value_kind:     hidden_remainder_y
      - .offset:         94
        .size:           2
        .value_kind:     hidden_remainder_z
      - .offset:         112
        .size:           8
        .value_kind:     hidden_global_offset_x
      - .offset:         120
        .size:           8
        .value_kind:     hidden_global_offset_y
      - .offset:         128
        .size:           8
        .value_kind:     hidden_global_offset_z
      - .offset:         136
        .size:           2
        .value_kind:     hidden_grid_dims
    .group_segment_fixed_size: 4228
    .kernarg_segment_align: 8
    .kernarg_segment_size: 328
    .language:       OpenCL C
    .language_version:
      - 2
      - 0
    .max_flat_workgroup_size: 1024
    .name:           _ZN4vllm31rms_norm_per_block_quant_kernelIfaLb1ELb0ELi128EEEvPT0_PfPKT_S6_PKffiiPS4_l
    .private_segment_fixed_size: 0
    .sgpr_count:     42
    .sgpr_spill_count: 0
    .symbol:         _ZN4vllm31rms_norm_per_block_quant_kernelIfaLb1ELb0ELi128EEEvPT0_PfPKT_S6_PKffiiPS4_l.kd
    .uniform_work_group_size: 1
    .uses_dynamic_stack: false
    .vgpr_count:     37
    .vgpr_spill_count: 0
    .wavefront_size: 32
    .workgroup_processor_mode: 1
  - .args:
      - .actual_access:  write_only
        .address_space:  global
        .offset:         0
        .size:           8
        .value_kind:     global_buffer
      - .address_space:  global
        .offset:         8
        .size:           8
        .value_kind:     global_buffer
      - .actual_access:  read_only
        .address_space:  global
        .offset:         16
        .size:           8
        .value_kind:     global_buffer
      - .actual_access:  read_only
        .address_space:  global
        .offset:         24
        .size:           8
        .value_kind:     global_buffer
      - .address_space:  global
        .offset:         32
        .size:           8
        .value_kind:     global_buffer
      - .offset:         40
        .size:           4
        .value_kind:     by_value
      - .offset:         44
        .size:           4
        .value_kind:     by_value
      - .offset:         48
        .size:           4
        .value_kind:     by_value
      - .actual_access:  read_only
        .address_space:  global
        .offset:         56
        .size:           8
        .value_kind:     global_buffer
      - .offset:         64
        .size:           8
        .value_kind:     by_value
      - .offset:         72
        .size:           4
        .value_kind:     hidden_block_count_x
      - .offset:         76
        .size:           4
        .value_kind:     hidden_block_count_y
      - .offset:         80
        .size:           4
        .value_kind:     hidden_block_count_z
      - .offset:         84
        .size:           2
        .value_kind:     hidden_group_size_x
      - .offset:         86
        .size:           2
        .value_kind:     hidden_group_size_y
      - .offset:         88
        .size:           2
        .value_kind:     hidden_group_size_z
      - .offset:         90
        .size:           2
        .value_kind:     hidden_remainder_x
      - .offset:         92
        .size:           2
        .value_kind:     hidden_remainder_y
      - .offset:         94
        .size:           2
        .value_kind:     hidden_remainder_z
      - .offset:         112
        .size:           8
        .value_kind:     hidden_global_offset_x
      - .offset:         120
        .size:           8
        .value_kind:     hidden_global_offset_y
      - .offset:         128
        .size:           8
        .value_kind:     hidden_global_offset_z
      - .offset:         136
        .size:           2
        .value_kind:     hidden_grid_dims
    .group_segment_fixed_size: 4228
    .kernarg_segment_align: 8
    .kernarg_segment_size: 328
    .language:       OpenCL C
    .language_version:
      - 2
      - 0
    .max_flat_workgroup_size: 1024
    .name:           _ZN4vllm31rms_norm_per_block_quant_kernelIfN3c1013Float8_e4m3fnELb0ELb1ELi128EEEvPT0_PfPKT_S8_PKffiiPS6_l
    .private_segment_fixed_size: 0
    .sgpr_count:     40
    .sgpr_spill_count: 0
    .symbol:         _ZN4vllm31rms_norm_per_block_quant_kernelIfN3c1013Float8_e4m3fnELb0ELb1ELi128EEEvPT0_PfPKT_S8_PKffiiPS6_l.kd
    .uniform_work_group_size: 1
    .uses_dynamic_stack: false
    .vgpr_count:     35
    .vgpr_spill_count: 0
    .wavefront_size: 32
    .workgroup_processor_mode: 1
  - .args:
      - .actual_access:  write_only
        .address_space:  global
        .offset:         0
        .size:           8
        .value_kind:     global_buffer
      - .address_space:  global
        .offset:         8
        .size:           8
        .value_kind:     global_buffer
      - .actual_access:  read_only
        .address_space:  global
        .offset:         16
        .size:           8
        .value_kind:     global_buffer
      - .actual_access:  read_only
        .address_space:  global
        .offset:         24
        .size:           8
        .value_kind:     global_buffer
      - .address_space:  global
        .offset:         32
        .size:           8
        .value_kind:     global_buffer
      - .offset:         40
        .size:           4
        .value_kind:     by_value
      - .offset:         44
        .size:           4
        .value_kind:     by_value
      - .offset:         48
        .size:           4
        .value_kind:     by_value
      - .actual_access:  read_only
        .address_space:  global
        .offset:         56
        .size:           8
        .value_kind:     global_buffer
      - .offset:         64
        .size:           8
        .value_kind:     by_value
      - .offset:         72
        .size:           4
        .value_kind:     hidden_block_count_x
      - .offset:         76
        .size:           4
        .value_kind:     hidden_block_count_y
      - .offset:         80
        .size:           4
        .value_kind:     hidden_block_count_z
      - .offset:         84
        .size:           2
        .value_kind:     hidden_group_size_x
      - .offset:         86
        .size:           2
        .value_kind:     hidden_group_size_y
      - .offset:         88
        .size:           2
        .value_kind:     hidden_group_size_z
      - .offset:         90
        .size:           2
        .value_kind:     hidden_remainder_x
      - .offset:         92
        .size:           2
        .value_kind:     hidden_remainder_y
      - .offset:         94
        .size:           2
        .value_kind:     hidden_remainder_z
      - .offset:         112
        .size:           8
        .value_kind:     hidden_global_offset_x
      - .offset:         120
        .size:           8
        .value_kind:     hidden_global_offset_y
      - .offset:         128
        .size:           8
        .value_kind:     hidden_global_offset_z
      - .offset:         136
        .size:           2
        .value_kind:     hidden_grid_dims
    .group_segment_fixed_size: 4228
    .kernarg_segment_align: 8
    .kernarg_segment_size: 328
    .language:       OpenCL C
    .language_version:
      - 2
      - 0
    .max_flat_workgroup_size: 1024
    .name:           _ZN4vllm31rms_norm_per_block_quant_kernelIfN3c1015Float8_e4m3fnuzELb0ELb1ELi128EEEvPT0_PfPKT_S8_PKffiiPS6_l
    .private_segment_fixed_size: 0
    .sgpr_count:     40
    .sgpr_spill_count: 0
    .symbol:         _ZN4vllm31rms_norm_per_block_quant_kernelIfN3c1015Float8_e4m3fnuzELb0ELb1ELi128EEEvPT0_PfPKT_S8_PKffiiPS6_l.kd
    .uniform_work_group_size: 1
    .uses_dynamic_stack: false
    .vgpr_count:     35
    .vgpr_spill_count: 0
    .wavefront_size: 32
    .workgroup_processor_mode: 1
  - .args:
      - .actual_access:  write_only
        .address_space:  global
        .offset:         0
        .size:           8
        .value_kind:     global_buffer
      - .address_space:  global
        .offset:         8
        .size:           8
        .value_kind:     global_buffer
      - .actual_access:  read_only
        .address_space:  global
        .offset:         16
        .size:           8
        .value_kind:     global_buffer
      - .actual_access:  read_only
        .address_space:  global
        .offset:         24
        .size:           8
        .value_kind:     global_buffer
      - .address_space:  global
        .offset:         32
        .size:           8
        .value_kind:     global_buffer
      - .offset:         40
        .size:           4
        .value_kind:     by_value
      - .offset:         44
        .size:           4
        .value_kind:     by_value
      - .offset:         48
        .size:           4
        .value_kind:     by_value
      - .actual_access:  read_only
        .address_space:  global
        .offset:         56
        .size:           8
        .value_kind:     global_buffer
      - .offset:         64
        .size:           8
        .value_kind:     by_value
      - .offset:         72
        .size:           4
        .value_kind:     hidden_block_count_x
      - .offset:         76
        .size:           4
        .value_kind:     hidden_block_count_y
      - .offset:         80
        .size:           4
        .value_kind:     hidden_block_count_z
      - .offset:         84
        .size:           2
        .value_kind:     hidden_group_size_x
      - .offset:         86
        .size:           2
        .value_kind:     hidden_group_size_y
      - .offset:         88
        .size:           2
        .value_kind:     hidden_group_size_z
      - .offset:         90
        .size:           2
        .value_kind:     hidden_remainder_x
      - .offset:         92
        .size:           2
        .value_kind:     hidden_remainder_y
      - .offset:         94
        .size:           2
        .value_kind:     hidden_remainder_z
      - .offset:         112
        .size:           8
        .value_kind:     hidden_global_offset_x
      - .offset:         120
        .size:           8
        .value_kind:     hidden_global_offset_y
      - .offset:         128
        .size:           8
        .value_kind:     hidden_global_offset_z
      - .offset:         136
        .size:           2
        .value_kind:     hidden_grid_dims
    .group_segment_fixed_size: 4228
    .kernarg_segment_align: 8
    .kernarg_segment_size: 328
    .language:       OpenCL C
    .language_version:
      - 2
      - 0
    .max_flat_workgroup_size: 1024
    .name:           _ZN4vllm31rms_norm_per_block_quant_kernelIfaLb0ELb1ELi128EEEvPT0_PfPKT_S6_PKffiiPS4_l
    .private_segment_fixed_size: 0
    .sgpr_count:     40
    .sgpr_spill_count: 0
    .symbol:         _ZN4vllm31rms_norm_per_block_quant_kernelIfaLb0ELb1ELi128EEEvPT0_PfPKT_S6_PKffiiPS4_l.kd
    .uniform_work_group_size: 1
    .uses_dynamic_stack: false
    .vgpr_count:     35
    .vgpr_spill_count: 0
    .wavefront_size: 32
    .workgroup_processor_mode: 1
  - .args:
      - .actual_access:  write_only
        .address_space:  global
        .offset:         0
        .size:           8
        .value_kind:     global_buffer
      - .address_space:  global
        .offset:         8
        .size:           8
        .value_kind:     global_buffer
      - .actual_access:  read_only
        .address_space:  global
        .offset:         16
        .size:           8
        .value_kind:     global_buffer
      - .actual_access:  read_only
        .address_space:  global
        .offset:         24
        .size:           8
        .value_kind:     global_buffer
      - .address_space:  global
        .offset:         32
        .size:           8
        .value_kind:     global_buffer
      - .offset:         40
        .size:           4
        .value_kind:     by_value
      - .offset:         44
        .size:           4
        .value_kind:     by_value
      - .offset:         48
        .size:           4
        .value_kind:     by_value
      - .actual_access:  read_only
        .address_space:  global
        .offset:         56
        .size:           8
        .value_kind:     global_buffer
      - .offset:         64
        .size:           8
        .value_kind:     by_value
      - .offset:         72
        .size:           4
        .value_kind:     hidden_block_count_x
      - .offset:         76
        .size:           4
        .value_kind:     hidden_block_count_y
      - .offset:         80
        .size:           4
        .value_kind:     hidden_block_count_z
      - .offset:         84
        .size:           2
        .value_kind:     hidden_group_size_x
      - .offset:         86
        .size:           2
        .value_kind:     hidden_group_size_y
      - .offset:         88
        .size:           2
        .value_kind:     hidden_group_size_z
      - .offset:         90
        .size:           2
        .value_kind:     hidden_remainder_x
      - .offset:         92
        .size:           2
        .value_kind:     hidden_remainder_y
      - .offset:         94
        .size:           2
        .value_kind:     hidden_remainder_z
      - .offset:         112
        .size:           8
        .value_kind:     hidden_global_offset_x
      - .offset:         120
        .size:           8
        .value_kind:     hidden_global_offset_y
      - .offset:         128
        .size:           8
        .value_kind:     hidden_global_offset_z
      - .offset:         136
        .size:           2
        .value_kind:     hidden_grid_dims
    .group_segment_fixed_size: 4228
    .kernarg_segment_align: 8
    .kernarg_segment_size: 328
    .language:       OpenCL C
    .language_version:
      - 2
      - 0
    .max_flat_workgroup_size: 1024
    .name:           _ZN4vllm31rms_norm_per_block_quant_kernelIfN3c1013Float8_e4m3fnELb0ELb0ELi128EEEvPT0_PfPKT_S8_PKffiiPS6_l
    .private_segment_fixed_size: 0
    .sgpr_count:     38
    .sgpr_spill_count: 0
    .symbol:         _ZN4vllm31rms_norm_per_block_quant_kernelIfN3c1013Float8_e4m3fnELb0ELb0ELi128EEEvPT0_PfPKT_S8_PKffiiPS6_l.kd
    .uniform_work_group_size: 1
    .uses_dynamic_stack: false
    .vgpr_count:     35
    .vgpr_spill_count: 0
    .wavefront_size: 32
    .workgroup_processor_mode: 1
  - .args:
      - .actual_access:  write_only
        .address_space:  global
        .offset:         0
        .size:           8
        .value_kind:     global_buffer
      - .address_space:  global
        .offset:         8
        .size:           8
        .value_kind:     global_buffer
      - .actual_access:  read_only
        .address_space:  global
        .offset:         16
        .size:           8
        .value_kind:     global_buffer
      - .actual_access:  read_only
        .address_space:  global
        .offset:         24
        .size:           8
        .value_kind:     global_buffer
      - .address_space:  global
        .offset:         32
        .size:           8
        .value_kind:     global_buffer
      - .offset:         40
        .size:           4
        .value_kind:     by_value
      - .offset:         44
        .size:           4
        .value_kind:     by_value
      - .offset:         48
        .size:           4
        .value_kind:     by_value
      - .actual_access:  read_only
        .address_space:  global
        .offset:         56
        .size:           8
        .value_kind:     global_buffer
      - .offset:         64
        .size:           8
        .value_kind:     by_value
      - .offset:         72
        .size:           4
        .value_kind:     hidden_block_count_x
      - .offset:         76
        .size:           4
        .value_kind:     hidden_block_count_y
      - .offset:         80
        .size:           4
        .value_kind:     hidden_block_count_z
      - .offset:         84
        .size:           2
        .value_kind:     hidden_group_size_x
      - .offset:         86
        .size:           2
        .value_kind:     hidden_group_size_y
      - .offset:         88
        .size:           2
        .value_kind:     hidden_group_size_z
      - .offset:         90
        .size:           2
        .value_kind:     hidden_remainder_x
      - .offset:         92
        .size:           2
        .value_kind:     hidden_remainder_y
      - .offset:         94
        .size:           2
        .value_kind:     hidden_remainder_z
      - .offset:         112
        .size:           8
        .value_kind:     hidden_global_offset_x
      - .offset:         120
        .size:           8
        .value_kind:     hidden_global_offset_y
      - .offset:         128
        .size:           8
        .value_kind:     hidden_global_offset_z
      - .offset:         136
        .size:           2
        .value_kind:     hidden_grid_dims
    .group_segment_fixed_size: 4228
    .kernarg_segment_align: 8
    .kernarg_segment_size: 328
    .language:       OpenCL C
    .language_version:
      - 2
      - 0
    .max_flat_workgroup_size: 1024
    .name:           _ZN4vllm31rms_norm_per_block_quant_kernelIfN3c1015Float8_e4m3fnuzELb0ELb0ELi128EEEvPT0_PfPKT_S8_PKffiiPS6_l
    .private_segment_fixed_size: 0
    .sgpr_count:     38
    .sgpr_spill_count: 0
    .symbol:         _ZN4vllm31rms_norm_per_block_quant_kernelIfN3c1015Float8_e4m3fnuzELb0ELb0ELi128EEEvPT0_PfPKT_S8_PKffiiPS6_l.kd
    .uniform_work_group_size: 1
    .uses_dynamic_stack: false
    .vgpr_count:     35
    .vgpr_spill_count: 0
    .wavefront_size: 32
    .workgroup_processor_mode: 1
  - .args:
      - .actual_access:  write_only
        .address_space:  global
        .offset:         0
        .size:           8
        .value_kind:     global_buffer
      - .address_space:  global
        .offset:         8
        .size:           8
        .value_kind:     global_buffer
      - .actual_access:  read_only
        .address_space:  global
        .offset:         16
        .size:           8
        .value_kind:     global_buffer
      - .actual_access:  read_only
        .address_space:  global
        .offset:         24
        .size:           8
        .value_kind:     global_buffer
      - .address_space:  global
        .offset:         32
        .size:           8
        .value_kind:     global_buffer
      - .offset:         40
        .size:           4
        .value_kind:     by_value
      - .offset:         44
        .size:           4
        .value_kind:     by_value
      - .offset:         48
        .size:           4
        .value_kind:     by_value
      - .actual_access:  read_only
        .address_space:  global
        .offset:         56
        .size:           8
        .value_kind:     global_buffer
      - .offset:         64
        .size:           8
        .value_kind:     by_value
      - .offset:         72
        .size:           4
        .value_kind:     hidden_block_count_x
      - .offset:         76
        .size:           4
        .value_kind:     hidden_block_count_y
      - .offset:         80
        .size:           4
        .value_kind:     hidden_block_count_z
      - .offset:         84
        .size:           2
        .value_kind:     hidden_group_size_x
      - .offset:         86
        .size:           2
        .value_kind:     hidden_group_size_y
      - .offset:         88
        .size:           2
        .value_kind:     hidden_group_size_z
      - .offset:         90
        .size:           2
        .value_kind:     hidden_remainder_x
      - .offset:         92
        .size:           2
        .value_kind:     hidden_remainder_y
      - .offset:         94
        .size:           2
        .value_kind:     hidden_remainder_z
      - .offset:         112
        .size:           8
        .value_kind:     hidden_global_offset_x
      - .offset:         120
        .size:           8
        .value_kind:     hidden_global_offset_y
      - .offset:         128
        .size:           8
        .value_kind:     hidden_global_offset_z
      - .offset:         136
        .size:           2
        .value_kind:     hidden_grid_dims
    .group_segment_fixed_size: 4228
    .kernarg_segment_align: 8
    .kernarg_segment_size: 328
    .language:       OpenCL C
    .language_version:
      - 2
      - 0
    .max_flat_workgroup_size: 1024
    .name:           _ZN4vllm31rms_norm_per_block_quant_kernelIfaLb0ELb0ELi128EEEvPT0_PfPKT_S6_PKffiiPS4_l
    .private_segment_fixed_size: 0
    .sgpr_count:     38
    .sgpr_spill_count: 0
    .symbol:         _ZN4vllm31rms_norm_per_block_quant_kernelIfaLb0ELb0ELi128EEEvPT0_PfPKT_S6_PKffiiPS4_l.kd
    .uniform_work_group_size: 1
    .uses_dynamic_stack: false
    .vgpr_count:     35
    .vgpr_spill_count: 0
    .wavefront_size: 32
    .workgroup_processor_mode: 1
  - .args:
      - .actual_access:  write_only
        .address_space:  global
        .offset:         0
        .size:           8
        .value_kind:     global_buffer
      - .address_space:  global
        .offset:         8
        .size:           8
        .value_kind:     global_buffer
      - .actual_access:  read_only
        .address_space:  global
        .offset:         16
        .size:           8
        .value_kind:     global_buffer
      - .actual_access:  read_only
        .address_space:  global
        .offset:         24
        .size:           8
        .value_kind:     global_buffer
      - .address_space:  global
        .offset:         32
        .size:           8
        .value_kind:     global_buffer
      - .offset:         40
        .size:           4
        .value_kind:     by_value
      - .offset:         44
        .size:           4
        .value_kind:     by_value
      - .offset:         48
        .size:           4
        .value_kind:     by_value
      - .address_space:  global
        .offset:         56
        .size:           8
        .value_kind:     global_buffer
      - .offset:         64
        .size:           8
        .value_kind:     by_value
      - .offset:         72
        .size:           4
        .value_kind:     hidden_block_count_x
      - .offset:         76
        .size:           4
        .value_kind:     hidden_block_count_y
      - .offset:         80
        .size:           4
        .value_kind:     hidden_block_count_z
      - .offset:         84
        .size:           2
        .value_kind:     hidden_group_size_x
      - .offset:         86
        .size:           2
        .value_kind:     hidden_group_size_y
      - .offset:         88
        .size:           2
        .value_kind:     hidden_group_size_z
      - .offset:         90
        .size:           2
        .value_kind:     hidden_remainder_x
      - .offset:         92
        .size:           2
        .value_kind:     hidden_remainder_y
      - .offset:         94
        .size:           2
        .value_kind:     hidden_remainder_z
      - .offset:         112
        .size:           8
        .value_kind:     hidden_global_offset_x
      - .offset:         120
        .size:           8
        .value_kind:     hidden_global_offset_y
      - .offset:         128
        .size:           8
        .value_kind:     hidden_global_offset_z
      - .offset:         136
        .size:           2
        .value_kind:     hidden_grid_dims
    .group_segment_fixed_size: 4228
    .kernarg_segment_align: 8
    .kernarg_segment_size: 328
    .language:       OpenCL C
    .language_version:
      - 2
      - 0
    .max_flat_workgroup_size: 1024
    .name:           _ZN4vllm31rms_norm_per_block_quant_kernelIfN3c1013Float8_e4m3fnELb1ELb1ELi64EEEvPT0_PfPKT_S8_PKffiiPS6_l
    .private_segment_fixed_size: 0
    .sgpr_count:     44
    .sgpr_spill_count: 0
    .symbol:         _ZN4vllm31rms_norm_per_block_quant_kernelIfN3c1013Float8_e4m3fnELb1ELb1ELi64EEEvPT0_PfPKT_S8_PKffiiPS6_l.kd
    .uniform_work_group_size: 1
    .uses_dynamic_stack: false
    .vgpr_count:     37
    .vgpr_spill_count: 0
    .wavefront_size: 32
    .workgroup_processor_mode: 1
  - .args:
      - .actual_access:  write_only
        .address_space:  global
        .offset:         0
        .size:           8
        .value_kind:     global_buffer
      - .address_space:  global
        .offset:         8
        .size:           8
        .value_kind:     global_buffer
      - .actual_access:  read_only
        .address_space:  global
        .offset:         16
        .size:           8
        .value_kind:     global_buffer
      - .actual_access:  read_only
        .address_space:  global
        .offset:         24
        .size:           8
        .value_kind:     global_buffer
      - .address_space:  global
        .offset:         32
        .size:           8
        .value_kind:     global_buffer
      - .offset:         40
        .size:           4
        .value_kind:     by_value
      - .offset:         44
        .size:           4
        .value_kind:     by_value
      - .offset:         48
        .size:           4
        .value_kind:     by_value
      - .address_space:  global
        .offset:         56
        .size:           8
        .value_kind:     global_buffer
      - .offset:         64
        .size:           8
        .value_kind:     by_value
      - .offset:         72
        .size:           4
        .value_kind:     hidden_block_count_x
      - .offset:         76
        .size:           4
        .value_kind:     hidden_block_count_y
      - .offset:         80
        .size:           4
        .value_kind:     hidden_block_count_z
      - .offset:         84
        .size:           2
        .value_kind:     hidden_group_size_x
      - .offset:         86
        .size:           2
        .value_kind:     hidden_group_size_y
      - .offset:         88
        .size:           2
        .value_kind:     hidden_group_size_z
      - .offset:         90
        .size:           2
        .value_kind:     hidden_remainder_x
      - .offset:         92
        .size:           2
        .value_kind:     hidden_remainder_y
      - .offset:         94
        .size:           2
        .value_kind:     hidden_remainder_z
      - .offset:         112
        .size:           8
        .value_kind:     hidden_global_offset_x
      - .offset:         120
        .size:           8
        .value_kind:     hidden_global_offset_y
      - .offset:         128
        .size:           8
        .value_kind:     hidden_global_offset_z
      - .offset:         136
        .size:           2
        .value_kind:     hidden_grid_dims
    .group_segment_fixed_size: 4228
    .kernarg_segment_align: 8
    .kernarg_segment_size: 328
    .language:       OpenCL C
    .language_version:
      - 2
      - 0
    .max_flat_workgroup_size: 1024
    .name:           _ZN4vllm31rms_norm_per_block_quant_kernelIfN3c1015Float8_e4m3fnuzELb1ELb1ELi64EEEvPT0_PfPKT_S8_PKffiiPS6_l
    .private_segment_fixed_size: 0
    .sgpr_count:     44
    .sgpr_spill_count: 0
    .symbol:         _ZN4vllm31rms_norm_per_block_quant_kernelIfN3c1015Float8_e4m3fnuzELb1ELb1ELi64EEEvPT0_PfPKT_S8_PKffiiPS6_l.kd
    .uniform_work_group_size: 1
    .uses_dynamic_stack: false
    .vgpr_count:     37
    .vgpr_spill_count: 0
    .wavefront_size: 32
    .workgroup_processor_mode: 1
  - .args:
      - .actual_access:  write_only
        .address_space:  global
        .offset:         0
        .size:           8
        .value_kind:     global_buffer
      - .address_space:  global
        .offset:         8
        .size:           8
        .value_kind:     global_buffer
      - .actual_access:  read_only
        .address_space:  global
        .offset:         16
        .size:           8
        .value_kind:     global_buffer
      - .actual_access:  read_only
        .address_space:  global
        .offset:         24
        .size:           8
        .value_kind:     global_buffer
      - .address_space:  global
        .offset:         32
        .size:           8
        .value_kind:     global_buffer
      - .offset:         40
        .size:           4
        .value_kind:     by_value
      - .offset:         44
        .size:           4
        .value_kind:     by_value
      - .offset:         48
        .size:           4
        .value_kind:     by_value
      - .address_space:  global
        .offset:         56
        .size:           8
        .value_kind:     global_buffer
      - .offset:         64
        .size:           8
        .value_kind:     by_value
      - .offset:         72
        .size:           4
        .value_kind:     hidden_block_count_x
      - .offset:         76
        .size:           4
        .value_kind:     hidden_block_count_y
      - .offset:         80
        .size:           4
        .value_kind:     hidden_block_count_z
      - .offset:         84
        .size:           2
        .value_kind:     hidden_group_size_x
      - .offset:         86
        .size:           2
        .value_kind:     hidden_group_size_y
      - .offset:         88
        .size:           2
        .value_kind:     hidden_group_size_z
      - .offset:         90
        .size:           2
        .value_kind:     hidden_remainder_x
      - .offset:         92
        .size:           2
        .value_kind:     hidden_remainder_y
      - .offset:         94
        .size:           2
        .value_kind:     hidden_remainder_z
      - .offset:         112
        .size:           8
        .value_kind:     hidden_global_offset_x
      - .offset:         120
        .size:           8
        .value_kind:     hidden_global_offset_y
      - .offset:         128
        .size:           8
        .value_kind:     hidden_global_offset_z
      - .offset:         136
        .size:           2
        .value_kind:     hidden_grid_dims
    .group_segment_fixed_size: 4228
    .kernarg_segment_align: 8
    .kernarg_segment_size: 328
    .language:       OpenCL C
    .language_version:
      - 2
      - 0
    .max_flat_workgroup_size: 1024
    .name:           _ZN4vllm31rms_norm_per_block_quant_kernelIfaLb1ELb1ELi64EEEvPT0_PfPKT_S6_PKffiiPS4_l
    .private_segment_fixed_size: 0
    .sgpr_count:     44
    .sgpr_spill_count: 0
    .symbol:         _ZN4vllm31rms_norm_per_block_quant_kernelIfaLb1ELb1ELi64EEEvPT0_PfPKT_S6_PKffiiPS4_l.kd
    .uniform_work_group_size: 1
    .uses_dynamic_stack: false
    .vgpr_count:     37
    .vgpr_spill_count: 0
    .wavefront_size: 32
    .workgroup_processor_mode: 1
  - .args:
      - .actual_access:  write_only
        .address_space:  global
        .offset:         0
        .size:           8
        .value_kind:     global_buffer
      - .address_space:  global
        .offset:         8
        .size:           8
        .value_kind:     global_buffer
      - .actual_access:  read_only
        .address_space:  global
        .offset:         16
        .size:           8
        .value_kind:     global_buffer
      - .actual_access:  read_only
        .address_space:  global
        .offset:         24
        .size:           8
        .value_kind:     global_buffer
      - .address_space:  global
        .offset:         32
        .size:           8
        .value_kind:     global_buffer
      - .offset:         40
        .size:           4
        .value_kind:     by_value
      - .offset:         44
        .size:           4
        .value_kind:     by_value
      - .offset:         48
        .size:           4
        .value_kind:     by_value
      - .address_space:  global
        .offset:         56
        .size:           8
        .value_kind:     global_buffer
      - .offset:         64
        .size:           8
        .value_kind:     by_value
      - .offset:         72
        .size:           4
        .value_kind:     hidden_block_count_x
      - .offset:         76
        .size:           4
        .value_kind:     hidden_block_count_y
      - .offset:         80
        .size:           4
        .value_kind:     hidden_block_count_z
      - .offset:         84
        .size:           2
        .value_kind:     hidden_group_size_x
      - .offset:         86
        .size:           2
        .value_kind:     hidden_group_size_y
      - .offset:         88
        .size:           2
        .value_kind:     hidden_group_size_z
      - .offset:         90
        .size:           2
        .value_kind:     hidden_remainder_x
      - .offset:         92
        .size:           2
        .value_kind:     hidden_remainder_y
      - .offset:         94
        .size:           2
        .value_kind:     hidden_remainder_z
      - .offset:         112
        .size:           8
        .value_kind:     hidden_global_offset_x
      - .offset:         120
        .size:           8
        .value_kind:     hidden_global_offset_y
      - .offset:         128
        .size:           8
        .value_kind:     hidden_global_offset_z
      - .offset:         136
        .size:           2
        .value_kind:     hidden_grid_dims
    .group_segment_fixed_size: 4228
    .kernarg_segment_align: 8
    .kernarg_segment_size: 328
    .language:       OpenCL C
    .language_version:
      - 2
      - 0
    .max_flat_workgroup_size: 1024
    .name:           _ZN4vllm31rms_norm_per_block_quant_kernelIfN3c1013Float8_e4m3fnELb1ELb0ELi64EEEvPT0_PfPKT_S8_PKffiiPS6_l
    .private_segment_fixed_size: 0
    .sgpr_count:     42
    .sgpr_spill_count: 0
    .symbol:         _ZN4vllm31rms_norm_per_block_quant_kernelIfN3c1013Float8_e4m3fnELb1ELb0ELi64EEEvPT0_PfPKT_S8_PKffiiPS6_l.kd
    .uniform_work_group_size: 1
    .uses_dynamic_stack: false
    .vgpr_count:     37
    .vgpr_spill_count: 0
    .wavefront_size: 32
    .workgroup_processor_mode: 1
  - .args:
      - .actual_access:  write_only
        .address_space:  global
        .offset:         0
        .size:           8
        .value_kind:     global_buffer
      - .address_space:  global
        .offset:         8
        .size:           8
        .value_kind:     global_buffer
      - .actual_access:  read_only
        .address_space:  global
        .offset:         16
        .size:           8
        .value_kind:     global_buffer
      - .actual_access:  read_only
        .address_space:  global
        .offset:         24
        .size:           8
        .value_kind:     global_buffer
      - .address_space:  global
        .offset:         32
        .size:           8
        .value_kind:     global_buffer
      - .offset:         40
        .size:           4
        .value_kind:     by_value
      - .offset:         44
        .size:           4
        .value_kind:     by_value
      - .offset:         48
        .size:           4
        .value_kind:     by_value
      - .address_space:  global
        .offset:         56
        .size:           8
        .value_kind:     global_buffer
      - .offset:         64
        .size:           8
        .value_kind:     by_value
      - .offset:         72
        .size:           4
        .value_kind:     hidden_block_count_x
      - .offset:         76
        .size:           4
        .value_kind:     hidden_block_count_y
      - .offset:         80
        .size:           4
        .value_kind:     hidden_block_count_z
      - .offset:         84
        .size:           2
        .value_kind:     hidden_group_size_x
      - .offset:         86
        .size:           2
        .value_kind:     hidden_group_size_y
      - .offset:         88
        .size:           2
        .value_kind:     hidden_group_size_z
      - .offset:         90
        .size:           2
        .value_kind:     hidden_remainder_x
      - .offset:         92
        .size:           2
        .value_kind:     hidden_remainder_y
      - .offset:         94
        .size:           2
        .value_kind:     hidden_remainder_z
      - .offset:         112
        .size:           8
        .value_kind:     hidden_global_offset_x
      - .offset:         120
        .size:           8
        .value_kind:     hidden_global_offset_y
      - .offset:         128
        .size:           8
        .value_kind:     hidden_global_offset_z
      - .offset:         136
        .size:           2
        .value_kind:     hidden_grid_dims
    .group_segment_fixed_size: 4228
    .kernarg_segment_align: 8
    .kernarg_segment_size: 328
    .language:       OpenCL C
    .language_version:
      - 2
      - 0
    .max_flat_workgroup_size: 1024
    .name:           _ZN4vllm31rms_norm_per_block_quant_kernelIfN3c1015Float8_e4m3fnuzELb1ELb0ELi64EEEvPT0_PfPKT_S8_PKffiiPS6_l
    .private_segment_fixed_size: 0
    .sgpr_count:     42
    .sgpr_spill_count: 0
    .symbol:         _ZN4vllm31rms_norm_per_block_quant_kernelIfN3c1015Float8_e4m3fnuzELb1ELb0ELi64EEEvPT0_PfPKT_S8_PKffiiPS6_l.kd
    .uniform_work_group_size: 1
    .uses_dynamic_stack: false
    .vgpr_count:     37
    .vgpr_spill_count: 0
    .wavefront_size: 32
    .workgroup_processor_mode: 1
  - .args:
      - .actual_access:  write_only
        .address_space:  global
        .offset:         0
        .size:           8
        .value_kind:     global_buffer
      - .address_space:  global
        .offset:         8
        .size:           8
        .value_kind:     global_buffer
      - .actual_access:  read_only
        .address_space:  global
        .offset:         16
        .size:           8
        .value_kind:     global_buffer
      - .actual_access:  read_only
        .address_space:  global
        .offset:         24
        .size:           8
        .value_kind:     global_buffer
      - .address_space:  global
        .offset:         32
        .size:           8
        .value_kind:     global_buffer
      - .offset:         40
        .size:           4
        .value_kind:     by_value
      - .offset:         44
        .size:           4
        .value_kind:     by_value
      - .offset:         48
        .size:           4
        .value_kind:     by_value
      - .address_space:  global
        .offset:         56
        .size:           8
        .value_kind:     global_buffer
      - .offset:         64
        .size:           8
        .value_kind:     by_value
      - .offset:         72
        .size:           4
        .value_kind:     hidden_block_count_x
      - .offset:         76
        .size:           4
        .value_kind:     hidden_block_count_y
      - .offset:         80
        .size:           4
        .value_kind:     hidden_block_count_z
      - .offset:         84
        .size:           2
        .value_kind:     hidden_group_size_x
      - .offset:         86
        .size:           2
        .value_kind:     hidden_group_size_y
      - .offset:         88
        .size:           2
        .value_kind:     hidden_group_size_z
      - .offset:         90
        .size:           2
        .value_kind:     hidden_remainder_x
      - .offset:         92
        .size:           2
        .value_kind:     hidden_remainder_y
      - .offset:         94
        .size:           2
        .value_kind:     hidden_remainder_z
      - .offset:         112
        .size:           8
        .value_kind:     hidden_global_offset_x
      - .offset:         120
        .size:           8
        .value_kind:     hidden_global_offset_y
      - .offset:         128
        .size:           8
        .value_kind:     hidden_global_offset_z
      - .offset:         136
        .size:           2
        .value_kind:     hidden_grid_dims
    .group_segment_fixed_size: 4228
    .kernarg_segment_align: 8
    .kernarg_segment_size: 328
    .language:       OpenCL C
    .language_version:
      - 2
      - 0
    .max_flat_workgroup_size: 1024
    .name:           _ZN4vllm31rms_norm_per_block_quant_kernelIfaLb1ELb0ELi64EEEvPT0_PfPKT_S6_PKffiiPS4_l
    .private_segment_fixed_size: 0
    .sgpr_count:     42
    .sgpr_spill_count: 0
    .symbol:         _ZN4vllm31rms_norm_per_block_quant_kernelIfaLb1ELb0ELi64EEEvPT0_PfPKT_S6_PKffiiPS4_l.kd
    .uniform_work_group_size: 1
    .uses_dynamic_stack: false
    .vgpr_count:     37
    .vgpr_spill_count: 0
    .wavefront_size: 32
    .workgroup_processor_mode: 1
  - .args:
      - .actual_access:  write_only
        .address_space:  global
        .offset:         0
        .size:           8
        .value_kind:     global_buffer
      - .address_space:  global
        .offset:         8
        .size:           8
        .value_kind:     global_buffer
      - .actual_access:  read_only
        .address_space:  global
        .offset:         16
        .size:           8
        .value_kind:     global_buffer
      - .actual_access:  read_only
        .address_space:  global
        .offset:         24
        .size:           8
        .value_kind:     global_buffer
      - .address_space:  global
        .offset:         32
        .size:           8
        .value_kind:     global_buffer
      - .offset:         40
        .size:           4
        .value_kind:     by_value
      - .offset:         44
        .size:           4
        .value_kind:     by_value
      - .offset:         48
        .size:           4
        .value_kind:     by_value
      - .actual_access:  read_only
        .address_space:  global
        .offset:         56
        .size:           8
        .value_kind:     global_buffer
      - .offset:         64
        .size:           8
        .value_kind:     by_value
      - .offset:         72
        .size:           4
        .value_kind:     hidden_block_count_x
      - .offset:         76
        .size:           4
        .value_kind:     hidden_block_count_y
      - .offset:         80
        .size:           4
        .value_kind:     hidden_block_count_z
      - .offset:         84
        .size:           2
        .value_kind:     hidden_group_size_x
      - .offset:         86
        .size:           2
        .value_kind:     hidden_group_size_y
      - .offset:         88
        .size:           2
        .value_kind:     hidden_group_size_z
      - .offset:         90
        .size:           2
        .value_kind:     hidden_remainder_x
      - .offset:         92
        .size:           2
        .value_kind:     hidden_remainder_y
      - .offset:         94
        .size:           2
        .value_kind:     hidden_remainder_z
      - .offset:         112
        .size:           8
        .value_kind:     hidden_global_offset_x
      - .offset:         120
        .size:           8
        .value_kind:     hidden_global_offset_y
      - .offset:         128
        .size:           8
        .value_kind:     hidden_global_offset_z
      - .offset:         136
        .size:           2
        .value_kind:     hidden_grid_dims
    .group_segment_fixed_size: 4228
    .kernarg_segment_align: 8
    .kernarg_segment_size: 328
    .language:       OpenCL C
    .language_version:
      - 2
      - 0
    .max_flat_workgroup_size: 1024
    .name:           _ZN4vllm31rms_norm_per_block_quant_kernelIfN3c1013Float8_e4m3fnELb0ELb1ELi64EEEvPT0_PfPKT_S8_PKffiiPS6_l
    .private_segment_fixed_size: 0
    .sgpr_count:     40
    .sgpr_spill_count: 0
    .symbol:         _ZN4vllm31rms_norm_per_block_quant_kernelIfN3c1013Float8_e4m3fnELb0ELb1ELi64EEEvPT0_PfPKT_S8_PKffiiPS6_l.kd
    .uniform_work_group_size: 1
    .uses_dynamic_stack: false
    .vgpr_count:     35
    .vgpr_spill_count: 0
    .wavefront_size: 32
    .workgroup_processor_mode: 1
  - .args:
      - .actual_access:  write_only
        .address_space:  global
        .offset:         0
        .size:           8
        .value_kind:     global_buffer
      - .address_space:  global
        .offset:         8
        .size:           8
        .value_kind:     global_buffer
      - .actual_access:  read_only
        .address_space:  global
        .offset:         16
        .size:           8
        .value_kind:     global_buffer
      - .actual_access:  read_only
        .address_space:  global
        .offset:         24
        .size:           8
        .value_kind:     global_buffer
      - .address_space:  global
        .offset:         32
        .size:           8
        .value_kind:     global_buffer
      - .offset:         40
        .size:           4
        .value_kind:     by_value
      - .offset:         44
        .size:           4
        .value_kind:     by_value
      - .offset:         48
        .size:           4
        .value_kind:     by_value
      - .actual_access:  read_only
        .address_space:  global
        .offset:         56
        .size:           8
        .value_kind:     global_buffer
      - .offset:         64
        .size:           8
        .value_kind:     by_value
      - .offset:         72
        .size:           4
        .value_kind:     hidden_block_count_x
      - .offset:         76
        .size:           4
        .value_kind:     hidden_block_count_y
      - .offset:         80
        .size:           4
        .value_kind:     hidden_block_count_z
      - .offset:         84
        .size:           2
        .value_kind:     hidden_group_size_x
      - .offset:         86
        .size:           2
        .value_kind:     hidden_group_size_y
      - .offset:         88
        .size:           2
        .value_kind:     hidden_group_size_z
      - .offset:         90
        .size:           2
        .value_kind:     hidden_remainder_x
      - .offset:         92
        .size:           2
        .value_kind:     hidden_remainder_y
      - .offset:         94
        .size:           2
        .value_kind:     hidden_remainder_z
      - .offset:         112
        .size:           8
        .value_kind:     hidden_global_offset_x
      - .offset:         120
        .size:           8
        .value_kind:     hidden_global_offset_y
      - .offset:         128
        .size:           8
        .value_kind:     hidden_global_offset_z
      - .offset:         136
        .size:           2
        .value_kind:     hidden_grid_dims
    .group_segment_fixed_size: 4228
    .kernarg_segment_align: 8
    .kernarg_segment_size: 328
    .language:       OpenCL C
    .language_version:
      - 2
      - 0
    .max_flat_workgroup_size: 1024
    .name:           _ZN4vllm31rms_norm_per_block_quant_kernelIfN3c1015Float8_e4m3fnuzELb0ELb1ELi64EEEvPT0_PfPKT_S8_PKffiiPS6_l
    .private_segment_fixed_size: 0
    .sgpr_count:     40
    .sgpr_spill_count: 0
    .symbol:         _ZN4vllm31rms_norm_per_block_quant_kernelIfN3c1015Float8_e4m3fnuzELb0ELb1ELi64EEEvPT0_PfPKT_S8_PKffiiPS6_l.kd
    .uniform_work_group_size: 1
    .uses_dynamic_stack: false
    .vgpr_count:     35
    .vgpr_spill_count: 0
    .wavefront_size: 32
    .workgroup_processor_mode: 1
  - .args:
      - .actual_access:  write_only
        .address_space:  global
        .offset:         0
        .size:           8
        .value_kind:     global_buffer
      - .address_space:  global
        .offset:         8
        .size:           8
        .value_kind:     global_buffer
      - .actual_access:  read_only
        .address_space:  global
        .offset:         16
        .size:           8
        .value_kind:     global_buffer
      - .actual_access:  read_only
        .address_space:  global
        .offset:         24
        .size:           8
        .value_kind:     global_buffer
      - .address_space:  global
        .offset:         32
        .size:           8
        .value_kind:     global_buffer
      - .offset:         40
        .size:           4
        .value_kind:     by_value
      - .offset:         44
        .size:           4
        .value_kind:     by_value
      - .offset:         48
        .size:           4
        .value_kind:     by_value
      - .actual_access:  read_only
        .address_space:  global
        .offset:         56
        .size:           8
        .value_kind:     global_buffer
      - .offset:         64
        .size:           8
        .value_kind:     by_value
      - .offset:         72
        .size:           4
        .value_kind:     hidden_block_count_x
      - .offset:         76
        .size:           4
        .value_kind:     hidden_block_count_y
      - .offset:         80
        .size:           4
        .value_kind:     hidden_block_count_z
      - .offset:         84
        .size:           2
        .value_kind:     hidden_group_size_x
      - .offset:         86
        .size:           2
        .value_kind:     hidden_group_size_y
      - .offset:         88
        .size:           2
        .value_kind:     hidden_group_size_z
      - .offset:         90
        .size:           2
        .value_kind:     hidden_remainder_x
      - .offset:         92
        .size:           2
        .value_kind:     hidden_remainder_y
      - .offset:         94
        .size:           2
        .value_kind:     hidden_remainder_z
      - .offset:         112
        .size:           8
        .value_kind:     hidden_global_offset_x
      - .offset:         120
        .size:           8
        .value_kind:     hidden_global_offset_y
      - .offset:         128
        .size:           8
        .value_kind:     hidden_global_offset_z
      - .offset:         136
        .size:           2
        .value_kind:     hidden_grid_dims
    .group_segment_fixed_size: 4228
    .kernarg_segment_align: 8
    .kernarg_segment_size: 328
    .language:       OpenCL C
    .language_version:
      - 2
      - 0
    .max_flat_workgroup_size: 1024
    .name:           _ZN4vllm31rms_norm_per_block_quant_kernelIfaLb0ELb1ELi64EEEvPT0_PfPKT_S6_PKffiiPS4_l
    .private_segment_fixed_size: 0
    .sgpr_count:     40
    .sgpr_spill_count: 0
    .symbol:         _ZN4vllm31rms_norm_per_block_quant_kernelIfaLb0ELb1ELi64EEEvPT0_PfPKT_S6_PKffiiPS4_l.kd
    .uniform_work_group_size: 1
    .uses_dynamic_stack: false
    .vgpr_count:     35
    .vgpr_spill_count: 0
    .wavefront_size: 32
    .workgroup_processor_mode: 1
  - .args:
      - .actual_access:  write_only
        .address_space:  global
        .offset:         0
        .size:           8
        .value_kind:     global_buffer
      - .address_space:  global
        .offset:         8
        .size:           8
        .value_kind:     global_buffer
      - .actual_access:  read_only
        .address_space:  global
        .offset:         16
        .size:           8
        .value_kind:     global_buffer
      - .actual_access:  read_only
        .address_space:  global
        .offset:         24
        .size:           8
        .value_kind:     global_buffer
      - .address_space:  global
        .offset:         32
        .size:           8
        .value_kind:     global_buffer
      - .offset:         40
        .size:           4
        .value_kind:     by_value
      - .offset:         44
        .size:           4
        .value_kind:     by_value
      - .offset:         48
        .size:           4
        .value_kind:     by_value
      - .actual_access:  read_only
        .address_space:  global
        .offset:         56
        .size:           8
        .value_kind:     global_buffer
      - .offset:         64
        .size:           8
        .value_kind:     by_value
      - .offset:         72
        .size:           4
        .value_kind:     hidden_block_count_x
      - .offset:         76
        .size:           4
        .value_kind:     hidden_block_count_y
      - .offset:         80
        .size:           4
        .value_kind:     hidden_block_count_z
      - .offset:         84
        .size:           2
        .value_kind:     hidden_group_size_x
      - .offset:         86
        .size:           2
        .value_kind:     hidden_group_size_y
      - .offset:         88
        .size:           2
        .value_kind:     hidden_group_size_z
      - .offset:         90
        .size:           2
        .value_kind:     hidden_remainder_x
      - .offset:         92
        .size:           2
        .value_kind:     hidden_remainder_y
      - .offset:         94
        .size:           2
        .value_kind:     hidden_remainder_z
      - .offset:         112
        .size:           8
        .value_kind:     hidden_global_offset_x
      - .offset:         120
        .size:           8
        .value_kind:     hidden_global_offset_y
      - .offset:         128
        .size:           8
        .value_kind:     hidden_global_offset_z
      - .offset:         136
        .size:           2
        .value_kind:     hidden_grid_dims
    .group_segment_fixed_size: 4228
    .kernarg_segment_align: 8
    .kernarg_segment_size: 328
    .language:       OpenCL C
    .language_version:
      - 2
      - 0
    .max_flat_workgroup_size: 1024
    .name:           _ZN4vllm31rms_norm_per_block_quant_kernelIfN3c1013Float8_e4m3fnELb0ELb0ELi64EEEvPT0_PfPKT_S8_PKffiiPS6_l
    .private_segment_fixed_size: 0
    .sgpr_count:     38
    .sgpr_spill_count: 0
    .symbol:         _ZN4vllm31rms_norm_per_block_quant_kernelIfN3c1013Float8_e4m3fnELb0ELb0ELi64EEEvPT0_PfPKT_S8_PKffiiPS6_l.kd
    .uniform_work_group_size: 1
    .uses_dynamic_stack: false
    .vgpr_count:     35
    .vgpr_spill_count: 0
    .wavefront_size: 32
    .workgroup_processor_mode: 1
  - .args:
      - .actual_access:  write_only
        .address_space:  global
        .offset:         0
        .size:           8
        .value_kind:     global_buffer
      - .address_space:  global
        .offset:         8
        .size:           8
        .value_kind:     global_buffer
      - .actual_access:  read_only
        .address_space:  global
        .offset:         16
        .size:           8
        .value_kind:     global_buffer
      - .actual_access:  read_only
        .address_space:  global
        .offset:         24
        .size:           8
        .value_kind:     global_buffer
      - .address_space:  global
        .offset:         32
        .size:           8
        .value_kind:     global_buffer
      - .offset:         40
        .size:           4
        .value_kind:     by_value
      - .offset:         44
        .size:           4
        .value_kind:     by_value
      - .offset:         48
        .size:           4
        .value_kind:     by_value
      - .actual_access:  read_only
        .address_space:  global
        .offset:         56
        .size:           8
        .value_kind:     global_buffer
      - .offset:         64
        .size:           8
        .value_kind:     by_value
      - .offset:         72
        .size:           4
        .value_kind:     hidden_block_count_x
      - .offset:         76
        .size:           4
        .value_kind:     hidden_block_count_y
      - .offset:         80
        .size:           4
        .value_kind:     hidden_block_count_z
      - .offset:         84
        .size:           2
        .value_kind:     hidden_group_size_x
      - .offset:         86
        .size:           2
        .value_kind:     hidden_group_size_y
      - .offset:         88
        .size:           2
        .value_kind:     hidden_group_size_z
      - .offset:         90
        .size:           2
        .value_kind:     hidden_remainder_x
      - .offset:         92
        .size:           2
        .value_kind:     hidden_remainder_y
      - .offset:         94
        .size:           2
        .value_kind:     hidden_remainder_z
      - .offset:         112
        .size:           8
        .value_kind:     hidden_global_offset_x
      - .offset:         120
        .size:           8
        .value_kind:     hidden_global_offset_y
      - .offset:         128
        .size:           8
        .value_kind:     hidden_global_offset_z
      - .offset:         136
        .size:           2
        .value_kind:     hidden_grid_dims
    .group_segment_fixed_size: 4228
    .kernarg_segment_align: 8
    .kernarg_segment_size: 328
    .language:       OpenCL C
    .language_version:
      - 2
      - 0
    .max_flat_workgroup_size: 1024
    .name:           _ZN4vllm31rms_norm_per_block_quant_kernelIfN3c1015Float8_e4m3fnuzELb0ELb0ELi64EEEvPT0_PfPKT_S8_PKffiiPS6_l
    .private_segment_fixed_size: 0
    .sgpr_count:     38
    .sgpr_spill_count: 0
    .symbol:         _ZN4vllm31rms_norm_per_block_quant_kernelIfN3c1015Float8_e4m3fnuzELb0ELb0ELi64EEEvPT0_PfPKT_S8_PKffiiPS6_l.kd
    .uniform_work_group_size: 1
    .uses_dynamic_stack: false
    .vgpr_count:     35
    .vgpr_spill_count: 0
    .wavefront_size: 32
    .workgroup_processor_mode: 1
  - .args:
      - .actual_access:  write_only
        .address_space:  global
        .offset:         0
        .size:           8
        .value_kind:     global_buffer
      - .address_space:  global
        .offset:         8
        .size:           8
        .value_kind:     global_buffer
      - .actual_access:  read_only
        .address_space:  global
        .offset:         16
        .size:           8
        .value_kind:     global_buffer
      - .actual_access:  read_only
        .address_space:  global
        .offset:         24
        .size:           8
        .value_kind:     global_buffer
      - .address_space:  global
        .offset:         32
        .size:           8
        .value_kind:     global_buffer
      - .offset:         40
        .size:           4
        .value_kind:     by_value
      - .offset:         44
        .size:           4
        .value_kind:     by_value
      - .offset:         48
        .size:           4
        .value_kind:     by_value
      - .actual_access:  read_only
        .address_space:  global
        .offset:         56
        .size:           8
        .value_kind:     global_buffer
      - .offset:         64
        .size:           8
        .value_kind:     by_value
      - .offset:         72
        .size:           4
        .value_kind:     hidden_block_count_x
      - .offset:         76
        .size:           4
        .value_kind:     hidden_block_count_y
      - .offset:         80
        .size:           4
        .value_kind:     hidden_block_count_z
      - .offset:         84
        .size:           2
        .value_kind:     hidden_group_size_x
      - .offset:         86
        .size:           2
        .value_kind:     hidden_group_size_y
      - .offset:         88
        .size:           2
        .value_kind:     hidden_group_size_z
      - .offset:         90
        .size:           2
        .value_kind:     hidden_remainder_x
      - .offset:         92
        .size:           2
        .value_kind:     hidden_remainder_y
      - .offset:         94
        .size:           2
        .value_kind:     hidden_remainder_z
      - .offset:         112
        .size:           8
        .value_kind:     hidden_global_offset_x
      - .offset:         120
        .size:           8
        .value_kind:     hidden_global_offset_y
      - .offset:         128
        .size:           8
        .value_kind:     hidden_global_offset_z
      - .offset:         136
        .size:           2
        .value_kind:     hidden_grid_dims
    .group_segment_fixed_size: 4228
    .kernarg_segment_align: 8
    .kernarg_segment_size: 328
    .language:       OpenCL C
    .language_version:
      - 2
      - 0
    .max_flat_workgroup_size: 1024
    .name:           _ZN4vllm31rms_norm_per_block_quant_kernelIfaLb0ELb0ELi64EEEvPT0_PfPKT_S6_PKffiiPS4_l
    .private_segment_fixed_size: 0
    .sgpr_count:     38
    .sgpr_spill_count: 0
    .symbol:         _ZN4vllm31rms_norm_per_block_quant_kernelIfaLb0ELb0ELi64EEEvPT0_PfPKT_S6_PKffiiPS4_l.kd
    .uniform_work_group_size: 1
    .uses_dynamic_stack: false
    .vgpr_count:     35
    .vgpr_spill_count: 0
    .wavefront_size: 32
    .workgroup_processor_mode: 1
  - .args:
      - .actual_access:  write_only
        .address_space:  global
        .offset:         0
        .size:           8
        .value_kind:     global_buffer
      - .address_space:  global
        .offset:         8
        .size:           8
        .value_kind:     global_buffer
      - .actual_access:  read_only
        .address_space:  global
        .offset:         16
        .size:           8
        .value_kind:     global_buffer
      - .actual_access:  read_only
        .address_space:  global
        .offset:         24
        .size:           8
        .value_kind:     global_buffer
      - .address_space:  global
        .offset:         32
        .size:           8
        .value_kind:     global_buffer
      - .offset:         40
        .size:           4
        .value_kind:     by_value
      - .offset:         44
        .size:           4
        .value_kind:     by_value
      - .offset:         48
        .size:           4
        .value_kind:     by_value
      - .address_space:  global
        .offset:         56
        .size:           8
        .value_kind:     global_buffer
      - .offset:         64
        .size:           8
        .value_kind:     by_value
      - .offset:         72
        .size:           4
        .value_kind:     hidden_block_count_x
      - .offset:         76
        .size:           4
        .value_kind:     hidden_block_count_y
      - .offset:         80
        .size:           4
        .value_kind:     hidden_block_count_z
      - .offset:         84
        .size:           2
        .value_kind:     hidden_group_size_x
      - .offset:         86
        .size:           2
        .value_kind:     hidden_group_size_y
      - .offset:         88
        .size:           2
        .value_kind:     hidden_group_size_z
      - .offset:         90
        .size:           2
        .value_kind:     hidden_remainder_x
      - .offset:         92
        .size:           2
        .value_kind:     hidden_remainder_y
      - .offset:         94
        .size:           2
        .value_kind:     hidden_remainder_z
      - .offset:         112
        .size:           8
        .value_kind:     hidden_global_offset_x
      - .offset:         120
        .size:           8
        .value_kind:     hidden_global_offset_y
      - .offset:         128
        .size:           8
        .value_kind:     hidden_global_offset_z
      - .offset:         136
        .size:           2
        .value_kind:     hidden_grid_dims
    .group_segment_fixed_size: 4228
    .kernarg_segment_align: 8
    .kernarg_segment_size: 328
    .language:       OpenCL C
    .language_version:
      - 2
      - 0
    .max_flat_workgroup_size: 1024
    .name:           _ZN4vllm31rms_norm_per_block_quant_kernelIN3c104HalfENS1_13Float8_e4m3fnELb1ELb1ELi128EEEvPT0_PfPKT_S9_PKffiiPS7_l
    .private_segment_fixed_size: 0
    .sgpr_count:     44
    .sgpr_spill_count: 0
    .symbol:         _ZN4vllm31rms_norm_per_block_quant_kernelIN3c104HalfENS1_13Float8_e4m3fnELb1ELb1ELi128EEEvPT0_PfPKT_S9_PKffiiPS7_l.kd
    .uniform_work_group_size: 1
    .uses_dynamic_stack: false
    .vgpr_count:     35
    .vgpr_spill_count: 0
    .wavefront_size: 32
    .workgroup_processor_mode: 1
  - .args:
      - .actual_access:  write_only
        .address_space:  global
        .offset:         0
        .size:           8
        .value_kind:     global_buffer
      - .address_space:  global
        .offset:         8
        .size:           8
        .value_kind:     global_buffer
      - .actual_access:  read_only
        .address_space:  global
        .offset:         16
        .size:           8
        .value_kind:     global_buffer
      - .actual_access:  read_only
        .address_space:  global
        .offset:         24
        .size:           8
        .value_kind:     global_buffer
      - .address_space:  global
        .offset:         32
        .size:           8
        .value_kind:     global_buffer
      - .offset:         40
        .size:           4
        .value_kind:     by_value
      - .offset:         44
        .size:           4
        .value_kind:     by_value
      - .offset:         48
        .size:           4
        .value_kind:     by_value
      - .address_space:  global
        .offset:         56
        .size:           8
        .value_kind:     global_buffer
      - .offset:         64
        .size:           8
        .value_kind:     by_value
      - .offset:         72
        .size:           4
        .value_kind:     hidden_block_count_x
      - .offset:         76
        .size:           4
        .value_kind:     hidden_block_count_y
      - .offset:         80
        .size:           4
        .value_kind:     hidden_block_count_z
      - .offset:         84
        .size:           2
        .value_kind:     hidden_group_size_x
      - .offset:         86
        .size:           2
        .value_kind:     hidden_group_size_y
      - .offset:         88
        .size:           2
        .value_kind:     hidden_group_size_z
      - .offset:         90
        .size:           2
        .value_kind:     hidden_remainder_x
      - .offset:         92
        .size:           2
        .value_kind:     hidden_remainder_y
      - .offset:         94
        .size:           2
        .value_kind:     hidden_remainder_z
      - .offset:         112
        .size:           8
        .value_kind:     hidden_global_offset_x
      - .offset:         120
        .size:           8
        .value_kind:     hidden_global_offset_y
      - .offset:         128
        .size:           8
        .value_kind:     hidden_global_offset_z
      - .offset:         136
        .size:           2
        .value_kind:     hidden_grid_dims
    .group_segment_fixed_size: 4228
    .kernarg_segment_align: 8
    .kernarg_segment_size: 328
    .language:       OpenCL C
    .language_version:
      - 2
      - 0
    .max_flat_workgroup_size: 1024
    .name:           _ZN4vllm31rms_norm_per_block_quant_kernelIN3c104HalfENS1_15Float8_e4m3fnuzELb1ELb1ELi128EEEvPT0_PfPKT_S9_PKffiiPS7_l
    .private_segment_fixed_size: 0
    .sgpr_count:     44
    .sgpr_spill_count: 0
    .symbol:         _ZN4vllm31rms_norm_per_block_quant_kernelIN3c104HalfENS1_15Float8_e4m3fnuzELb1ELb1ELi128EEEvPT0_PfPKT_S9_PKffiiPS7_l.kd
    .uniform_work_group_size: 1
    .uses_dynamic_stack: false
    .vgpr_count:     35
    .vgpr_spill_count: 0
    .wavefront_size: 32
    .workgroup_processor_mode: 1
  - .args:
      - .actual_access:  write_only
        .address_space:  global
        .offset:         0
        .size:           8
        .value_kind:     global_buffer
      - .address_space:  global
        .offset:         8
        .size:           8
        .value_kind:     global_buffer
      - .actual_access:  read_only
        .address_space:  global
        .offset:         16
        .size:           8
        .value_kind:     global_buffer
      - .actual_access:  read_only
        .address_space:  global
        .offset:         24
        .size:           8
        .value_kind:     global_buffer
      - .address_space:  global
        .offset:         32
        .size:           8
        .value_kind:     global_buffer
      - .offset:         40
        .size:           4
        .value_kind:     by_value
      - .offset:         44
        .size:           4
        .value_kind:     by_value
      - .offset:         48
        .size:           4
        .value_kind:     by_value
      - .address_space:  global
        .offset:         56
        .size:           8
        .value_kind:     global_buffer
      - .offset:         64
        .size:           8
        .value_kind:     by_value
      - .offset:         72
        .size:           4
        .value_kind:     hidden_block_count_x
      - .offset:         76
        .size:           4
        .value_kind:     hidden_block_count_y
      - .offset:         80
        .size:           4
        .value_kind:     hidden_block_count_z
      - .offset:         84
        .size:           2
        .value_kind:     hidden_group_size_x
      - .offset:         86
        .size:           2
        .value_kind:     hidden_group_size_y
      - .offset:         88
        .size:           2
        .value_kind:     hidden_group_size_z
      - .offset:         90
        .size:           2
        .value_kind:     hidden_remainder_x
      - .offset:         92
        .size:           2
        .value_kind:     hidden_remainder_y
      - .offset:         94
        .size:           2
        .value_kind:     hidden_remainder_z
      - .offset:         112
        .size:           8
        .value_kind:     hidden_global_offset_x
      - .offset:         120
        .size:           8
        .value_kind:     hidden_global_offset_y
      - .offset:         128
        .size:           8
        .value_kind:     hidden_global_offset_z
      - .offset:         136
        .size:           2
        .value_kind:     hidden_grid_dims
    .group_segment_fixed_size: 4228
    .kernarg_segment_align: 8
    .kernarg_segment_size: 328
    .language:       OpenCL C
    .language_version:
      - 2
      - 0
    .max_flat_workgroup_size: 1024
    .name:           _ZN4vllm31rms_norm_per_block_quant_kernelIN3c104HalfEaLb1ELb1ELi128EEEvPT0_PfPKT_S8_PKffiiPS6_l
    .private_segment_fixed_size: 0
    .sgpr_count:     44
    .sgpr_spill_count: 0
    .symbol:         _ZN4vllm31rms_norm_per_block_quant_kernelIN3c104HalfEaLb1ELb1ELi128EEEvPT0_PfPKT_S8_PKffiiPS6_l.kd
    .uniform_work_group_size: 1
    .uses_dynamic_stack: false
    .vgpr_count:     35
    .vgpr_spill_count: 0
    .wavefront_size: 32
    .workgroup_processor_mode: 1
  - .args:
      - .actual_access:  write_only
        .address_space:  global
        .offset:         0
        .size:           8
        .value_kind:     global_buffer
      - .address_space:  global
        .offset:         8
        .size:           8
        .value_kind:     global_buffer
      - .actual_access:  read_only
        .address_space:  global
        .offset:         16
        .size:           8
        .value_kind:     global_buffer
      - .actual_access:  read_only
        .address_space:  global
        .offset:         24
        .size:           8
        .value_kind:     global_buffer
      - .address_space:  global
        .offset:         32
        .size:           8
        .value_kind:     global_buffer
      - .offset:         40
        .size:           4
        .value_kind:     by_value
      - .offset:         44
        .size:           4
        .value_kind:     by_value
      - .offset:         48
        .size:           4
        .value_kind:     by_value
      - .address_space:  global
        .offset:         56
        .size:           8
        .value_kind:     global_buffer
      - .offset:         64
        .size:           8
        .value_kind:     by_value
      - .offset:         72
        .size:           4
        .value_kind:     hidden_block_count_x
      - .offset:         76
        .size:           4
        .value_kind:     hidden_block_count_y
      - .offset:         80
        .size:           4
        .value_kind:     hidden_block_count_z
      - .offset:         84
        .size:           2
        .value_kind:     hidden_group_size_x
      - .offset:         86
        .size:           2
        .value_kind:     hidden_group_size_y
      - .offset:         88
        .size:           2
        .value_kind:     hidden_group_size_z
      - .offset:         90
        .size:           2
        .value_kind:     hidden_remainder_x
      - .offset:         92
        .size:           2
        .value_kind:     hidden_remainder_y
      - .offset:         94
        .size:           2
        .value_kind:     hidden_remainder_z
      - .offset:         112
        .size:           8
        .value_kind:     hidden_global_offset_x
      - .offset:         120
        .size:           8
        .value_kind:     hidden_global_offset_y
      - .offset:         128
        .size:           8
        .value_kind:     hidden_global_offset_z
      - .offset:         136
        .size:           2
        .value_kind:     hidden_grid_dims
    .group_segment_fixed_size: 4228
    .kernarg_segment_align: 8
    .kernarg_segment_size: 328
    .language:       OpenCL C
    .language_version:
      - 2
      - 0
    .max_flat_workgroup_size: 1024
    .name:           _ZN4vllm31rms_norm_per_block_quant_kernelIN3c104HalfENS1_13Float8_e4m3fnELb1ELb0ELi128EEEvPT0_PfPKT_S9_PKffiiPS7_l
    .private_segment_fixed_size: 0
    .sgpr_count:     42
    .sgpr_spill_count: 0
    .symbol:         _ZN4vllm31rms_norm_per_block_quant_kernelIN3c104HalfENS1_13Float8_e4m3fnELb1ELb0ELi128EEEvPT0_PfPKT_S9_PKffiiPS7_l.kd
    .uniform_work_group_size: 1
    .uses_dynamic_stack: false
    .vgpr_count:     35
    .vgpr_spill_count: 0
    .wavefront_size: 32
    .workgroup_processor_mode: 1
  - .args:
      - .actual_access:  write_only
        .address_space:  global
        .offset:         0
        .size:           8
        .value_kind:     global_buffer
      - .address_space:  global
        .offset:         8
        .size:           8
        .value_kind:     global_buffer
      - .actual_access:  read_only
        .address_space:  global
        .offset:         16
        .size:           8
        .value_kind:     global_buffer
      - .actual_access:  read_only
        .address_space:  global
        .offset:         24
        .size:           8
        .value_kind:     global_buffer
      - .address_space:  global
        .offset:         32
        .size:           8
        .value_kind:     global_buffer
      - .offset:         40
        .size:           4
        .value_kind:     by_value
      - .offset:         44
        .size:           4
        .value_kind:     by_value
      - .offset:         48
        .size:           4
        .value_kind:     by_value
      - .address_space:  global
        .offset:         56
        .size:           8
        .value_kind:     global_buffer
      - .offset:         64
        .size:           8
        .value_kind:     by_value
      - .offset:         72
        .size:           4
        .value_kind:     hidden_block_count_x
      - .offset:         76
        .size:           4
        .value_kind:     hidden_block_count_y
      - .offset:         80
        .size:           4
        .value_kind:     hidden_block_count_z
      - .offset:         84
        .size:           2
        .value_kind:     hidden_group_size_x
      - .offset:         86
        .size:           2
        .value_kind:     hidden_group_size_y
      - .offset:         88
        .size:           2
        .value_kind:     hidden_group_size_z
      - .offset:         90
        .size:           2
        .value_kind:     hidden_remainder_x
      - .offset:         92
        .size:           2
        .value_kind:     hidden_remainder_y
      - .offset:         94
        .size:           2
        .value_kind:     hidden_remainder_z
      - .offset:         112
        .size:           8
        .value_kind:     hidden_global_offset_x
      - .offset:         120
        .size:           8
        .value_kind:     hidden_global_offset_y
      - .offset:         128
        .size:           8
        .value_kind:     hidden_global_offset_z
      - .offset:         136
        .size:           2
        .value_kind:     hidden_grid_dims
    .group_segment_fixed_size: 4228
    .kernarg_segment_align: 8
    .kernarg_segment_size: 328
    .language:       OpenCL C
    .language_version:
      - 2
      - 0
    .max_flat_workgroup_size: 1024
    .name:           _ZN4vllm31rms_norm_per_block_quant_kernelIN3c104HalfENS1_15Float8_e4m3fnuzELb1ELb0ELi128EEEvPT0_PfPKT_S9_PKffiiPS7_l
    .private_segment_fixed_size: 0
    .sgpr_count:     42
    .sgpr_spill_count: 0
    .symbol:         _ZN4vllm31rms_norm_per_block_quant_kernelIN3c104HalfENS1_15Float8_e4m3fnuzELb1ELb0ELi128EEEvPT0_PfPKT_S9_PKffiiPS7_l.kd
    .uniform_work_group_size: 1
    .uses_dynamic_stack: false
    .vgpr_count:     35
    .vgpr_spill_count: 0
    .wavefront_size: 32
    .workgroup_processor_mode: 1
  - .args:
      - .actual_access:  write_only
        .address_space:  global
        .offset:         0
        .size:           8
        .value_kind:     global_buffer
      - .address_space:  global
        .offset:         8
        .size:           8
        .value_kind:     global_buffer
      - .actual_access:  read_only
        .address_space:  global
        .offset:         16
        .size:           8
        .value_kind:     global_buffer
      - .actual_access:  read_only
        .address_space:  global
        .offset:         24
        .size:           8
        .value_kind:     global_buffer
      - .address_space:  global
        .offset:         32
        .size:           8
        .value_kind:     global_buffer
      - .offset:         40
        .size:           4
        .value_kind:     by_value
      - .offset:         44
        .size:           4
        .value_kind:     by_value
      - .offset:         48
        .size:           4
        .value_kind:     by_value
      - .address_space:  global
        .offset:         56
        .size:           8
        .value_kind:     global_buffer
      - .offset:         64
        .size:           8
        .value_kind:     by_value
      - .offset:         72
        .size:           4
        .value_kind:     hidden_block_count_x
      - .offset:         76
        .size:           4
        .value_kind:     hidden_block_count_y
      - .offset:         80
        .size:           4
        .value_kind:     hidden_block_count_z
      - .offset:         84
        .size:           2
        .value_kind:     hidden_group_size_x
      - .offset:         86
        .size:           2
        .value_kind:     hidden_group_size_y
      - .offset:         88
        .size:           2
        .value_kind:     hidden_group_size_z
      - .offset:         90
        .size:           2
        .value_kind:     hidden_remainder_x
      - .offset:         92
        .size:           2
        .value_kind:     hidden_remainder_y
      - .offset:         94
        .size:           2
        .value_kind:     hidden_remainder_z
      - .offset:         112
        .size:           8
        .value_kind:     hidden_global_offset_x
      - .offset:         120
        .size:           8
        .value_kind:     hidden_global_offset_y
      - .offset:         128
        .size:           8
        .value_kind:     hidden_global_offset_z
      - .offset:         136
        .size:           2
        .value_kind:     hidden_grid_dims
    .group_segment_fixed_size: 4228
    .kernarg_segment_align: 8
    .kernarg_segment_size: 328
    .language:       OpenCL C
    .language_version:
      - 2
      - 0
    .max_flat_workgroup_size: 1024
    .name:           _ZN4vllm31rms_norm_per_block_quant_kernelIN3c104HalfEaLb1ELb0ELi128EEEvPT0_PfPKT_S8_PKffiiPS6_l
    .private_segment_fixed_size: 0
    .sgpr_count:     42
    .sgpr_spill_count: 0
    .symbol:         _ZN4vllm31rms_norm_per_block_quant_kernelIN3c104HalfEaLb1ELb0ELi128EEEvPT0_PfPKT_S8_PKffiiPS6_l.kd
    .uniform_work_group_size: 1
    .uses_dynamic_stack: false
    .vgpr_count:     35
    .vgpr_spill_count: 0
    .wavefront_size: 32
    .workgroup_processor_mode: 1
  - .args:
      - .actual_access:  write_only
        .address_space:  global
        .offset:         0
        .size:           8
        .value_kind:     global_buffer
      - .address_space:  global
        .offset:         8
        .size:           8
        .value_kind:     global_buffer
      - .actual_access:  read_only
        .address_space:  global
        .offset:         16
        .size:           8
        .value_kind:     global_buffer
      - .actual_access:  read_only
        .address_space:  global
        .offset:         24
        .size:           8
        .value_kind:     global_buffer
      - .address_space:  global
        .offset:         32
        .size:           8
        .value_kind:     global_buffer
      - .offset:         40
        .size:           4
        .value_kind:     by_value
      - .offset:         44
        .size:           4
        .value_kind:     by_value
      - .offset:         48
        .size:           4
        .value_kind:     by_value
      - .actual_access:  read_only
        .address_space:  global
        .offset:         56
        .size:           8
        .value_kind:     global_buffer
      - .offset:         64
        .size:           8
        .value_kind:     by_value
      - .offset:         72
        .size:           4
        .value_kind:     hidden_block_count_x
      - .offset:         76
        .size:           4
        .value_kind:     hidden_block_count_y
      - .offset:         80
        .size:           4
        .value_kind:     hidden_block_count_z
      - .offset:         84
        .size:           2
        .value_kind:     hidden_group_size_x
      - .offset:         86
        .size:           2
        .value_kind:     hidden_group_size_y
      - .offset:         88
        .size:           2
        .value_kind:     hidden_group_size_z
      - .offset:         90
        .size:           2
        .value_kind:     hidden_remainder_x
      - .offset:         92
        .size:           2
        .value_kind:     hidden_remainder_y
      - .offset:         94
        .size:           2
        .value_kind:     hidden_remainder_z
      - .offset:         112
        .size:           8
        .value_kind:     hidden_global_offset_x
      - .offset:         120
        .size:           8
        .value_kind:     hidden_global_offset_y
      - .offset:         128
        .size:           8
        .value_kind:     hidden_global_offset_z
      - .offset:         136
        .size:           2
        .value_kind:     hidden_grid_dims
    .group_segment_fixed_size: 4228
    .kernarg_segment_align: 8
    .kernarg_segment_size: 328
    .language:       OpenCL C
    .language_version:
      - 2
      - 0
    .max_flat_workgroup_size: 1024
    .name:           _ZN4vllm31rms_norm_per_block_quant_kernelIN3c104HalfENS1_13Float8_e4m3fnELb0ELb1ELi128EEEvPT0_PfPKT_S9_PKffiiPS7_l
    .private_segment_fixed_size: 0
    .sgpr_count:     40
    .sgpr_spill_count: 0
    .symbol:         _ZN4vllm31rms_norm_per_block_quant_kernelIN3c104HalfENS1_13Float8_e4m3fnELb0ELb1ELi128EEEvPT0_PfPKT_S9_PKffiiPS7_l.kd
    .uniform_work_group_size: 1
    .uses_dynamic_stack: false
    .vgpr_count:     35
    .vgpr_spill_count: 0
    .wavefront_size: 32
    .workgroup_processor_mode: 1
  - .args:
      - .actual_access:  write_only
        .address_space:  global
        .offset:         0
        .size:           8
        .value_kind:     global_buffer
      - .address_space:  global
        .offset:         8
        .size:           8
        .value_kind:     global_buffer
      - .actual_access:  read_only
        .address_space:  global
        .offset:         16
        .size:           8
        .value_kind:     global_buffer
      - .actual_access:  read_only
        .address_space:  global
        .offset:         24
        .size:           8
        .value_kind:     global_buffer
      - .address_space:  global
        .offset:         32
        .size:           8
        .value_kind:     global_buffer
      - .offset:         40
        .size:           4
        .value_kind:     by_value
      - .offset:         44
        .size:           4
        .value_kind:     by_value
      - .offset:         48
        .size:           4
        .value_kind:     by_value
      - .actual_access:  read_only
        .address_space:  global
        .offset:         56
        .size:           8
        .value_kind:     global_buffer
      - .offset:         64
        .size:           8
        .value_kind:     by_value
      - .offset:         72
        .size:           4
        .value_kind:     hidden_block_count_x
      - .offset:         76
        .size:           4
        .value_kind:     hidden_block_count_y
      - .offset:         80
        .size:           4
        .value_kind:     hidden_block_count_z
      - .offset:         84
        .size:           2
        .value_kind:     hidden_group_size_x
      - .offset:         86
        .size:           2
        .value_kind:     hidden_group_size_y
      - .offset:         88
        .size:           2
        .value_kind:     hidden_group_size_z
      - .offset:         90
        .size:           2
        .value_kind:     hidden_remainder_x
      - .offset:         92
        .size:           2
        .value_kind:     hidden_remainder_y
      - .offset:         94
        .size:           2
        .value_kind:     hidden_remainder_z
      - .offset:         112
        .size:           8
        .value_kind:     hidden_global_offset_x
      - .offset:         120
        .size:           8
        .value_kind:     hidden_global_offset_y
      - .offset:         128
        .size:           8
        .value_kind:     hidden_global_offset_z
      - .offset:         136
        .size:           2
        .value_kind:     hidden_grid_dims
    .group_segment_fixed_size: 4228
    .kernarg_segment_align: 8
    .kernarg_segment_size: 328
    .language:       OpenCL C
    .language_version:
      - 2
      - 0
    .max_flat_workgroup_size: 1024
    .name:           _ZN4vllm31rms_norm_per_block_quant_kernelIN3c104HalfENS1_15Float8_e4m3fnuzELb0ELb1ELi128EEEvPT0_PfPKT_S9_PKffiiPS7_l
    .private_segment_fixed_size: 0
    .sgpr_count:     40
    .sgpr_spill_count: 0
    .symbol:         _ZN4vllm31rms_norm_per_block_quant_kernelIN3c104HalfENS1_15Float8_e4m3fnuzELb0ELb1ELi128EEEvPT0_PfPKT_S9_PKffiiPS7_l.kd
    .uniform_work_group_size: 1
    .uses_dynamic_stack: false
    .vgpr_count:     35
    .vgpr_spill_count: 0
    .wavefront_size: 32
    .workgroup_processor_mode: 1
  - .args:
      - .actual_access:  write_only
        .address_space:  global
        .offset:         0
        .size:           8
        .value_kind:     global_buffer
      - .address_space:  global
        .offset:         8
        .size:           8
        .value_kind:     global_buffer
      - .actual_access:  read_only
        .address_space:  global
        .offset:         16
        .size:           8
        .value_kind:     global_buffer
      - .actual_access:  read_only
        .address_space:  global
        .offset:         24
        .size:           8
        .value_kind:     global_buffer
      - .address_space:  global
        .offset:         32
        .size:           8
        .value_kind:     global_buffer
      - .offset:         40
        .size:           4
        .value_kind:     by_value
      - .offset:         44
        .size:           4
        .value_kind:     by_value
      - .offset:         48
        .size:           4
        .value_kind:     by_value
      - .actual_access:  read_only
        .address_space:  global
        .offset:         56
        .size:           8
        .value_kind:     global_buffer
      - .offset:         64
        .size:           8
        .value_kind:     by_value
      - .offset:         72
        .size:           4
        .value_kind:     hidden_block_count_x
      - .offset:         76
        .size:           4
        .value_kind:     hidden_block_count_y
      - .offset:         80
        .size:           4
        .value_kind:     hidden_block_count_z
      - .offset:         84
        .size:           2
        .value_kind:     hidden_group_size_x
      - .offset:         86
        .size:           2
        .value_kind:     hidden_group_size_y
      - .offset:         88
        .size:           2
        .value_kind:     hidden_group_size_z
      - .offset:         90
        .size:           2
        .value_kind:     hidden_remainder_x
      - .offset:         92
        .size:           2
        .value_kind:     hidden_remainder_y
      - .offset:         94
        .size:           2
        .value_kind:     hidden_remainder_z
      - .offset:         112
        .size:           8
        .value_kind:     hidden_global_offset_x
      - .offset:         120
        .size:           8
        .value_kind:     hidden_global_offset_y
      - .offset:         128
        .size:           8
        .value_kind:     hidden_global_offset_z
      - .offset:         136
        .size:           2
        .value_kind:     hidden_grid_dims
    .group_segment_fixed_size: 4228
    .kernarg_segment_align: 8
    .kernarg_segment_size: 328
    .language:       OpenCL C
    .language_version:
      - 2
      - 0
    .max_flat_workgroup_size: 1024
    .name:           _ZN4vllm31rms_norm_per_block_quant_kernelIN3c104HalfEaLb0ELb1ELi128EEEvPT0_PfPKT_S8_PKffiiPS6_l
    .private_segment_fixed_size: 0
    .sgpr_count:     40
    .sgpr_spill_count: 0
    .symbol:         _ZN4vllm31rms_norm_per_block_quant_kernelIN3c104HalfEaLb0ELb1ELi128EEEvPT0_PfPKT_S8_PKffiiPS6_l.kd
    .uniform_work_group_size: 1
    .uses_dynamic_stack: false
    .vgpr_count:     35
    .vgpr_spill_count: 0
    .wavefront_size: 32
    .workgroup_processor_mode: 1
  - .args:
      - .actual_access:  write_only
        .address_space:  global
        .offset:         0
        .size:           8
        .value_kind:     global_buffer
      - .address_space:  global
        .offset:         8
        .size:           8
        .value_kind:     global_buffer
      - .actual_access:  read_only
        .address_space:  global
        .offset:         16
        .size:           8
        .value_kind:     global_buffer
      - .actual_access:  read_only
        .address_space:  global
        .offset:         24
        .size:           8
        .value_kind:     global_buffer
      - .address_space:  global
        .offset:         32
        .size:           8
        .value_kind:     global_buffer
      - .offset:         40
        .size:           4
        .value_kind:     by_value
      - .offset:         44
        .size:           4
        .value_kind:     by_value
      - .offset:         48
        .size:           4
        .value_kind:     by_value
      - .actual_access:  read_only
        .address_space:  global
        .offset:         56
        .size:           8
        .value_kind:     global_buffer
      - .offset:         64
        .size:           8
        .value_kind:     by_value
      - .offset:         72
        .size:           4
        .value_kind:     hidden_block_count_x
      - .offset:         76
        .size:           4
        .value_kind:     hidden_block_count_y
      - .offset:         80
        .size:           4
        .value_kind:     hidden_block_count_z
      - .offset:         84
        .size:           2
        .value_kind:     hidden_group_size_x
      - .offset:         86
        .size:           2
        .value_kind:     hidden_group_size_y
      - .offset:         88
        .size:           2
        .value_kind:     hidden_group_size_z
      - .offset:         90
        .size:           2
        .value_kind:     hidden_remainder_x
      - .offset:         92
        .size:           2
        .value_kind:     hidden_remainder_y
      - .offset:         94
        .size:           2
        .value_kind:     hidden_remainder_z
      - .offset:         112
        .size:           8
        .value_kind:     hidden_global_offset_x
      - .offset:         120
        .size:           8
        .value_kind:     hidden_global_offset_y
      - .offset:         128
        .size:           8
        .value_kind:     hidden_global_offset_z
      - .offset:         136
        .size:           2
        .value_kind:     hidden_grid_dims
    .group_segment_fixed_size: 4228
    .kernarg_segment_align: 8
    .kernarg_segment_size: 328
    .language:       OpenCL C
    .language_version:
      - 2
      - 0
    .max_flat_workgroup_size: 1024
    .name:           _ZN4vllm31rms_norm_per_block_quant_kernelIN3c104HalfENS1_13Float8_e4m3fnELb0ELb0ELi128EEEvPT0_PfPKT_S9_PKffiiPS7_l
    .private_segment_fixed_size: 0
    .sgpr_count:     38
    .sgpr_spill_count: 0
    .symbol:         _ZN4vllm31rms_norm_per_block_quant_kernelIN3c104HalfENS1_13Float8_e4m3fnELb0ELb0ELi128EEEvPT0_PfPKT_S9_PKffiiPS7_l.kd
    .uniform_work_group_size: 1
    .uses_dynamic_stack: false
    .vgpr_count:     35
    .vgpr_spill_count: 0
    .wavefront_size: 32
    .workgroup_processor_mode: 1
  - .args:
      - .actual_access:  write_only
        .address_space:  global
        .offset:         0
        .size:           8
        .value_kind:     global_buffer
      - .address_space:  global
        .offset:         8
        .size:           8
        .value_kind:     global_buffer
      - .actual_access:  read_only
        .address_space:  global
        .offset:         16
        .size:           8
        .value_kind:     global_buffer
      - .actual_access:  read_only
        .address_space:  global
        .offset:         24
        .size:           8
        .value_kind:     global_buffer
      - .address_space:  global
        .offset:         32
        .size:           8
        .value_kind:     global_buffer
      - .offset:         40
        .size:           4
        .value_kind:     by_value
      - .offset:         44
        .size:           4
        .value_kind:     by_value
      - .offset:         48
        .size:           4
        .value_kind:     by_value
      - .actual_access:  read_only
        .address_space:  global
        .offset:         56
        .size:           8
        .value_kind:     global_buffer
      - .offset:         64
        .size:           8
        .value_kind:     by_value
      - .offset:         72
        .size:           4
        .value_kind:     hidden_block_count_x
      - .offset:         76
        .size:           4
        .value_kind:     hidden_block_count_y
      - .offset:         80
        .size:           4
        .value_kind:     hidden_block_count_z
      - .offset:         84
        .size:           2
        .value_kind:     hidden_group_size_x
      - .offset:         86
        .size:           2
        .value_kind:     hidden_group_size_y
      - .offset:         88
        .size:           2
        .value_kind:     hidden_group_size_z
      - .offset:         90
        .size:           2
        .value_kind:     hidden_remainder_x
      - .offset:         92
        .size:           2
        .value_kind:     hidden_remainder_y
      - .offset:         94
        .size:           2
        .value_kind:     hidden_remainder_z
      - .offset:         112
        .size:           8
        .value_kind:     hidden_global_offset_x
      - .offset:         120
        .size:           8
        .value_kind:     hidden_global_offset_y
      - .offset:         128
        .size:           8
        .value_kind:     hidden_global_offset_z
      - .offset:         136
        .size:           2
        .value_kind:     hidden_grid_dims
    .group_segment_fixed_size: 4228
    .kernarg_segment_align: 8
    .kernarg_segment_size: 328
    .language:       OpenCL C
    .language_version:
      - 2
      - 0
    .max_flat_workgroup_size: 1024
    .name:           _ZN4vllm31rms_norm_per_block_quant_kernelIN3c104HalfENS1_15Float8_e4m3fnuzELb0ELb0ELi128EEEvPT0_PfPKT_S9_PKffiiPS7_l
    .private_segment_fixed_size: 0
    .sgpr_count:     38
    .sgpr_spill_count: 0
    .symbol:         _ZN4vllm31rms_norm_per_block_quant_kernelIN3c104HalfENS1_15Float8_e4m3fnuzELb0ELb0ELi128EEEvPT0_PfPKT_S9_PKffiiPS7_l.kd
    .uniform_work_group_size: 1
    .uses_dynamic_stack: false
    .vgpr_count:     35
    .vgpr_spill_count: 0
    .wavefront_size: 32
    .workgroup_processor_mode: 1
  - .args:
      - .actual_access:  write_only
        .address_space:  global
        .offset:         0
        .size:           8
        .value_kind:     global_buffer
      - .address_space:  global
        .offset:         8
        .size:           8
        .value_kind:     global_buffer
      - .actual_access:  read_only
        .address_space:  global
        .offset:         16
        .size:           8
        .value_kind:     global_buffer
      - .actual_access:  read_only
        .address_space:  global
        .offset:         24
        .size:           8
        .value_kind:     global_buffer
      - .address_space:  global
        .offset:         32
        .size:           8
        .value_kind:     global_buffer
      - .offset:         40
        .size:           4
        .value_kind:     by_value
      - .offset:         44
        .size:           4
        .value_kind:     by_value
      - .offset:         48
        .size:           4
        .value_kind:     by_value
      - .actual_access:  read_only
        .address_space:  global
        .offset:         56
        .size:           8
        .value_kind:     global_buffer
      - .offset:         64
        .size:           8
        .value_kind:     by_value
      - .offset:         72
        .size:           4
        .value_kind:     hidden_block_count_x
      - .offset:         76
        .size:           4
        .value_kind:     hidden_block_count_y
      - .offset:         80
        .size:           4
        .value_kind:     hidden_block_count_z
      - .offset:         84
        .size:           2
        .value_kind:     hidden_group_size_x
      - .offset:         86
        .size:           2
        .value_kind:     hidden_group_size_y
      - .offset:         88
        .size:           2
        .value_kind:     hidden_group_size_z
      - .offset:         90
        .size:           2
        .value_kind:     hidden_remainder_x
      - .offset:         92
        .size:           2
        .value_kind:     hidden_remainder_y
      - .offset:         94
        .size:           2
        .value_kind:     hidden_remainder_z
      - .offset:         112
        .size:           8
        .value_kind:     hidden_global_offset_x
      - .offset:         120
        .size:           8
        .value_kind:     hidden_global_offset_y
      - .offset:         128
        .size:           8
        .value_kind:     hidden_global_offset_z
      - .offset:         136
        .size:           2
        .value_kind:     hidden_grid_dims
    .group_segment_fixed_size: 4228
    .kernarg_segment_align: 8
    .kernarg_segment_size: 328
    .language:       OpenCL C
    .language_version:
      - 2
      - 0
    .max_flat_workgroup_size: 1024
    .name:           _ZN4vllm31rms_norm_per_block_quant_kernelIN3c104HalfEaLb0ELb0ELi128EEEvPT0_PfPKT_S8_PKffiiPS6_l
    .private_segment_fixed_size: 0
    .sgpr_count:     38
    .sgpr_spill_count: 0
    .symbol:         _ZN4vllm31rms_norm_per_block_quant_kernelIN3c104HalfEaLb0ELb0ELi128EEEvPT0_PfPKT_S8_PKffiiPS6_l.kd
    .uniform_work_group_size: 1
    .uses_dynamic_stack: false
    .vgpr_count:     35
    .vgpr_spill_count: 0
    .wavefront_size: 32
    .workgroup_processor_mode: 1
  - .args:
      - .actual_access:  write_only
        .address_space:  global
        .offset:         0
        .size:           8
        .value_kind:     global_buffer
      - .address_space:  global
        .offset:         8
        .size:           8
        .value_kind:     global_buffer
      - .actual_access:  read_only
        .address_space:  global
        .offset:         16
        .size:           8
        .value_kind:     global_buffer
      - .actual_access:  read_only
        .address_space:  global
        .offset:         24
        .size:           8
        .value_kind:     global_buffer
      - .address_space:  global
        .offset:         32
        .size:           8
        .value_kind:     global_buffer
      - .offset:         40
        .size:           4
        .value_kind:     by_value
      - .offset:         44
        .size:           4
        .value_kind:     by_value
      - .offset:         48
        .size:           4
        .value_kind:     by_value
      - .address_space:  global
        .offset:         56
        .size:           8
        .value_kind:     global_buffer
      - .offset:         64
        .size:           8
        .value_kind:     by_value
      - .offset:         72
        .size:           4
        .value_kind:     hidden_block_count_x
      - .offset:         76
        .size:           4
        .value_kind:     hidden_block_count_y
      - .offset:         80
        .size:           4
        .value_kind:     hidden_block_count_z
      - .offset:         84
        .size:           2
        .value_kind:     hidden_group_size_x
      - .offset:         86
        .size:           2
        .value_kind:     hidden_group_size_y
      - .offset:         88
        .size:           2
        .value_kind:     hidden_group_size_z
      - .offset:         90
        .size:           2
        .value_kind:     hidden_remainder_x
      - .offset:         92
        .size:           2
        .value_kind:     hidden_remainder_y
      - .offset:         94
        .size:           2
        .value_kind:     hidden_remainder_z
      - .offset:         112
        .size:           8
        .value_kind:     hidden_global_offset_x
      - .offset:         120
        .size:           8
        .value_kind:     hidden_global_offset_y
      - .offset:         128
        .size:           8
        .value_kind:     hidden_global_offset_z
      - .offset:         136
        .size:           2
        .value_kind:     hidden_grid_dims
    .group_segment_fixed_size: 4228
    .kernarg_segment_align: 8
    .kernarg_segment_size: 328
    .language:       OpenCL C
    .language_version:
      - 2
      - 0
    .max_flat_workgroup_size: 1024
    .name:           _ZN4vllm31rms_norm_per_block_quant_kernelIN3c104HalfENS1_13Float8_e4m3fnELb1ELb1ELi64EEEvPT0_PfPKT_S9_PKffiiPS7_l
    .private_segment_fixed_size: 0
    .sgpr_count:     44
    .sgpr_spill_count: 0
    .symbol:         _ZN4vllm31rms_norm_per_block_quant_kernelIN3c104HalfENS1_13Float8_e4m3fnELb1ELb1ELi64EEEvPT0_PfPKT_S9_PKffiiPS7_l.kd
    .uniform_work_group_size: 1
    .uses_dynamic_stack: false
    .vgpr_count:     35
    .vgpr_spill_count: 0
    .wavefront_size: 32
    .workgroup_processor_mode: 1
  - .args:
      - .actual_access:  write_only
        .address_space:  global
        .offset:         0
        .size:           8
        .value_kind:     global_buffer
      - .address_space:  global
        .offset:         8
        .size:           8
        .value_kind:     global_buffer
      - .actual_access:  read_only
        .address_space:  global
        .offset:         16
        .size:           8
        .value_kind:     global_buffer
      - .actual_access:  read_only
        .address_space:  global
        .offset:         24
        .size:           8
        .value_kind:     global_buffer
      - .address_space:  global
        .offset:         32
        .size:           8
        .value_kind:     global_buffer
      - .offset:         40
        .size:           4
        .value_kind:     by_value
      - .offset:         44
        .size:           4
        .value_kind:     by_value
      - .offset:         48
        .size:           4
        .value_kind:     by_value
      - .address_space:  global
        .offset:         56
        .size:           8
        .value_kind:     global_buffer
      - .offset:         64
        .size:           8
        .value_kind:     by_value
      - .offset:         72
        .size:           4
        .value_kind:     hidden_block_count_x
      - .offset:         76
        .size:           4
        .value_kind:     hidden_block_count_y
      - .offset:         80
        .size:           4
        .value_kind:     hidden_block_count_z
      - .offset:         84
        .size:           2
        .value_kind:     hidden_group_size_x
      - .offset:         86
        .size:           2
        .value_kind:     hidden_group_size_y
      - .offset:         88
        .size:           2
        .value_kind:     hidden_group_size_z
      - .offset:         90
        .size:           2
        .value_kind:     hidden_remainder_x
      - .offset:         92
        .size:           2
        .value_kind:     hidden_remainder_y
      - .offset:         94
        .size:           2
        .value_kind:     hidden_remainder_z
      - .offset:         112
        .size:           8
        .value_kind:     hidden_global_offset_x
      - .offset:         120
        .size:           8
        .value_kind:     hidden_global_offset_y
      - .offset:         128
        .size:           8
        .value_kind:     hidden_global_offset_z
      - .offset:         136
        .size:           2
        .value_kind:     hidden_grid_dims
    .group_segment_fixed_size: 4228
    .kernarg_segment_align: 8
    .kernarg_segment_size: 328
    .language:       OpenCL C
    .language_version:
      - 2
      - 0
    .max_flat_workgroup_size: 1024
    .name:           _ZN4vllm31rms_norm_per_block_quant_kernelIN3c104HalfENS1_15Float8_e4m3fnuzELb1ELb1ELi64EEEvPT0_PfPKT_S9_PKffiiPS7_l
    .private_segment_fixed_size: 0
    .sgpr_count:     44
    .sgpr_spill_count: 0
    .symbol:         _ZN4vllm31rms_norm_per_block_quant_kernelIN3c104HalfENS1_15Float8_e4m3fnuzELb1ELb1ELi64EEEvPT0_PfPKT_S9_PKffiiPS7_l.kd
    .uniform_work_group_size: 1
    .uses_dynamic_stack: false
    .vgpr_count:     35
    .vgpr_spill_count: 0
    .wavefront_size: 32
    .workgroup_processor_mode: 1
  - .args:
      - .actual_access:  write_only
        .address_space:  global
        .offset:         0
        .size:           8
        .value_kind:     global_buffer
      - .address_space:  global
        .offset:         8
        .size:           8
        .value_kind:     global_buffer
      - .actual_access:  read_only
        .address_space:  global
        .offset:         16
        .size:           8
        .value_kind:     global_buffer
      - .actual_access:  read_only
        .address_space:  global
        .offset:         24
        .size:           8
        .value_kind:     global_buffer
      - .address_space:  global
        .offset:         32
        .size:           8
        .value_kind:     global_buffer
      - .offset:         40
        .size:           4
        .value_kind:     by_value
      - .offset:         44
        .size:           4
        .value_kind:     by_value
      - .offset:         48
        .size:           4
        .value_kind:     by_value
      - .address_space:  global
        .offset:         56
        .size:           8
        .value_kind:     global_buffer
      - .offset:         64
        .size:           8
        .value_kind:     by_value
      - .offset:         72
        .size:           4
        .value_kind:     hidden_block_count_x
      - .offset:         76
        .size:           4
        .value_kind:     hidden_block_count_y
      - .offset:         80
        .size:           4
        .value_kind:     hidden_block_count_z
      - .offset:         84
        .size:           2
        .value_kind:     hidden_group_size_x
      - .offset:         86
        .size:           2
        .value_kind:     hidden_group_size_y
      - .offset:         88
        .size:           2
        .value_kind:     hidden_group_size_z
      - .offset:         90
        .size:           2
        .value_kind:     hidden_remainder_x
      - .offset:         92
        .size:           2
        .value_kind:     hidden_remainder_y
      - .offset:         94
        .size:           2
        .value_kind:     hidden_remainder_z
      - .offset:         112
        .size:           8
        .value_kind:     hidden_global_offset_x
      - .offset:         120
        .size:           8
        .value_kind:     hidden_global_offset_y
      - .offset:         128
        .size:           8
        .value_kind:     hidden_global_offset_z
      - .offset:         136
        .size:           2
        .value_kind:     hidden_grid_dims
    .group_segment_fixed_size: 4228
    .kernarg_segment_align: 8
    .kernarg_segment_size: 328
    .language:       OpenCL C
    .language_version:
      - 2
      - 0
    .max_flat_workgroup_size: 1024
    .name:           _ZN4vllm31rms_norm_per_block_quant_kernelIN3c104HalfEaLb1ELb1ELi64EEEvPT0_PfPKT_S8_PKffiiPS6_l
    .private_segment_fixed_size: 0
    .sgpr_count:     44
    .sgpr_spill_count: 0
    .symbol:         _ZN4vllm31rms_norm_per_block_quant_kernelIN3c104HalfEaLb1ELb1ELi64EEEvPT0_PfPKT_S8_PKffiiPS6_l.kd
    .uniform_work_group_size: 1
    .uses_dynamic_stack: false
    .vgpr_count:     35
    .vgpr_spill_count: 0
    .wavefront_size: 32
    .workgroup_processor_mode: 1
  - .args:
      - .actual_access:  write_only
        .address_space:  global
        .offset:         0
        .size:           8
        .value_kind:     global_buffer
      - .address_space:  global
        .offset:         8
        .size:           8
        .value_kind:     global_buffer
      - .actual_access:  read_only
        .address_space:  global
        .offset:         16
        .size:           8
        .value_kind:     global_buffer
      - .actual_access:  read_only
        .address_space:  global
        .offset:         24
        .size:           8
        .value_kind:     global_buffer
      - .address_space:  global
        .offset:         32
        .size:           8
        .value_kind:     global_buffer
      - .offset:         40
        .size:           4
        .value_kind:     by_value
      - .offset:         44
        .size:           4
        .value_kind:     by_value
      - .offset:         48
        .size:           4
        .value_kind:     by_value
      - .address_space:  global
        .offset:         56
        .size:           8
        .value_kind:     global_buffer
      - .offset:         64
        .size:           8
        .value_kind:     by_value
      - .offset:         72
        .size:           4
        .value_kind:     hidden_block_count_x
      - .offset:         76
        .size:           4
        .value_kind:     hidden_block_count_y
      - .offset:         80
        .size:           4
        .value_kind:     hidden_block_count_z
      - .offset:         84
        .size:           2
        .value_kind:     hidden_group_size_x
      - .offset:         86
        .size:           2
        .value_kind:     hidden_group_size_y
      - .offset:         88
        .size:           2
        .value_kind:     hidden_group_size_z
      - .offset:         90
        .size:           2
        .value_kind:     hidden_remainder_x
      - .offset:         92
        .size:           2
        .value_kind:     hidden_remainder_y
      - .offset:         94
        .size:           2
        .value_kind:     hidden_remainder_z
      - .offset:         112
        .size:           8
        .value_kind:     hidden_global_offset_x
      - .offset:         120
        .size:           8
        .value_kind:     hidden_global_offset_y
      - .offset:         128
        .size:           8
        .value_kind:     hidden_global_offset_z
      - .offset:         136
        .size:           2
        .value_kind:     hidden_grid_dims
    .group_segment_fixed_size: 4228
    .kernarg_segment_align: 8
    .kernarg_segment_size: 328
    .language:       OpenCL C
    .language_version:
      - 2
      - 0
    .max_flat_workgroup_size: 1024
    .name:           _ZN4vllm31rms_norm_per_block_quant_kernelIN3c104HalfENS1_13Float8_e4m3fnELb1ELb0ELi64EEEvPT0_PfPKT_S9_PKffiiPS7_l
    .private_segment_fixed_size: 0
    .sgpr_count:     42
    .sgpr_spill_count: 0
    .symbol:         _ZN4vllm31rms_norm_per_block_quant_kernelIN3c104HalfENS1_13Float8_e4m3fnELb1ELb0ELi64EEEvPT0_PfPKT_S9_PKffiiPS7_l.kd
    .uniform_work_group_size: 1
    .uses_dynamic_stack: false
    .vgpr_count:     35
    .vgpr_spill_count: 0
    .wavefront_size: 32
    .workgroup_processor_mode: 1
  - .args:
      - .actual_access:  write_only
        .address_space:  global
        .offset:         0
        .size:           8
        .value_kind:     global_buffer
      - .address_space:  global
        .offset:         8
        .size:           8
        .value_kind:     global_buffer
      - .actual_access:  read_only
        .address_space:  global
        .offset:         16
        .size:           8
        .value_kind:     global_buffer
      - .actual_access:  read_only
        .address_space:  global
        .offset:         24
        .size:           8
        .value_kind:     global_buffer
      - .address_space:  global
        .offset:         32
        .size:           8
        .value_kind:     global_buffer
      - .offset:         40
        .size:           4
        .value_kind:     by_value
      - .offset:         44
        .size:           4
        .value_kind:     by_value
      - .offset:         48
        .size:           4
        .value_kind:     by_value
      - .address_space:  global
        .offset:         56
        .size:           8
        .value_kind:     global_buffer
      - .offset:         64
        .size:           8
        .value_kind:     by_value
      - .offset:         72
        .size:           4
        .value_kind:     hidden_block_count_x
      - .offset:         76
        .size:           4
        .value_kind:     hidden_block_count_y
      - .offset:         80
        .size:           4
        .value_kind:     hidden_block_count_z
      - .offset:         84
        .size:           2
        .value_kind:     hidden_group_size_x
      - .offset:         86
        .size:           2
        .value_kind:     hidden_group_size_y
      - .offset:         88
        .size:           2
        .value_kind:     hidden_group_size_z
      - .offset:         90
        .size:           2
        .value_kind:     hidden_remainder_x
      - .offset:         92
        .size:           2
        .value_kind:     hidden_remainder_y
      - .offset:         94
        .size:           2
        .value_kind:     hidden_remainder_z
      - .offset:         112
        .size:           8
        .value_kind:     hidden_global_offset_x
      - .offset:         120
        .size:           8
        .value_kind:     hidden_global_offset_y
      - .offset:         128
        .size:           8
        .value_kind:     hidden_global_offset_z
      - .offset:         136
        .size:           2
        .value_kind:     hidden_grid_dims
    .group_segment_fixed_size: 4228
    .kernarg_segment_align: 8
    .kernarg_segment_size: 328
    .language:       OpenCL C
    .language_version:
      - 2
      - 0
    .max_flat_workgroup_size: 1024
    .name:           _ZN4vllm31rms_norm_per_block_quant_kernelIN3c104HalfENS1_15Float8_e4m3fnuzELb1ELb0ELi64EEEvPT0_PfPKT_S9_PKffiiPS7_l
    .private_segment_fixed_size: 0
    .sgpr_count:     42
    .sgpr_spill_count: 0
    .symbol:         _ZN4vllm31rms_norm_per_block_quant_kernelIN3c104HalfENS1_15Float8_e4m3fnuzELb1ELb0ELi64EEEvPT0_PfPKT_S9_PKffiiPS7_l.kd
    .uniform_work_group_size: 1
    .uses_dynamic_stack: false
    .vgpr_count:     35
    .vgpr_spill_count: 0
    .wavefront_size: 32
    .workgroup_processor_mode: 1
  - .args:
      - .actual_access:  write_only
        .address_space:  global
        .offset:         0
        .size:           8
        .value_kind:     global_buffer
      - .address_space:  global
        .offset:         8
        .size:           8
        .value_kind:     global_buffer
      - .actual_access:  read_only
        .address_space:  global
        .offset:         16
        .size:           8
        .value_kind:     global_buffer
      - .actual_access:  read_only
        .address_space:  global
        .offset:         24
        .size:           8
        .value_kind:     global_buffer
      - .address_space:  global
        .offset:         32
        .size:           8
        .value_kind:     global_buffer
      - .offset:         40
        .size:           4
        .value_kind:     by_value
      - .offset:         44
        .size:           4
        .value_kind:     by_value
      - .offset:         48
        .size:           4
        .value_kind:     by_value
      - .address_space:  global
        .offset:         56
        .size:           8
        .value_kind:     global_buffer
      - .offset:         64
        .size:           8
        .value_kind:     by_value
      - .offset:         72
        .size:           4
        .value_kind:     hidden_block_count_x
      - .offset:         76
        .size:           4
        .value_kind:     hidden_block_count_y
      - .offset:         80
        .size:           4
        .value_kind:     hidden_block_count_z
      - .offset:         84
        .size:           2
        .value_kind:     hidden_group_size_x
      - .offset:         86
        .size:           2
        .value_kind:     hidden_group_size_y
      - .offset:         88
        .size:           2
        .value_kind:     hidden_group_size_z
      - .offset:         90
        .size:           2
        .value_kind:     hidden_remainder_x
      - .offset:         92
        .size:           2
        .value_kind:     hidden_remainder_y
      - .offset:         94
        .size:           2
        .value_kind:     hidden_remainder_z
      - .offset:         112
        .size:           8
        .value_kind:     hidden_global_offset_x
      - .offset:         120
        .size:           8
        .value_kind:     hidden_global_offset_y
      - .offset:         128
        .size:           8
        .value_kind:     hidden_global_offset_z
      - .offset:         136
        .size:           2
        .value_kind:     hidden_grid_dims
    .group_segment_fixed_size: 4228
    .kernarg_segment_align: 8
    .kernarg_segment_size: 328
    .language:       OpenCL C
    .language_version:
      - 2
      - 0
    .max_flat_workgroup_size: 1024
    .name:           _ZN4vllm31rms_norm_per_block_quant_kernelIN3c104HalfEaLb1ELb0ELi64EEEvPT0_PfPKT_S8_PKffiiPS6_l
    .private_segment_fixed_size: 0
    .sgpr_count:     42
    .sgpr_spill_count: 0
    .symbol:         _ZN4vllm31rms_norm_per_block_quant_kernelIN3c104HalfEaLb1ELb0ELi64EEEvPT0_PfPKT_S8_PKffiiPS6_l.kd
    .uniform_work_group_size: 1
    .uses_dynamic_stack: false
    .vgpr_count:     35
    .vgpr_spill_count: 0
    .wavefront_size: 32
    .workgroup_processor_mode: 1
  - .args:
      - .actual_access:  write_only
        .address_space:  global
        .offset:         0
        .size:           8
        .value_kind:     global_buffer
      - .address_space:  global
        .offset:         8
        .size:           8
        .value_kind:     global_buffer
      - .actual_access:  read_only
        .address_space:  global
        .offset:         16
        .size:           8
        .value_kind:     global_buffer
      - .actual_access:  read_only
        .address_space:  global
        .offset:         24
        .size:           8
        .value_kind:     global_buffer
      - .address_space:  global
        .offset:         32
        .size:           8
        .value_kind:     global_buffer
      - .offset:         40
        .size:           4
        .value_kind:     by_value
      - .offset:         44
        .size:           4
        .value_kind:     by_value
      - .offset:         48
        .size:           4
        .value_kind:     by_value
      - .actual_access:  read_only
        .address_space:  global
        .offset:         56
        .size:           8
        .value_kind:     global_buffer
      - .offset:         64
        .size:           8
        .value_kind:     by_value
      - .offset:         72
        .size:           4
        .value_kind:     hidden_block_count_x
      - .offset:         76
        .size:           4
        .value_kind:     hidden_block_count_y
      - .offset:         80
        .size:           4
        .value_kind:     hidden_block_count_z
      - .offset:         84
        .size:           2
        .value_kind:     hidden_group_size_x
      - .offset:         86
        .size:           2
        .value_kind:     hidden_group_size_y
      - .offset:         88
        .size:           2
        .value_kind:     hidden_group_size_z
      - .offset:         90
        .size:           2
        .value_kind:     hidden_remainder_x
      - .offset:         92
        .size:           2
        .value_kind:     hidden_remainder_y
      - .offset:         94
        .size:           2
        .value_kind:     hidden_remainder_z
      - .offset:         112
        .size:           8
        .value_kind:     hidden_global_offset_x
      - .offset:         120
        .size:           8
        .value_kind:     hidden_global_offset_y
      - .offset:         128
        .size:           8
        .value_kind:     hidden_global_offset_z
      - .offset:         136
        .size:           2
        .value_kind:     hidden_grid_dims
    .group_segment_fixed_size: 4228
    .kernarg_segment_align: 8
    .kernarg_segment_size: 328
    .language:       OpenCL C
    .language_version:
      - 2
      - 0
    .max_flat_workgroup_size: 1024
    .name:           _ZN4vllm31rms_norm_per_block_quant_kernelIN3c104HalfENS1_13Float8_e4m3fnELb0ELb1ELi64EEEvPT0_PfPKT_S9_PKffiiPS7_l
    .private_segment_fixed_size: 0
    .sgpr_count:     40
    .sgpr_spill_count: 0
    .symbol:         _ZN4vllm31rms_norm_per_block_quant_kernelIN3c104HalfENS1_13Float8_e4m3fnELb0ELb1ELi64EEEvPT0_PfPKT_S9_PKffiiPS7_l.kd
    .uniform_work_group_size: 1
    .uses_dynamic_stack: false
    .vgpr_count:     35
    .vgpr_spill_count: 0
    .wavefront_size: 32
    .workgroup_processor_mode: 1
  - .args:
      - .actual_access:  write_only
        .address_space:  global
        .offset:         0
        .size:           8
        .value_kind:     global_buffer
      - .address_space:  global
        .offset:         8
        .size:           8
        .value_kind:     global_buffer
      - .actual_access:  read_only
        .address_space:  global
        .offset:         16
        .size:           8
        .value_kind:     global_buffer
      - .actual_access:  read_only
        .address_space:  global
        .offset:         24
        .size:           8
        .value_kind:     global_buffer
      - .address_space:  global
        .offset:         32
        .size:           8
        .value_kind:     global_buffer
      - .offset:         40
        .size:           4
        .value_kind:     by_value
      - .offset:         44
        .size:           4
        .value_kind:     by_value
      - .offset:         48
        .size:           4
        .value_kind:     by_value
      - .actual_access:  read_only
        .address_space:  global
        .offset:         56
        .size:           8
        .value_kind:     global_buffer
      - .offset:         64
        .size:           8
        .value_kind:     by_value
      - .offset:         72
        .size:           4
        .value_kind:     hidden_block_count_x
      - .offset:         76
        .size:           4
        .value_kind:     hidden_block_count_y
      - .offset:         80
        .size:           4
        .value_kind:     hidden_block_count_z
      - .offset:         84
        .size:           2
        .value_kind:     hidden_group_size_x
      - .offset:         86
        .size:           2
        .value_kind:     hidden_group_size_y
      - .offset:         88
        .size:           2
        .value_kind:     hidden_group_size_z
      - .offset:         90
        .size:           2
        .value_kind:     hidden_remainder_x
      - .offset:         92
        .size:           2
        .value_kind:     hidden_remainder_y
      - .offset:         94
        .size:           2
        .value_kind:     hidden_remainder_z
      - .offset:         112
        .size:           8
        .value_kind:     hidden_global_offset_x
      - .offset:         120
        .size:           8
        .value_kind:     hidden_global_offset_y
      - .offset:         128
        .size:           8
        .value_kind:     hidden_global_offset_z
      - .offset:         136
        .size:           2
        .value_kind:     hidden_grid_dims
    .group_segment_fixed_size: 4228
    .kernarg_segment_align: 8
    .kernarg_segment_size: 328
    .language:       OpenCL C
    .language_version:
      - 2
      - 0
    .max_flat_workgroup_size: 1024
    .name:           _ZN4vllm31rms_norm_per_block_quant_kernelIN3c104HalfENS1_15Float8_e4m3fnuzELb0ELb1ELi64EEEvPT0_PfPKT_S9_PKffiiPS7_l
    .private_segment_fixed_size: 0
    .sgpr_count:     40
    .sgpr_spill_count: 0
    .symbol:         _ZN4vllm31rms_norm_per_block_quant_kernelIN3c104HalfENS1_15Float8_e4m3fnuzELb0ELb1ELi64EEEvPT0_PfPKT_S9_PKffiiPS7_l.kd
    .uniform_work_group_size: 1
    .uses_dynamic_stack: false
    .vgpr_count:     35
    .vgpr_spill_count: 0
    .wavefront_size: 32
    .workgroup_processor_mode: 1
  - .args:
      - .actual_access:  write_only
        .address_space:  global
        .offset:         0
        .size:           8
        .value_kind:     global_buffer
      - .address_space:  global
        .offset:         8
        .size:           8
        .value_kind:     global_buffer
      - .actual_access:  read_only
        .address_space:  global
        .offset:         16
        .size:           8
        .value_kind:     global_buffer
      - .actual_access:  read_only
        .address_space:  global
        .offset:         24
        .size:           8
        .value_kind:     global_buffer
      - .address_space:  global
        .offset:         32
        .size:           8
        .value_kind:     global_buffer
      - .offset:         40
        .size:           4
        .value_kind:     by_value
      - .offset:         44
        .size:           4
        .value_kind:     by_value
      - .offset:         48
        .size:           4
        .value_kind:     by_value
      - .actual_access:  read_only
        .address_space:  global
        .offset:         56
        .size:           8
        .value_kind:     global_buffer
      - .offset:         64
        .size:           8
        .value_kind:     by_value
      - .offset:         72
        .size:           4
        .value_kind:     hidden_block_count_x
      - .offset:         76
        .size:           4
        .value_kind:     hidden_block_count_y
      - .offset:         80
        .size:           4
        .value_kind:     hidden_block_count_z
      - .offset:         84
        .size:           2
        .value_kind:     hidden_group_size_x
      - .offset:         86
        .size:           2
        .value_kind:     hidden_group_size_y
      - .offset:         88
        .size:           2
        .value_kind:     hidden_group_size_z
      - .offset:         90
        .size:           2
        .value_kind:     hidden_remainder_x
      - .offset:         92
        .size:           2
        .value_kind:     hidden_remainder_y
      - .offset:         94
        .size:           2
        .value_kind:     hidden_remainder_z
      - .offset:         112
        .size:           8
        .value_kind:     hidden_global_offset_x
      - .offset:         120
        .size:           8
        .value_kind:     hidden_global_offset_y
      - .offset:         128
        .size:           8
        .value_kind:     hidden_global_offset_z
      - .offset:         136
        .size:           2
        .value_kind:     hidden_grid_dims
    .group_segment_fixed_size: 4228
    .kernarg_segment_align: 8
    .kernarg_segment_size: 328
    .language:       OpenCL C
    .language_version:
      - 2
      - 0
    .max_flat_workgroup_size: 1024
    .name:           _ZN4vllm31rms_norm_per_block_quant_kernelIN3c104HalfEaLb0ELb1ELi64EEEvPT0_PfPKT_S8_PKffiiPS6_l
    .private_segment_fixed_size: 0
    .sgpr_count:     40
    .sgpr_spill_count: 0
    .symbol:         _ZN4vllm31rms_norm_per_block_quant_kernelIN3c104HalfEaLb0ELb1ELi64EEEvPT0_PfPKT_S8_PKffiiPS6_l.kd
    .uniform_work_group_size: 1
    .uses_dynamic_stack: false
    .vgpr_count:     35
    .vgpr_spill_count: 0
    .wavefront_size: 32
    .workgroup_processor_mode: 1
  - .args:
      - .actual_access:  write_only
        .address_space:  global
        .offset:         0
        .size:           8
        .value_kind:     global_buffer
      - .address_space:  global
        .offset:         8
        .size:           8
        .value_kind:     global_buffer
      - .actual_access:  read_only
        .address_space:  global
        .offset:         16
        .size:           8
        .value_kind:     global_buffer
      - .actual_access:  read_only
        .address_space:  global
        .offset:         24
        .size:           8
        .value_kind:     global_buffer
      - .address_space:  global
        .offset:         32
        .size:           8
        .value_kind:     global_buffer
      - .offset:         40
        .size:           4
        .value_kind:     by_value
      - .offset:         44
        .size:           4
        .value_kind:     by_value
      - .offset:         48
        .size:           4
        .value_kind:     by_value
      - .actual_access:  read_only
        .address_space:  global
        .offset:         56
        .size:           8
        .value_kind:     global_buffer
      - .offset:         64
        .size:           8
        .value_kind:     by_value
      - .offset:         72
        .size:           4
        .value_kind:     hidden_block_count_x
      - .offset:         76
        .size:           4
        .value_kind:     hidden_block_count_y
      - .offset:         80
        .size:           4
        .value_kind:     hidden_block_count_z
      - .offset:         84
        .size:           2
        .value_kind:     hidden_group_size_x
      - .offset:         86
        .size:           2
        .value_kind:     hidden_group_size_y
      - .offset:         88
        .size:           2
        .value_kind:     hidden_group_size_z
      - .offset:         90
        .size:           2
        .value_kind:     hidden_remainder_x
      - .offset:         92
        .size:           2
        .value_kind:     hidden_remainder_y
      - .offset:         94
        .size:           2
        .value_kind:     hidden_remainder_z
      - .offset:         112
        .size:           8
        .value_kind:     hidden_global_offset_x
      - .offset:         120
        .size:           8
        .value_kind:     hidden_global_offset_y
      - .offset:         128
        .size:           8
        .value_kind:     hidden_global_offset_z
      - .offset:         136
        .size:           2
        .value_kind:     hidden_grid_dims
    .group_segment_fixed_size: 4228
    .kernarg_segment_align: 8
    .kernarg_segment_size: 328
    .language:       OpenCL C
    .language_version:
      - 2
      - 0
    .max_flat_workgroup_size: 1024
    .name:           _ZN4vllm31rms_norm_per_block_quant_kernelIN3c104HalfENS1_13Float8_e4m3fnELb0ELb0ELi64EEEvPT0_PfPKT_S9_PKffiiPS7_l
    .private_segment_fixed_size: 0
    .sgpr_count:     38
    .sgpr_spill_count: 0
    .symbol:         _ZN4vllm31rms_norm_per_block_quant_kernelIN3c104HalfENS1_13Float8_e4m3fnELb0ELb0ELi64EEEvPT0_PfPKT_S9_PKffiiPS7_l.kd
    .uniform_work_group_size: 1
    .uses_dynamic_stack: false
    .vgpr_count:     35
    .vgpr_spill_count: 0
    .wavefront_size: 32
    .workgroup_processor_mode: 1
  - .args:
      - .actual_access:  write_only
        .address_space:  global
        .offset:         0
        .size:           8
        .value_kind:     global_buffer
      - .address_space:  global
        .offset:         8
        .size:           8
        .value_kind:     global_buffer
      - .actual_access:  read_only
        .address_space:  global
        .offset:         16
        .size:           8
        .value_kind:     global_buffer
      - .actual_access:  read_only
        .address_space:  global
        .offset:         24
        .size:           8
        .value_kind:     global_buffer
      - .address_space:  global
        .offset:         32
        .size:           8
        .value_kind:     global_buffer
      - .offset:         40
        .size:           4
        .value_kind:     by_value
      - .offset:         44
        .size:           4
        .value_kind:     by_value
      - .offset:         48
        .size:           4
        .value_kind:     by_value
      - .actual_access:  read_only
        .address_space:  global
        .offset:         56
        .size:           8
        .value_kind:     global_buffer
      - .offset:         64
        .size:           8
        .value_kind:     by_value
      - .offset:         72
        .size:           4
        .value_kind:     hidden_block_count_x
      - .offset:         76
        .size:           4
        .value_kind:     hidden_block_count_y
      - .offset:         80
        .size:           4
        .value_kind:     hidden_block_count_z
      - .offset:         84
        .size:           2
        .value_kind:     hidden_group_size_x
      - .offset:         86
        .size:           2
        .value_kind:     hidden_group_size_y
      - .offset:         88
        .size:           2
        .value_kind:     hidden_group_size_z
      - .offset:         90
        .size:           2
        .value_kind:     hidden_remainder_x
      - .offset:         92
        .size:           2
        .value_kind:     hidden_remainder_y
      - .offset:         94
        .size:           2
        .value_kind:     hidden_remainder_z
      - .offset:         112
        .size:           8
        .value_kind:     hidden_global_offset_x
      - .offset:         120
        .size:           8
        .value_kind:     hidden_global_offset_y
      - .offset:         128
        .size:           8
        .value_kind:     hidden_global_offset_z
      - .offset:         136
        .size:           2
        .value_kind:     hidden_grid_dims
    .group_segment_fixed_size: 4228
    .kernarg_segment_align: 8
    .kernarg_segment_size: 328
    .language:       OpenCL C
    .language_version:
      - 2
      - 0
    .max_flat_workgroup_size: 1024
    .name:           _ZN4vllm31rms_norm_per_block_quant_kernelIN3c104HalfENS1_15Float8_e4m3fnuzELb0ELb0ELi64EEEvPT0_PfPKT_S9_PKffiiPS7_l
    .private_segment_fixed_size: 0
    .sgpr_count:     38
    .sgpr_spill_count: 0
    .symbol:         _ZN4vllm31rms_norm_per_block_quant_kernelIN3c104HalfENS1_15Float8_e4m3fnuzELb0ELb0ELi64EEEvPT0_PfPKT_S9_PKffiiPS7_l.kd
    .uniform_work_group_size: 1
    .uses_dynamic_stack: false
    .vgpr_count:     35
    .vgpr_spill_count: 0
    .wavefront_size: 32
    .workgroup_processor_mode: 1
  - .args:
      - .actual_access:  write_only
        .address_space:  global
        .offset:         0
        .size:           8
        .value_kind:     global_buffer
      - .address_space:  global
        .offset:         8
        .size:           8
        .value_kind:     global_buffer
      - .actual_access:  read_only
        .address_space:  global
        .offset:         16
        .size:           8
        .value_kind:     global_buffer
      - .actual_access:  read_only
        .address_space:  global
        .offset:         24
        .size:           8
        .value_kind:     global_buffer
      - .address_space:  global
        .offset:         32
        .size:           8
        .value_kind:     global_buffer
      - .offset:         40
        .size:           4
        .value_kind:     by_value
      - .offset:         44
        .size:           4
        .value_kind:     by_value
      - .offset:         48
        .size:           4
        .value_kind:     by_value
      - .actual_access:  read_only
        .address_space:  global
        .offset:         56
        .size:           8
        .value_kind:     global_buffer
      - .offset:         64
        .size:           8
        .value_kind:     by_value
      - .offset:         72
        .size:           4
        .value_kind:     hidden_block_count_x
      - .offset:         76
        .size:           4
        .value_kind:     hidden_block_count_y
      - .offset:         80
        .size:           4
        .value_kind:     hidden_block_count_z
      - .offset:         84
        .size:           2
        .value_kind:     hidden_group_size_x
      - .offset:         86
        .size:           2
        .value_kind:     hidden_group_size_y
      - .offset:         88
        .size:           2
        .value_kind:     hidden_group_size_z
      - .offset:         90
        .size:           2
        .value_kind:     hidden_remainder_x
      - .offset:         92
        .size:           2
        .value_kind:     hidden_remainder_y
      - .offset:         94
        .size:           2
        .value_kind:     hidden_remainder_z
      - .offset:         112
        .size:           8
        .value_kind:     hidden_global_offset_x
      - .offset:         120
        .size:           8
        .value_kind:     hidden_global_offset_y
      - .offset:         128
        .size:           8
        .value_kind:     hidden_global_offset_z
      - .offset:         136
        .size:           2
        .value_kind:     hidden_grid_dims
    .group_segment_fixed_size: 4228
    .kernarg_segment_align: 8
    .kernarg_segment_size: 328
    .language:       OpenCL C
    .language_version:
      - 2
      - 0
    .max_flat_workgroup_size: 1024
    .name:           _ZN4vllm31rms_norm_per_block_quant_kernelIN3c104HalfEaLb0ELb0ELi64EEEvPT0_PfPKT_S8_PKffiiPS6_l
    .private_segment_fixed_size: 0
    .sgpr_count:     38
    .sgpr_spill_count: 0
    .symbol:         _ZN4vllm31rms_norm_per_block_quant_kernelIN3c104HalfEaLb0ELb0ELi64EEEvPT0_PfPKT_S8_PKffiiPS6_l.kd
    .uniform_work_group_size: 1
    .uses_dynamic_stack: false
    .vgpr_count:     35
    .vgpr_spill_count: 0
    .wavefront_size: 32
    .workgroup_processor_mode: 1
  - .args:
      - .actual_access:  write_only
        .address_space:  global
        .offset:         0
        .size:           8
        .value_kind:     global_buffer
      - .address_space:  global
        .offset:         8
        .size:           8
        .value_kind:     global_buffer
      - .actual_access:  read_only
        .address_space:  global
        .offset:         16
        .size:           8
        .value_kind:     global_buffer
      - .actual_access:  read_only
        .address_space:  global
        .offset:         24
        .size:           8
        .value_kind:     global_buffer
      - .address_space:  global
        .offset:         32
        .size:           8
        .value_kind:     global_buffer
      - .offset:         40
        .size:           4
        .value_kind:     by_value
      - .offset:         44
        .size:           4
        .value_kind:     by_value
      - .offset:         48
        .size:           4
        .value_kind:     by_value
      - .address_space:  global
        .offset:         56
        .size:           8
        .value_kind:     global_buffer
      - .offset:         64
        .size:           8
        .value_kind:     by_value
      - .offset:         72
        .size:           4
        .value_kind:     hidden_block_count_x
      - .offset:         76
        .size:           4
        .value_kind:     hidden_block_count_y
      - .offset:         80
        .size:           4
        .value_kind:     hidden_block_count_z
      - .offset:         84
        .size:           2
        .value_kind:     hidden_group_size_x
      - .offset:         86
        .size:           2
        .value_kind:     hidden_group_size_y
      - .offset:         88
        .size:           2
        .value_kind:     hidden_group_size_z
      - .offset:         90
        .size:           2
        .value_kind:     hidden_remainder_x
      - .offset:         92
        .size:           2
        .value_kind:     hidden_remainder_y
      - .offset:         94
        .size:           2
        .value_kind:     hidden_remainder_z
      - .offset:         112
        .size:           8
        .value_kind:     hidden_global_offset_x
      - .offset:         120
        .size:           8
        .value_kind:     hidden_global_offset_y
      - .offset:         128
        .size:           8
        .value_kind:     hidden_global_offset_z
      - .offset:         136
        .size:           2
        .value_kind:     hidden_grid_dims
    .group_segment_fixed_size: 4228
    .kernarg_segment_align: 8
    .kernarg_segment_size: 328
    .language:       OpenCL C
    .language_version:
      - 2
      - 0
    .max_flat_workgroup_size: 1024
    .name:           _ZN4vllm31rms_norm_per_block_quant_kernelIN3c108BFloat16ENS1_13Float8_e4m3fnELb1ELb1ELi128EEEvPT0_PfPKT_S9_PKffiiPS7_l
    .private_segment_fixed_size: 0
    .sgpr_count:     45
    .sgpr_spill_count: 0
    .symbol:         _ZN4vllm31rms_norm_per_block_quant_kernelIN3c108BFloat16ENS1_13Float8_e4m3fnELb1ELb1ELi128EEEvPT0_PfPKT_S9_PKffiiPS7_l.kd
    .uniform_work_group_size: 1
    .uses_dynamic_stack: false
    .vgpr_count:     54
    .vgpr_spill_count: 0
    .wavefront_size: 32
    .workgroup_processor_mode: 1
  - .args:
      - .actual_access:  write_only
        .address_space:  global
        .offset:         0
        .size:           8
        .value_kind:     global_buffer
      - .address_space:  global
        .offset:         8
        .size:           8
        .value_kind:     global_buffer
      - .actual_access:  read_only
        .address_space:  global
        .offset:         16
        .size:           8
        .value_kind:     global_buffer
      - .actual_access:  read_only
        .address_space:  global
        .offset:         24
        .size:           8
        .value_kind:     global_buffer
      - .address_space:  global
        .offset:         32
        .size:           8
        .value_kind:     global_buffer
      - .offset:         40
        .size:           4
        .value_kind:     by_value
      - .offset:         44
        .size:           4
        .value_kind:     by_value
      - .offset:         48
        .size:           4
        .value_kind:     by_value
      - .address_space:  global
        .offset:         56
        .size:           8
        .value_kind:     global_buffer
      - .offset:         64
        .size:           8
        .value_kind:     by_value
      - .offset:         72
        .size:           4
        .value_kind:     hidden_block_count_x
      - .offset:         76
        .size:           4
        .value_kind:     hidden_block_count_y
      - .offset:         80
        .size:           4
        .value_kind:     hidden_block_count_z
      - .offset:         84
        .size:           2
        .value_kind:     hidden_group_size_x
      - .offset:         86
        .size:           2
        .value_kind:     hidden_group_size_y
      - .offset:         88
        .size:           2
        .value_kind:     hidden_group_size_z
      - .offset:         90
        .size:           2
        .value_kind:     hidden_remainder_x
      - .offset:         92
        .size:           2
        .value_kind:     hidden_remainder_y
      - .offset:         94
        .size:           2
        .value_kind:     hidden_remainder_z
      - .offset:         112
        .size:           8
        .value_kind:     hidden_global_offset_x
      - .offset:         120
        .size:           8
        .value_kind:     hidden_global_offset_y
      - .offset:         128
        .size:           8
        .value_kind:     hidden_global_offset_z
      - .offset:         136
        .size:           2
        .value_kind:     hidden_grid_dims
    .group_segment_fixed_size: 4228
    .kernarg_segment_align: 8
    .kernarg_segment_size: 328
    .language:       OpenCL C
    .language_version:
      - 2
      - 0
    .max_flat_workgroup_size: 1024
    .name:           _ZN4vllm31rms_norm_per_block_quant_kernelIN3c108BFloat16ENS1_15Float8_e4m3fnuzELb1ELb1ELi128EEEvPT0_PfPKT_S9_PKffiiPS7_l
    .private_segment_fixed_size: 0
    .sgpr_count:     45
    .sgpr_spill_count: 0
    .symbol:         _ZN4vllm31rms_norm_per_block_quant_kernelIN3c108BFloat16ENS1_15Float8_e4m3fnuzELb1ELb1ELi128EEEvPT0_PfPKT_S9_PKffiiPS7_l.kd
    .uniform_work_group_size: 1
    .uses_dynamic_stack: false
    .vgpr_count:     54
    .vgpr_spill_count: 0
    .wavefront_size: 32
    .workgroup_processor_mode: 1
  - .args:
      - .actual_access:  write_only
        .address_space:  global
        .offset:         0
        .size:           8
        .value_kind:     global_buffer
      - .address_space:  global
        .offset:         8
        .size:           8
        .value_kind:     global_buffer
      - .actual_access:  read_only
        .address_space:  global
        .offset:         16
        .size:           8
        .value_kind:     global_buffer
      - .actual_access:  read_only
        .address_space:  global
        .offset:         24
        .size:           8
        .value_kind:     global_buffer
      - .address_space:  global
        .offset:         32
        .size:           8
        .value_kind:     global_buffer
      - .offset:         40
        .size:           4
        .value_kind:     by_value
      - .offset:         44
        .size:           4
        .value_kind:     by_value
      - .offset:         48
        .size:           4
        .value_kind:     by_value
      - .address_space:  global
        .offset:         56
        .size:           8
        .value_kind:     global_buffer
      - .offset:         64
        .size:           8
        .value_kind:     by_value
      - .offset:         72
        .size:           4
        .value_kind:     hidden_block_count_x
      - .offset:         76
        .size:           4
        .value_kind:     hidden_block_count_y
      - .offset:         80
        .size:           4
        .value_kind:     hidden_block_count_z
      - .offset:         84
        .size:           2
        .value_kind:     hidden_group_size_x
      - .offset:         86
        .size:           2
        .value_kind:     hidden_group_size_y
      - .offset:         88
        .size:           2
        .value_kind:     hidden_group_size_z
      - .offset:         90
        .size:           2
        .value_kind:     hidden_remainder_x
      - .offset:         92
        .size:           2
        .value_kind:     hidden_remainder_y
      - .offset:         94
        .size:           2
        .value_kind:     hidden_remainder_z
      - .offset:         112
        .size:           8
        .value_kind:     hidden_global_offset_x
      - .offset:         120
        .size:           8
        .value_kind:     hidden_global_offset_y
      - .offset:         128
        .size:           8
        .value_kind:     hidden_global_offset_z
      - .offset:         136
        .size:           2
        .value_kind:     hidden_grid_dims
    .group_segment_fixed_size: 4228
    .kernarg_segment_align: 8
    .kernarg_segment_size: 328
    .language:       OpenCL C
    .language_version:
      - 2
      - 0
    .max_flat_workgroup_size: 1024
    .name:           _ZN4vllm31rms_norm_per_block_quant_kernelIN3c108BFloat16EaLb1ELb1ELi128EEEvPT0_PfPKT_S8_PKffiiPS6_l
    .private_segment_fixed_size: 0
    .sgpr_count:     45
    .sgpr_spill_count: 0
    .symbol:         _ZN4vllm31rms_norm_per_block_quant_kernelIN3c108BFloat16EaLb1ELb1ELi128EEEvPT0_PfPKT_S8_PKffiiPS6_l.kd
    .uniform_work_group_size: 1
    .uses_dynamic_stack: false
    .vgpr_count:     54
    .vgpr_spill_count: 0
    .wavefront_size: 32
    .workgroup_processor_mode: 1
  - .args:
      - .actual_access:  write_only
        .address_space:  global
        .offset:         0
        .size:           8
        .value_kind:     global_buffer
      - .address_space:  global
        .offset:         8
        .size:           8
        .value_kind:     global_buffer
      - .actual_access:  read_only
        .address_space:  global
        .offset:         16
        .size:           8
        .value_kind:     global_buffer
      - .actual_access:  read_only
        .address_space:  global
        .offset:         24
        .size:           8
        .value_kind:     global_buffer
      - .address_space:  global
        .offset:         32
        .size:           8
        .value_kind:     global_buffer
      - .offset:         40
        .size:           4
        .value_kind:     by_value
      - .offset:         44
        .size:           4
        .value_kind:     by_value
      - .offset:         48
        .size:           4
        .value_kind:     by_value
      - .address_space:  global
        .offset:         56
        .size:           8
        .value_kind:     global_buffer
      - .offset:         64
        .size:           8
        .value_kind:     by_value
      - .offset:         72
        .size:           4
        .value_kind:     hidden_block_count_x
      - .offset:         76
        .size:           4
        .value_kind:     hidden_block_count_y
      - .offset:         80
        .size:           4
        .value_kind:     hidden_block_count_z
      - .offset:         84
        .size:           2
        .value_kind:     hidden_group_size_x
      - .offset:         86
        .size:           2
        .value_kind:     hidden_group_size_y
      - .offset:         88
        .size:           2
        .value_kind:     hidden_group_size_z
      - .offset:         90
        .size:           2
        .value_kind:     hidden_remainder_x
      - .offset:         92
        .size:           2
        .value_kind:     hidden_remainder_y
      - .offset:         94
        .size:           2
        .value_kind:     hidden_remainder_z
      - .offset:         112
        .size:           8
        .value_kind:     hidden_global_offset_x
      - .offset:         120
        .size:           8
        .value_kind:     hidden_global_offset_y
      - .offset:         128
        .size:           8
        .value_kind:     hidden_global_offset_z
      - .offset:         136
        .size:           2
        .value_kind:     hidden_grid_dims
    .group_segment_fixed_size: 4228
    .kernarg_segment_align: 8
    .kernarg_segment_size: 328
    .language:       OpenCL C
    .language_version:
      - 2
      - 0
    .max_flat_workgroup_size: 1024
    .name:           _ZN4vllm31rms_norm_per_block_quant_kernelIN3c108BFloat16ENS1_13Float8_e4m3fnELb1ELb0ELi128EEEvPT0_PfPKT_S9_PKffiiPS7_l
    .private_segment_fixed_size: 0
    .sgpr_count:     43
    .sgpr_spill_count: 0
    .symbol:         _ZN4vllm31rms_norm_per_block_quant_kernelIN3c108BFloat16ENS1_13Float8_e4m3fnELb1ELb0ELi128EEEvPT0_PfPKT_S9_PKffiiPS7_l.kd
    .uniform_work_group_size: 1
    .uses_dynamic_stack: false
    .vgpr_count:     54
    .vgpr_spill_count: 0
    .wavefront_size: 32
    .workgroup_processor_mode: 1
  - .args:
      - .actual_access:  write_only
        .address_space:  global
        .offset:         0
        .size:           8
        .value_kind:     global_buffer
      - .address_space:  global
        .offset:         8
        .size:           8
        .value_kind:     global_buffer
      - .actual_access:  read_only
        .address_space:  global
        .offset:         16
        .size:           8
        .value_kind:     global_buffer
      - .actual_access:  read_only
        .address_space:  global
        .offset:         24
        .size:           8
        .value_kind:     global_buffer
      - .address_space:  global
        .offset:         32
        .size:           8
        .value_kind:     global_buffer
      - .offset:         40
        .size:           4
        .value_kind:     by_value
      - .offset:         44
        .size:           4
        .value_kind:     by_value
      - .offset:         48
        .size:           4
        .value_kind:     by_value
      - .address_space:  global
        .offset:         56
        .size:           8
        .value_kind:     global_buffer
      - .offset:         64
        .size:           8
        .value_kind:     by_value
      - .offset:         72
        .size:           4
        .value_kind:     hidden_block_count_x
      - .offset:         76
        .size:           4
        .value_kind:     hidden_block_count_y
      - .offset:         80
        .size:           4
        .value_kind:     hidden_block_count_z
      - .offset:         84
        .size:           2
        .value_kind:     hidden_group_size_x
      - .offset:         86
        .size:           2
        .value_kind:     hidden_group_size_y
      - .offset:         88
        .size:           2
        .value_kind:     hidden_group_size_z
      - .offset:         90
        .size:           2
        .value_kind:     hidden_remainder_x
      - .offset:         92
        .size:           2
        .value_kind:     hidden_remainder_y
      - .offset:         94
        .size:           2
        .value_kind:     hidden_remainder_z
      - .offset:         112
        .size:           8
        .value_kind:     hidden_global_offset_x
      - .offset:         120
        .size:           8
        .value_kind:     hidden_global_offset_y
      - .offset:         128
        .size:           8
        .value_kind:     hidden_global_offset_z
      - .offset:         136
        .size:           2
        .value_kind:     hidden_grid_dims
    .group_segment_fixed_size: 4228
    .kernarg_segment_align: 8
    .kernarg_segment_size: 328
    .language:       OpenCL C
    .language_version:
      - 2
      - 0
    .max_flat_workgroup_size: 1024
    .name:           _ZN4vllm31rms_norm_per_block_quant_kernelIN3c108BFloat16ENS1_15Float8_e4m3fnuzELb1ELb0ELi128EEEvPT0_PfPKT_S9_PKffiiPS7_l
    .private_segment_fixed_size: 0
    .sgpr_count:     43
    .sgpr_spill_count: 0
    .symbol:         _ZN4vllm31rms_norm_per_block_quant_kernelIN3c108BFloat16ENS1_15Float8_e4m3fnuzELb1ELb0ELi128EEEvPT0_PfPKT_S9_PKffiiPS7_l.kd
    .uniform_work_group_size: 1
    .uses_dynamic_stack: false
    .vgpr_count:     54
    .vgpr_spill_count: 0
    .wavefront_size: 32
    .workgroup_processor_mode: 1
  - .args:
      - .actual_access:  write_only
        .address_space:  global
        .offset:         0
        .size:           8
        .value_kind:     global_buffer
      - .address_space:  global
        .offset:         8
        .size:           8
        .value_kind:     global_buffer
      - .actual_access:  read_only
        .address_space:  global
        .offset:         16
        .size:           8
        .value_kind:     global_buffer
      - .actual_access:  read_only
        .address_space:  global
        .offset:         24
        .size:           8
        .value_kind:     global_buffer
      - .address_space:  global
        .offset:         32
        .size:           8
        .value_kind:     global_buffer
      - .offset:         40
        .size:           4
        .value_kind:     by_value
      - .offset:         44
        .size:           4
        .value_kind:     by_value
      - .offset:         48
        .size:           4
        .value_kind:     by_value
      - .address_space:  global
        .offset:         56
        .size:           8
        .value_kind:     global_buffer
      - .offset:         64
        .size:           8
        .value_kind:     by_value
      - .offset:         72
        .size:           4
        .value_kind:     hidden_block_count_x
      - .offset:         76
        .size:           4
        .value_kind:     hidden_block_count_y
      - .offset:         80
        .size:           4
        .value_kind:     hidden_block_count_z
      - .offset:         84
        .size:           2
        .value_kind:     hidden_group_size_x
      - .offset:         86
        .size:           2
        .value_kind:     hidden_group_size_y
      - .offset:         88
        .size:           2
        .value_kind:     hidden_group_size_z
      - .offset:         90
        .size:           2
        .value_kind:     hidden_remainder_x
      - .offset:         92
        .size:           2
        .value_kind:     hidden_remainder_y
      - .offset:         94
        .size:           2
        .value_kind:     hidden_remainder_z
      - .offset:         112
        .size:           8
        .value_kind:     hidden_global_offset_x
      - .offset:         120
        .size:           8
        .value_kind:     hidden_global_offset_y
      - .offset:         128
        .size:           8
        .value_kind:     hidden_global_offset_z
      - .offset:         136
        .size:           2
        .value_kind:     hidden_grid_dims
    .group_segment_fixed_size: 4228
    .kernarg_segment_align: 8
    .kernarg_segment_size: 328
    .language:       OpenCL C
    .language_version:
      - 2
      - 0
    .max_flat_workgroup_size: 1024
    .name:           _ZN4vllm31rms_norm_per_block_quant_kernelIN3c108BFloat16EaLb1ELb0ELi128EEEvPT0_PfPKT_S8_PKffiiPS6_l
    .private_segment_fixed_size: 0
    .sgpr_count:     43
    .sgpr_spill_count: 0
    .symbol:         _ZN4vllm31rms_norm_per_block_quant_kernelIN3c108BFloat16EaLb1ELb0ELi128EEEvPT0_PfPKT_S8_PKffiiPS6_l.kd
    .uniform_work_group_size: 1
    .uses_dynamic_stack: false
    .vgpr_count:     54
    .vgpr_spill_count: 0
    .wavefront_size: 32
    .workgroup_processor_mode: 1
  - .args:
      - .actual_access:  write_only
        .address_space:  global
        .offset:         0
        .size:           8
        .value_kind:     global_buffer
      - .address_space:  global
        .offset:         8
        .size:           8
        .value_kind:     global_buffer
      - .actual_access:  read_only
        .address_space:  global
        .offset:         16
        .size:           8
        .value_kind:     global_buffer
      - .actual_access:  read_only
        .address_space:  global
        .offset:         24
        .size:           8
        .value_kind:     global_buffer
      - .address_space:  global
        .offset:         32
        .size:           8
        .value_kind:     global_buffer
      - .offset:         40
        .size:           4
        .value_kind:     by_value
      - .offset:         44
        .size:           4
        .value_kind:     by_value
      - .offset:         48
        .size:           4
        .value_kind:     by_value
      - .actual_access:  read_only
        .address_space:  global
        .offset:         56
        .size:           8
        .value_kind:     global_buffer
      - .offset:         64
        .size:           8
        .value_kind:     by_value
      - .offset:         72
        .size:           4
        .value_kind:     hidden_block_count_x
      - .offset:         76
        .size:           4
        .value_kind:     hidden_block_count_y
      - .offset:         80
        .size:           4
        .value_kind:     hidden_block_count_z
      - .offset:         84
        .size:           2
        .value_kind:     hidden_group_size_x
      - .offset:         86
        .size:           2
        .value_kind:     hidden_group_size_y
      - .offset:         88
        .size:           2
        .value_kind:     hidden_group_size_z
      - .offset:         90
        .size:           2
        .value_kind:     hidden_remainder_x
      - .offset:         92
        .size:           2
        .value_kind:     hidden_remainder_y
      - .offset:         94
        .size:           2
        .value_kind:     hidden_remainder_z
      - .offset:         112
        .size:           8
        .value_kind:     hidden_global_offset_x
      - .offset:         120
        .size:           8
        .value_kind:     hidden_global_offset_y
      - .offset:         128
        .size:           8
        .value_kind:     hidden_global_offset_z
      - .offset:         136
        .size:           2
        .value_kind:     hidden_grid_dims
    .group_segment_fixed_size: 4228
    .kernarg_segment_align: 8
    .kernarg_segment_size: 328
    .language:       OpenCL C
    .language_version:
      - 2
      - 0
    .max_flat_workgroup_size: 1024
    .name:           _ZN4vllm31rms_norm_per_block_quant_kernelIN3c108BFloat16ENS1_13Float8_e4m3fnELb0ELb1ELi128EEEvPT0_PfPKT_S9_PKffiiPS7_l
    .private_segment_fixed_size: 0
    .sgpr_count:     38
    .sgpr_spill_count: 0
    .symbol:         _ZN4vllm31rms_norm_per_block_quant_kernelIN3c108BFloat16ENS1_13Float8_e4m3fnELb0ELb1ELi128EEEvPT0_PfPKT_S9_PKffiiPS7_l.kd
    .uniform_work_group_size: 1
    .uses_dynamic_stack: false
    .vgpr_count:     46
    .vgpr_spill_count: 0
    .wavefront_size: 32
    .workgroup_processor_mode: 1
  - .args:
      - .actual_access:  write_only
        .address_space:  global
        .offset:         0
        .size:           8
        .value_kind:     global_buffer
      - .address_space:  global
        .offset:         8
        .size:           8
        .value_kind:     global_buffer
      - .actual_access:  read_only
        .address_space:  global
        .offset:         16
        .size:           8
        .value_kind:     global_buffer
      - .actual_access:  read_only
        .address_space:  global
        .offset:         24
        .size:           8
        .value_kind:     global_buffer
      - .address_space:  global
        .offset:         32
        .size:           8
        .value_kind:     global_buffer
      - .offset:         40
        .size:           4
        .value_kind:     by_value
      - .offset:         44
        .size:           4
        .value_kind:     by_value
      - .offset:         48
        .size:           4
        .value_kind:     by_value
      - .actual_access:  read_only
        .address_space:  global
        .offset:         56
        .size:           8
        .value_kind:     global_buffer
      - .offset:         64
        .size:           8
        .value_kind:     by_value
      - .offset:         72
        .size:           4
        .value_kind:     hidden_block_count_x
      - .offset:         76
        .size:           4
        .value_kind:     hidden_block_count_y
      - .offset:         80
        .size:           4
        .value_kind:     hidden_block_count_z
      - .offset:         84
        .size:           2
        .value_kind:     hidden_group_size_x
      - .offset:         86
        .size:           2
        .value_kind:     hidden_group_size_y
      - .offset:         88
        .size:           2
        .value_kind:     hidden_group_size_z
      - .offset:         90
        .size:           2
        .value_kind:     hidden_remainder_x
      - .offset:         92
        .size:           2
        .value_kind:     hidden_remainder_y
      - .offset:         94
        .size:           2
        .value_kind:     hidden_remainder_z
      - .offset:         112
        .size:           8
        .value_kind:     hidden_global_offset_x
      - .offset:         120
        .size:           8
        .value_kind:     hidden_global_offset_y
      - .offset:         128
        .size:           8
        .value_kind:     hidden_global_offset_z
      - .offset:         136
        .size:           2
        .value_kind:     hidden_grid_dims
    .group_segment_fixed_size: 4228
    .kernarg_segment_align: 8
    .kernarg_segment_size: 328
    .language:       OpenCL C
    .language_version:
      - 2
      - 0
    .max_flat_workgroup_size: 1024
    .name:           _ZN4vllm31rms_norm_per_block_quant_kernelIN3c108BFloat16ENS1_15Float8_e4m3fnuzELb0ELb1ELi128EEEvPT0_PfPKT_S9_PKffiiPS7_l
    .private_segment_fixed_size: 0
    .sgpr_count:     38
    .sgpr_spill_count: 0
    .symbol:         _ZN4vllm31rms_norm_per_block_quant_kernelIN3c108BFloat16ENS1_15Float8_e4m3fnuzELb0ELb1ELi128EEEvPT0_PfPKT_S9_PKffiiPS7_l.kd
    .uniform_work_group_size: 1
    .uses_dynamic_stack: false
    .vgpr_count:     46
    .vgpr_spill_count: 0
    .wavefront_size: 32
    .workgroup_processor_mode: 1
  - .args:
      - .actual_access:  write_only
        .address_space:  global
        .offset:         0
        .size:           8
        .value_kind:     global_buffer
      - .address_space:  global
        .offset:         8
        .size:           8
        .value_kind:     global_buffer
      - .actual_access:  read_only
        .address_space:  global
        .offset:         16
        .size:           8
        .value_kind:     global_buffer
      - .actual_access:  read_only
        .address_space:  global
        .offset:         24
        .size:           8
        .value_kind:     global_buffer
      - .address_space:  global
        .offset:         32
        .size:           8
        .value_kind:     global_buffer
      - .offset:         40
        .size:           4
        .value_kind:     by_value
      - .offset:         44
        .size:           4
        .value_kind:     by_value
      - .offset:         48
        .size:           4
        .value_kind:     by_value
      - .actual_access:  read_only
        .address_space:  global
        .offset:         56
        .size:           8
        .value_kind:     global_buffer
      - .offset:         64
        .size:           8
        .value_kind:     by_value
      - .offset:         72
        .size:           4
        .value_kind:     hidden_block_count_x
      - .offset:         76
        .size:           4
        .value_kind:     hidden_block_count_y
      - .offset:         80
        .size:           4
        .value_kind:     hidden_block_count_z
      - .offset:         84
        .size:           2
        .value_kind:     hidden_group_size_x
      - .offset:         86
        .size:           2
        .value_kind:     hidden_group_size_y
      - .offset:         88
        .size:           2
        .value_kind:     hidden_group_size_z
      - .offset:         90
        .size:           2
        .value_kind:     hidden_remainder_x
      - .offset:         92
        .size:           2
        .value_kind:     hidden_remainder_y
      - .offset:         94
        .size:           2
        .value_kind:     hidden_remainder_z
      - .offset:         112
        .size:           8
        .value_kind:     hidden_global_offset_x
      - .offset:         120
        .size:           8
        .value_kind:     hidden_global_offset_y
      - .offset:         128
        .size:           8
        .value_kind:     hidden_global_offset_z
      - .offset:         136
        .size:           2
        .value_kind:     hidden_grid_dims
    .group_segment_fixed_size: 4228
    .kernarg_segment_align: 8
    .kernarg_segment_size: 328
    .language:       OpenCL C
    .language_version:
      - 2
      - 0
    .max_flat_workgroup_size: 1024
    .name:           _ZN4vllm31rms_norm_per_block_quant_kernelIN3c108BFloat16EaLb0ELb1ELi128EEEvPT0_PfPKT_S8_PKffiiPS6_l
    .private_segment_fixed_size: 0
    .sgpr_count:     38
    .sgpr_spill_count: 0
    .symbol:         _ZN4vllm31rms_norm_per_block_quant_kernelIN3c108BFloat16EaLb0ELb1ELi128EEEvPT0_PfPKT_S8_PKffiiPS6_l.kd
    .uniform_work_group_size: 1
    .uses_dynamic_stack: false
    .vgpr_count:     46
    .vgpr_spill_count: 0
    .wavefront_size: 32
    .workgroup_processor_mode: 1
  - .args:
      - .actual_access:  write_only
        .address_space:  global
        .offset:         0
        .size:           8
        .value_kind:     global_buffer
      - .address_space:  global
        .offset:         8
        .size:           8
        .value_kind:     global_buffer
      - .actual_access:  read_only
        .address_space:  global
        .offset:         16
        .size:           8
        .value_kind:     global_buffer
      - .actual_access:  read_only
        .address_space:  global
        .offset:         24
        .size:           8
        .value_kind:     global_buffer
      - .address_space:  global
        .offset:         32
        .size:           8
        .value_kind:     global_buffer
      - .offset:         40
        .size:           4
        .value_kind:     by_value
      - .offset:         44
        .size:           4
        .value_kind:     by_value
      - .offset:         48
        .size:           4
        .value_kind:     by_value
      - .actual_access:  read_only
        .address_space:  global
        .offset:         56
        .size:           8
        .value_kind:     global_buffer
      - .offset:         64
        .size:           8
        .value_kind:     by_value
      - .offset:         72
        .size:           4
        .value_kind:     hidden_block_count_x
      - .offset:         76
        .size:           4
        .value_kind:     hidden_block_count_y
      - .offset:         80
        .size:           4
        .value_kind:     hidden_block_count_z
      - .offset:         84
        .size:           2
        .value_kind:     hidden_group_size_x
      - .offset:         86
        .size:           2
        .value_kind:     hidden_group_size_y
      - .offset:         88
        .size:           2
        .value_kind:     hidden_group_size_z
      - .offset:         90
        .size:           2
        .value_kind:     hidden_remainder_x
      - .offset:         92
        .size:           2
        .value_kind:     hidden_remainder_y
      - .offset:         94
        .size:           2
        .value_kind:     hidden_remainder_z
      - .offset:         112
        .size:           8
        .value_kind:     hidden_global_offset_x
      - .offset:         120
        .size:           8
        .value_kind:     hidden_global_offset_y
      - .offset:         128
        .size:           8
        .value_kind:     hidden_global_offset_z
      - .offset:         136
        .size:           2
        .value_kind:     hidden_grid_dims
    .group_segment_fixed_size: 4228
    .kernarg_segment_align: 8
    .kernarg_segment_size: 328
    .language:       OpenCL C
    .language_version:
      - 2
      - 0
    .max_flat_workgroup_size: 1024
    .name:           _ZN4vllm31rms_norm_per_block_quant_kernelIN3c108BFloat16ENS1_13Float8_e4m3fnELb0ELb0ELi128EEEvPT0_PfPKT_S9_PKffiiPS7_l
    .private_segment_fixed_size: 0
    .sgpr_count:     36
    .sgpr_spill_count: 0
    .symbol:         _ZN4vllm31rms_norm_per_block_quant_kernelIN3c108BFloat16ENS1_13Float8_e4m3fnELb0ELb0ELi128EEEvPT0_PfPKT_S9_PKffiiPS7_l.kd
    .uniform_work_group_size: 1
    .uses_dynamic_stack: false
    .vgpr_count:     46
    .vgpr_spill_count: 0
    .wavefront_size: 32
    .workgroup_processor_mode: 1
  - .args:
      - .actual_access:  write_only
        .address_space:  global
        .offset:         0
        .size:           8
        .value_kind:     global_buffer
      - .address_space:  global
        .offset:         8
        .size:           8
        .value_kind:     global_buffer
      - .actual_access:  read_only
        .address_space:  global
        .offset:         16
        .size:           8
        .value_kind:     global_buffer
      - .actual_access:  read_only
        .address_space:  global
        .offset:         24
        .size:           8
        .value_kind:     global_buffer
      - .address_space:  global
        .offset:         32
        .size:           8
        .value_kind:     global_buffer
      - .offset:         40
        .size:           4
        .value_kind:     by_value
      - .offset:         44
        .size:           4
        .value_kind:     by_value
      - .offset:         48
        .size:           4
        .value_kind:     by_value
      - .actual_access:  read_only
        .address_space:  global
        .offset:         56
        .size:           8
        .value_kind:     global_buffer
      - .offset:         64
        .size:           8
        .value_kind:     by_value
      - .offset:         72
        .size:           4
        .value_kind:     hidden_block_count_x
      - .offset:         76
        .size:           4
        .value_kind:     hidden_block_count_y
      - .offset:         80
        .size:           4
        .value_kind:     hidden_block_count_z
      - .offset:         84
        .size:           2
        .value_kind:     hidden_group_size_x
      - .offset:         86
        .size:           2
        .value_kind:     hidden_group_size_y
      - .offset:         88
        .size:           2
        .value_kind:     hidden_group_size_z
      - .offset:         90
        .size:           2
        .value_kind:     hidden_remainder_x
      - .offset:         92
        .size:           2
        .value_kind:     hidden_remainder_y
      - .offset:         94
        .size:           2
        .value_kind:     hidden_remainder_z
      - .offset:         112
        .size:           8
        .value_kind:     hidden_global_offset_x
      - .offset:         120
        .size:           8
        .value_kind:     hidden_global_offset_y
      - .offset:         128
        .size:           8
        .value_kind:     hidden_global_offset_z
      - .offset:         136
        .size:           2
        .value_kind:     hidden_grid_dims
    .group_segment_fixed_size: 4228
    .kernarg_segment_align: 8
    .kernarg_segment_size: 328
    .language:       OpenCL C
    .language_version:
      - 2
      - 0
    .max_flat_workgroup_size: 1024
    .name:           _ZN4vllm31rms_norm_per_block_quant_kernelIN3c108BFloat16ENS1_15Float8_e4m3fnuzELb0ELb0ELi128EEEvPT0_PfPKT_S9_PKffiiPS7_l
    .private_segment_fixed_size: 0
    .sgpr_count:     36
    .sgpr_spill_count: 0
    .symbol:         _ZN4vllm31rms_norm_per_block_quant_kernelIN3c108BFloat16ENS1_15Float8_e4m3fnuzELb0ELb0ELi128EEEvPT0_PfPKT_S9_PKffiiPS7_l.kd
    .uniform_work_group_size: 1
    .uses_dynamic_stack: false
    .vgpr_count:     46
    .vgpr_spill_count: 0
    .wavefront_size: 32
    .workgroup_processor_mode: 1
  - .args:
      - .actual_access:  write_only
        .address_space:  global
        .offset:         0
        .size:           8
        .value_kind:     global_buffer
      - .address_space:  global
        .offset:         8
        .size:           8
        .value_kind:     global_buffer
      - .actual_access:  read_only
        .address_space:  global
        .offset:         16
        .size:           8
        .value_kind:     global_buffer
      - .actual_access:  read_only
        .address_space:  global
        .offset:         24
        .size:           8
        .value_kind:     global_buffer
      - .address_space:  global
        .offset:         32
        .size:           8
        .value_kind:     global_buffer
      - .offset:         40
        .size:           4
        .value_kind:     by_value
      - .offset:         44
        .size:           4
        .value_kind:     by_value
      - .offset:         48
        .size:           4
        .value_kind:     by_value
      - .actual_access:  read_only
        .address_space:  global
        .offset:         56
        .size:           8
        .value_kind:     global_buffer
      - .offset:         64
        .size:           8
        .value_kind:     by_value
      - .offset:         72
        .size:           4
        .value_kind:     hidden_block_count_x
      - .offset:         76
        .size:           4
        .value_kind:     hidden_block_count_y
      - .offset:         80
        .size:           4
        .value_kind:     hidden_block_count_z
      - .offset:         84
        .size:           2
        .value_kind:     hidden_group_size_x
      - .offset:         86
        .size:           2
        .value_kind:     hidden_group_size_y
      - .offset:         88
        .size:           2
        .value_kind:     hidden_group_size_z
      - .offset:         90
        .size:           2
        .value_kind:     hidden_remainder_x
      - .offset:         92
        .size:           2
        .value_kind:     hidden_remainder_y
      - .offset:         94
        .size:           2
        .value_kind:     hidden_remainder_z
      - .offset:         112
        .size:           8
        .value_kind:     hidden_global_offset_x
      - .offset:         120
        .size:           8
        .value_kind:     hidden_global_offset_y
      - .offset:         128
        .size:           8
        .value_kind:     hidden_global_offset_z
      - .offset:         136
        .size:           2
        .value_kind:     hidden_grid_dims
    .group_segment_fixed_size: 4228
    .kernarg_segment_align: 8
    .kernarg_segment_size: 328
    .language:       OpenCL C
    .language_version:
      - 2
      - 0
    .max_flat_workgroup_size: 1024
    .name:           _ZN4vllm31rms_norm_per_block_quant_kernelIN3c108BFloat16EaLb0ELb0ELi128EEEvPT0_PfPKT_S8_PKffiiPS6_l
    .private_segment_fixed_size: 0
    .sgpr_count:     36
    .sgpr_spill_count: 0
    .symbol:         _ZN4vllm31rms_norm_per_block_quant_kernelIN3c108BFloat16EaLb0ELb0ELi128EEEvPT0_PfPKT_S8_PKffiiPS6_l.kd
    .uniform_work_group_size: 1
    .uses_dynamic_stack: false
    .vgpr_count:     46
    .vgpr_spill_count: 0
    .wavefront_size: 32
    .workgroup_processor_mode: 1
  - .args:
      - .actual_access:  write_only
        .address_space:  global
        .offset:         0
        .size:           8
        .value_kind:     global_buffer
      - .address_space:  global
        .offset:         8
        .size:           8
        .value_kind:     global_buffer
      - .actual_access:  read_only
        .address_space:  global
        .offset:         16
        .size:           8
        .value_kind:     global_buffer
      - .actual_access:  read_only
        .address_space:  global
        .offset:         24
        .size:           8
        .value_kind:     global_buffer
      - .address_space:  global
        .offset:         32
        .size:           8
        .value_kind:     global_buffer
      - .offset:         40
        .size:           4
        .value_kind:     by_value
      - .offset:         44
        .size:           4
        .value_kind:     by_value
      - .offset:         48
        .size:           4
        .value_kind:     by_value
      - .address_space:  global
        .offset:         56
        .size:           8
        .value_kind:     global_buffer
      - .offset:         64
        .size:           8
        .value_kind:     by_value
      - .offset:         72
        .size:           4
        .value_kind:     hidden_block_count_x
      - .offset:         76
        .size:           4
        .value_kind:     hidden_block_count_y
      - .offset:         80
        .size:           4
        .value_kind:     hidden_block_count_z
      - .offset:         84
        .size:           2
        .value_kind:     hidden_group_size_x
      - .offset:         86
        .size:           2
        .value_kind:     hidden_group_size_y
      - .offset:         88
        .size:           2
        .value_kind:     hidden_group_size_z
      - .offset:         90
        .size:           2
        .value_kind:     hidden_remainder_x
      - .offset:         92
        .size:           2
        .value_kind:     hidden_remainder_y
      - .offset:         94
        .size:           2
        .value_kind:     hidden_remainder_z
      - .offset:         112
        .size:           8
        .value_kind:     hidden_global_offset_x
      - .offset:         120
        .size:           8
        .value_kind:     hidden_global_offset_y
      - .offset:         128
        .size:           8
        .value_kind:     hidden_global_offset_z
      - .offset:         136
        .size:           2
        .value_kind:     hidden_grid_dims
    .group_segment_fixed_size: 4228
    .kernarg_segment_align: 8
    .kernarg_segment_size: 328
    .language:       OpenCL C
    .language_version:
      - 2
      - 0
    .max_flat_workgroup_size: 1024
    .name:           _ZN4vllm31rms_norm_per_block_quant_kernelIN3c108BFloat16ENS1_13Float8_e4m3fnELb1ELb1ELi64EEEvPT0_PfPKT_S9_PKffiiPS7_l
    .private_segment_fixed_size: 0
    .sgpr_count:     45
    .sgpr_spill_count: 0
    .symbol:         _ZN4vllm31rms_norm_per_block_quant_kernelIN3c108BFloat16ENS1_13Float8_e4m3fnELb1ELb1ELi64EEEvPT0_PfPKT_S9_PKffiiPS7_l.kd
    .uniform_work_group_size: 1
    .uses_dynamic_stack: false
    .vgpr_count:     54
    .vgpr_spill_count: 0
    .wavefront_size: 32
    .workgroup_processor_mode: 1
  - .args:
      - .actual_access:  write_only
        .address_space:  global
        .offset:         0
        .size:           8
        .value_kind:     global_buffer
      - .address_space:  global
        .offset:         8
        .size:           8
        .value_kind:     global_buffer
      - .actual_access:  read_only
        .address_space:  global
        .offset:         16
        .size:           8
        .value_kind:     global_buffer
      - .actual_access:  read_only
        .address_space:  global
        .offset:         24
        .size:           8
        .value_kind:     global_buffer
      - .address_space:  global
        .offset:         32
        .size:           8
        .value_kind:     global_buffer
      - .offset:         40
        .size:           4
        .value_kind:     by_value
      - .offset:         44
        .size:           4
        .value_kind:     by_value
      - .offset:         48
        .size:           4
        .value_kind:     by_value
      - .address_space:  global
        .offset:         56
        .size:           8
        .value_kind:     global_buffer
      - .offset:         64
        .size:           8
        .value_kind:     by_value
      - .offset:         72
        .size:           4
        .value_kind:     hidden_block_count_x
      - .offset:         76
        .size:           4
        .value_kind:     hidden_block_count_y
      - .offset:         80
        .size:           4
        .value_kind:     hidden_block_count_z
      - .offset:         84
        .size:           2
        .value_kind:     hidden_group_size_x
      - .offset:         86
        .size:           2
        .value_kind:     hidden_group_size_y
      - .offset:         88
        .size:           2
        .value_kind:     hidden_group_size_z
      - .offset:         90
        .size:           2
        .value_kind:     hidden_remainder_x
      - .offset:         92
        .size:           2
        .value_kind:     hidden_remainder_y
      - .offset:         94
        .size:           2
        .value_kind:     hidden_remainder_z
      - .offset:         112
        .size:           8
        .value_kind:     hidden_global_offset_x
      - .offset:         120
        .size:           8
        .value_kind:     hidden_global_offset_y
      - .offset:         128
        .size:           8
        .value_kind:     hidden_global_offset_z
      - .offset:         136
        .size:           2
        .value_kind:     hidden_grid_dims
    .group_segment_fixed_size: 4228
    .kernarg_segment_align: 8
    .kernarg_segment_size: 328
    .language:       OpenCL C
    .language_version:
      - 2
      - 0
    .max_flat_workgroup_size: 1024
    .name:           _ZN4vllm31rms_norm_per_block_quant_kernelIN3c108BFloat16ENS1_15Float8_e4m3fnuzELb1ELb1ELi64EEEvPT0_PfPKT_S9_PKffiiPS7_l
    .private_segment_fixed_size: 0
    .sgpr_count:     45
    .sgpr_spill_count: 0
    .symbol:         _ZN4vllm31rms_norm_per_block_quant_kernelIN3c108BFloat16ENS1_15Float8_e4m3fnuzELb1ELb1ELi64EEEvPT0_PfPKT_S9_PKffiiPS7_l.kd
    .uniform_work_group_size: 1
    .uses_dynamic_stack: false
    .vgpr_count:     54
    .vgpr_spill_count: 0
    .wavefront_size: 32
    .workgroup_processor_mode: 1
  - .args:
      - .actual_access:  write_only
        .address_space:  global
        .offset:         0
        .size:           8
        .value_kind:     global_buffer
      - .address_space:  global
        .offset:         8
        .size:           8
        .value_kind:     global_buffer
      - .actual_access:  read_only
        .address_space:  global
        .offset:         16
        .size:           8
        .value_kind:     global_buffer
      - .actual_access:  read_only
        .address_space:  global
        .offset:         24
        .size:           8
        .value_kind:     global_buffer
      - .address_space:  global
        .offset:         32
        .size:           8
        .value_kind:     global_buffer
      - .offset:         40
        .size:           4
        .value_kind:     by_value
      - .offset:         44
        .size:           4
        .value_kind:     by_value
      - .offset:         48
        .size:           4
        .value_kind:     by_value
      - .address_space:  global
        .offset:         56
        .size:           8
        .value_kind:     global_buffer
      - .offset:         64
        .size:           8
        .value_kind:     by_value
      - .offset:         72
        .size:           4
        .value_kind:     hidden_block_count_x
      - .offset:         76
        .size:           4
        .value_kind:     hidden_block_count_y
      - .offset:         80
        .size:           4
        .value_kind:     hidden_block_count_z
      - .offset:         84
        .size:           2
        .value_kind:     hidden_group_size_x
      - .offset:         86
        .size:           2
        .value_kind:     hidden_group_size_y
      - .offset:         88
        .size:           2
        .value_kind:     hidden_group_size_z
      - .offset:         90
        .size:           2
        .value_kind:     hidden_remainder_x
      - .offset:         92
        .size:           2
        .value_kind:     hidden_remainder_y
      - .offset:         94
        .size:           2
        .value_kind:     hidden_remainder_z
      - .offset:         112
        .size:           8
        .value_kind:     hidden_global_offset_x
      - .offset:         120
        .size:           8
        .value_kind:     hidden_global_offset_y
      - .offset:         128
        .size:           8
        .value_kind:     hidden_global_offset_z
      - .offset:         136
        .size:           2
        .value_kind:     hidden_grid_dims
    .group_segment_fixed_size: 4228
    .kernarg_segment_align: 8
    .kernarg_segment_size: 328
    .language:       OpenCL C
    .language_version:
      - 2
      - 0
    .max_flat_workgroup_size: 1024
    .name:           _ZN4vllm31rms_norm_per_block_quant_kernelIN3c108BFloat16EaLb1ELb1ELi64EEEvPT0_PfPKT_S8_PKffiiPS6_l
    .private_segment_fixed_size: 0
    .sgpr_count:     45
    .sgpr_spill_count: 0
    .symbol:         _ZN4vllm31rms_norm_per_block_quant_kernelIN3c108BFloat16EaLb1ELb1ELi64EEEvPT0_PfPKT_S8_PKffiiPS6_l.kd
    .uniform_work_group_size: 1
    .uses_dynamic_stack: false
    .vgpr_count:     54
    .vgpr_spill_count: 0
    .wavefront_size: 32
    .workgroup_processor_mode: 1
  - .args:
      - .actual_access:  write_only
        .address_space:  global
        .offset:         0
        .size:           8
        .value_kind:     global_buffer
      - .address_space:  global
        .offset:         8
        .size:           8
        .value_kind:     global_buffer
      - .actual_access:  read_only
        .address_space:  global
        .offset:         16
        .size:           8
        .value_kind:     global_buffer
      - .actual_access:  read_only
        .address_space:  global
        .offset:         24
        .size:           8
        .value_kind:     global_buffer
      - .address_space:  global
        .offset:         32
        .size:           8
        .value_kind:     global_buffer
      - .offset:         40
        .size:           4
        .value_kind:     by_value
      - .offset:         44
        .size:           4
        .value_kind:     by_value
      - .offset:         48
        .size:           4
        .value_kind:     by_value
      - .address_space:  global
        .offset:         56
        .size:           8
        .value_kind:     global_buffer
      - .offset:         64
        .size:           8
        .value_kind:     by_value
      - .offset:         72
        .size:           4
        .value_kind:     hidden_block_count_x
      - .offset:         76
        .size:           4
        .value_kind:     hidden_block_count_y
      - .offset:         80
        .size:           4
        .value_kind:     hidden_block_count_z
      - .offset:         84
        .size:           2
        .value_kind:     hidden_group_size_x
      - .offset:         86
        .size:           2
        .value_kind:     hidden_group_size_y
      - .offset:         88
        .size:           2
        .value_kind:     hidden_group_size_z
      - .offset:         90
        .size:           2
        .value_kind:     hidden_remainder_x
      - .offset:         92
        .size:           2
        .value_kind:     hidden_remainder_y
      - .offset:         94
        .size:           2
        .value_kind:     hidden_remainder_z
      - .offset:         112
        .size:           8
        .value_kind:     hidden_global_offset_x
      - .offset:         120
        .size:           8
        .value_kind:     hidden_global_offset_y
      - .offset:         128
        .size:           8
        .value_kind:     hidden_global_offset_z
      - .offset:         136
        .size:           2
        .value_kind:     hidden_grid_dims
    .group_segment_fixed_size: 4228
    .kernarg_segment_align: 8
    .kernarg_segment_size: 328
    .language:       OpenCL C
    .language_version:
      - 2
      - 0
    .max_flat_workgroup_size: 1024
    .name:           _ZN4vllm31rms_norm_per_block_quant_kernelIN3c108BFloat16ENS1_13Float8_e4m3fnELb1ELb0ELi64EEEvPT0_PfPKT_S9_PKffiiPS7_l
    .private_segment_fixed_size: 0
    .sgpr_count:     43
    .sgpr_spill_count: 0
    .symbol:         _ZN4vllm31rms_norm_per_block_quant_kernelIN3c108BFloat16ENS1_13Float8_e4m3fnELb1ELb0ELi64EEEvPT0_PfPKT_S9_PKffiiPS7_l.kd
    .uniform_work_group_size: 1
    .uses_dynamic_stack: false
    .vgpr_count:     54
    .vgpr_spill_count: 0
    .wavefront_size: 32
    .workgroup_processor_mode: 1
  - .args:
      - .actual_access:  write_only
        .address_space:  global
        .offset:         0
        .size:           8
        .value_kind:     global_buffer
      - .address_space:  global
        .offset:         8
        .size:           8
        .value_kind:     global_buffer
      - .actual_access:  read_only
        .address_space:  global
        .offset:         16
        .size:           8
        .value_kind:     global_buffer
      - .actual_access:  read_only
        .address_space:  global
        .offset:         24
        .size:           8
        .value_kind:     global_buffer
      - .address_space:  global
        .offset:         32
        .size:           8
        .value_kind:     global_buffer
      - .offset:         40
        .size:           4
        .value_kind:     by_value
      - .offset:         44
        .size:           4
        .value_kind:     by_value
      - .offset:         48
        .size:           4
        .value_kind:     by_value
      - .address_space:  global
        .offset:         56
        .size:           8
        .value_kind:     global_buffer
      - .offset:         64
        .size:           8
        .value_kind:     by_value
      - .offset:         72
        .size:           4
        .value_kind:     hidden_block_count_x
      - .offset:         76
        .size:           4
        .value_kind:     hidden_block_count_y
      - .offset:         80
        .size:           4
        .value_kind:     hidden_block_count_z
      - .offset:         84
        .size:           2
        .value_kind:     hidden_group_size_x
      - .offset:         86
        .size:           2
        .value_kind:     hidden_group_size_y
      - .offset:         88
        .size:           2
        .value_kind:     hidden_group_size_z
      - .offset:         90
        .size:           2
        .value_kind:     hidden_remainder_x
      - .offset:         92
        .size:           2
        .value_kind:     hidden_remainder_y
      - .offset:         94
        .size:           2
        .value_kind:     hidden_remainder_z
      - .offset:         112
        .size:           8
        .value_kind:     hidden_global_offset_x
      - .offset:         120
        .size:           8
        .value_kind:     hidden_global_offset_y
      - .offset:         128
        .size:           8
        .value_kind:     hidden_global_offset_z
      - .offset:         136
        .size:           2
        .value_kind:     hidden_grid_dims
    .group_segment_fixed_size: 4228
    .kernarg_segment_align: 8
    .kernarg_segment_size: 328
    .language:       OpenCL C
    .language_version:
      - 2
      - 0
    .max_flat_workgroup_size: 1024
    .name:           _ZN4vllm31rms_norm_per_block_quant_kernelIN3c108BFloat16ENS1_15Float8_e4m3fnuzELb1ELb0ELi64EEEvPT0_PfPKT_S9_PKffiiPS7_l
    .private_segment_fixed_size: 0
    .sgpr_count:     43
    .sgpr_spill_count: 0
    .symbol:         _ZN4vllm31rms_norm_per_block_quant_kernelIN3c108BFloat16ENS1_15Float8_e4m3fnuzELb1ELb0ELi64EEEvPT0_PfPKT_S9_PKffiiPS7_l.kd
    .uniform_work_group_size: 1
    .uses_dynamic_stack: false
    .vgpr_count:     54
    .vgpr_spill_count: 0
    .wavefront_size: 32
    .workgroup_processor_mode: 1
  - .args:
      - .actual_access:  write_only
        .address_space:  global
        .offset:         0
        .size:           8
        .value_kind:     global_buffer
      - .address_space:  global
        .offset:         8
        .size:           8
        .value_kind:     global_buffer
      - .actual_access:  read_only
        .address_space:  global
        .offset:         16
        .size:           8
        .value_kind:     global_buffer
      - .actual_access:  read_only
        .address_space:  global
        .offset:         24
        .size:           8
        .value_kind:     global_buffer
      - .address_space:  global
        .offset:         32
        .size:           8
        .value_kind:     global_buffer
      - .offset:         40
        .size:           4
        .value_kind:     by_value
      - .offset:         44
        .size:           4
        .value_kind:     by_value
      - .offset:         48
        .size:           4
        .value_kind:     by_value
      - .address_space:  global
        .offset:         56
        .size:           8
        .value_kind:     global_buffer
      - .offset:         64
        .size:           8
        .value_kind:     by_value
      - .offset:         72
        .size:           4
        .value_kind:     hidden_block_count_x
      - .offset:         76
        .size:           4
        .value_kind:     hidden_block_count_y
      - .offset:         80
        .size:           4
        .value_kind:     hidden_block_count_z
      - .offset:         84
        .size:           2
        .value_kind:     hidden_group_size_x
      - .offset:         86
        .size:           2
        .value_kind:     hidden_group_size_y
      - .offset:         88
        .size:           2
        .value_kind:     hidden_group_size_z
      - .offset:         90
        .size:           2
        .value_kind:     hidden_remainder_x
      - .offset:         92
        .size:           2
        .value_kind:     hidden_remainder_y
      - .offset:         94
        .size:           2
        .value_kind:     hidden_remainder_z
      - .offset:         112
        .size:           8
        .value_kind:     hidden_global_offset_x
      - .offset:         120
        .size:           8
        .value_kind:     hidden_global_offset_y
      - .offset:         128
        .size:           8
        .value_kind:     hidden_global_offset_z
      - .offset:         136
        .size:           2
        .value_kind:     hidden_grid_dims
    .group_segment_fixed_size: 4228
    .kernarg_segment_align: 8
    .kernarg_segment_size: 328
    .language:       OpenCL C
    .language_version:
      - 2
      - 0
    .max_flat_workgroup_size: 1024
    .name:           _ZN4vllm31rms_norm_per_block_quant_kernelIN3c108BFloat16EaLb1ELb0ELi64EEEvPT0_PfPKT_S8_PKffiiPS6_l
    .private_segment_fixed_size: 0
    .sgpr_count:     43
    .sgpr_spill_count: 0
    .symbol:         _ZN4vllm31rms_norm_per_block_quant_kernelIN3c108BFloat16EaLb1ELb0ELi64EEEvPT0_PfPKT_S8_PKffiiPS6_l.kd
    .uniform_work_group_size: 1
    .uses_dynamic_stack: false
    .vgpr_count:     54
    .vgpr_spill_count: 0
    .wavefront_size: 32
    .workgroup_processor_mode: 1
  - .args:
      - .actual_access:  write_only
        .address_space:  global
        .offset:         0
        .size:           8
        .value_kind:     global_buffer
      - .address_space:  global
        .offset:         8
        .size:           8
        .value_kind:     global_buffer
      - .actual_access:  read_only
        .address_space:  global
        .offset:         16
        .size:           8
        .value_kind:     global_buffer
      - .actual_access:  read_only
        .address_space:  global
        .offset:         24
        .size:           8
        .value_kind:     global_buffer
      - .address_space:  global
        .offset:         32
        .size:           8
        .value_kind:     global_buffer
      - .offset:         40
        .size:           4
        .value_kind:     by_value
      - .offset:         44
        .size:           4
        .value_kind:     by_value
      - .offset:         48
        .size:           4
        .value_kind:     by_value
      - .actual_access:  read_only
        .address_space:  global
        .offset:         56
        .size:           8
        .value_kind:     global_buffer
      - .offset:         64
        .size:           8
        .value_kind:     by_value
      - .offset:         72
        .size:           4
        .value_kind:     hidden_block_count_x
      - .offset:         76
        .size:           4
        .value_kind:     hidden_block_count_y
      - .offset:         80
        .size:           4
        .value_kind:     hidden_block_count_z
      - .offset:         84
        .size:           2
        .value_kind:     hidden_group_size_x
      - .offset:         86
        .size:           2
        .value_kind:     hidden_group_size_y
      - .offset:         88
        .size:           2
        .value_kind:     hidden_group_size_z
      - .offset:         90
        .size:           2
        .value_kind:     hidden_remainder_x
      - .offset:         92
        .size:           2
        .value_kind:     hidden_remainder_y
      - .offset:         94
        .size:           2
        .value_kind:     hidden_remainder_z
      - .offset:         112
        .size:           8
        .value_kind:     hidden_global_offset_x
      - .offset:         120
        .size:           8
        .value_kind:     hidden_global_offset_y
      - .offset:         128
        .size:           8
        .value_kind:     hidden_global_offset_z
      - .offset:         136
        .size:           2
        .value_kind:     hidden_grid_dims
    .group_segment_fixed_size: 4228
    .kernarg_segment_align: 8
    .kernarg_segment_size: 328
    .language:       OpenCL C
    .language_version:
      - 2
      - 0
    .max_flat_workgroup_size: 1024
    .name:           _ZN4vllm31rms_norm_per_block_quant_kernelIN3c108BFloat16ENS1_13Float8_e4m3fnELb0ELb1ELi64EEEvPT0_PfPKT_S9_PKffiiPS7_l
    .private_segment_fixed_size: 0
    .sgpr_count:     38
    .sgpr_spill_count: 0
    .symbol:         _ZN4vllm31rms_norm_per_block_quant_kernelIN3c108BFloat16ENS1_13Float8_e4m3fnELb0ELb1ELi64EEEvPT0_PfPKT_S9_PKffiiPS7_l.kd
    .uniform_work_group_size: 1
    .uses_dynamic_stack: false
    .vgpr_count:     46
    .vgpr_spill_count: 0
    .wavefront_size: 32
    .workgroup_processor_mode: 1
  - .args:
      - .actual_access:  write_only
        .address_space:  global
        .offset:         0
        .size:           8
        .value_kind:     global_buffer
      - .address_space:  global
        .offset:         8
        .size:           8
        .value_kind:     global_buffer
      - .actual_access:  read_only
        .address_space:  global
        .offset:         16
        .size:           8
        .value_kind:     global_buffer
      - .actual_access:  read_only
        .address_space:  global
        .offset:         24
        .size:           8
        .value_kind:     global_buffer
      - .address_space:  global
        .offset:         32
        .size:           8
        .value_kind:     global_buffer
      - .offset:         40
        .size:           4
        .value_kind:     by_value
      - .offset:         44
        .size:           4
        .value_kind:     by_value
      - .offset:         48
        .size:           4
        .value_kind:     by_value
      - .actual_access:  read_only
        .address_space:  global
        .offset:         56
        .size:           8
        .value_kind:     global_buffer
      - .offset:         64
        .size:           8
        .value_kind:     by_value
      - .offset:         72
        .size:           4
        .value_kind:     hidden_block_count_x
      - .offset:         76
        .size:           4
        .value_kind:     hidden_block_count_y
      - .offset:         80
        .size:           4
        .value_kind:     hidden_block_count_z
      - .offset:         84
        .size:           2
        .value_kind:     hidden_group_size_x
      - .offset:         86
        .size:           2
        .value_kind:     hidden_group_size_y
      - .offset:         88
        .size:           2
        .value_kind:     hidden_group_size_z
      - .offset:         90
        .size:           2
        .value_kind:     hidden_remainder_x
      - .offset:         92
        .size:           2
        .value_kind:     hidden_remainder_y
      - .offset:         94
        .size:           2
        .value_kind:     hidden_remainder_z
      - .offset:         112
        .size:           8
        .value_kind:     hidden_global_offset_x
      - .offset:         120
        .size:           8
        .value_kind:     hidden_global_offset_y
      - .offset:         128
        .size:           8
        .value_kind:     hidden_global_offset_z
      - .offset:         136
        .size:           2
        .value_kind:     hidden_grid_dims
    .group_segment_fixed_size: 4228
    .kernarg_segment_align: 8
    .kernarg_segment_size: 328
    .language:       OpenCL C
    .language_version:
      - 2
      - 0
    .max_flat_workgroup_size: 1024
    .name:           _ZN4vllm31rms_norm_per_block_quant_kernelIN3c108BFloat16ENS1_15Float8_e4m3fnuzELb0ELb1ELi64EEEvPT0_PfPKT_S9_PKffiiPS7_l
    .private_segment_fixed_size: 0
    .sgpr_count:     38
    .sgpr_spill_count: 0
    .symbol:         _ZN4vllm31rms_norm_per_block_quant_kernelIN3c108BFloat16ENS1_15Float8_e4m3fnuzELb0ELb1ELi64EEEvPT0_PfPKT_S9_PKffiiPS7_l.kd
    .uniform_work_group_size: 1
    .uses_dynamic_stack: false
    .vgpr_count:     46
    .vgpr_spill_count: 0
    .wavefront_size: 32
    .workgroup_processor_mode: 1
  - .args:
      - .actual_access:  write_only
        .address_space:  global
        .offset:         0
        .size:           8
        .value_kind:     global_buffer
      - .address_space:  global
        .offset:         8
        .size:           8
        .value_kind:     global_buffer
      - .actual_access:  read_only
        .address_space:  global
        .offset:         16
        .size:           8
        .value_kind:     global_buffer
      - .actual_access:  read_only
        .address_space:  global
        .offset:         24
        .size:           8
        .value_kind:     global_buffer
      - .address_space:  global
        .offset:         32
        .size:           8
        .value_kind:     global_buffer
      - .offset:         40
        .size:           4
        .value_kind:     by_value
      - .offset:         44
        .size:           4
        .value_kind:     by_value
      - .offset:         48
        .size:           4
        .value_kind:     by_value
      - .actual_access:  read_only
        .address_space:  global
        .offset:         56
        .size:           8
        .value_kind:     global_buffer
      - .offset:         64
        .size:           8
        .value_kind:     by_value
      - .offset:         72
        .size:           4
        .value_kind:     hidden_block_count_x
      - .offset:         76
        .size:           4
        .value_kind:     hidden_block_count_y
      - .offset:         80
        .size:           4
        .value_kind:     hidden_block_count_z
      - .offset:         84
        .size:           2
        .value_kind:     hidden_group_size_x
      - .offset:         86
        .size:           2
        .value_kind:     hidden_group_size_y
      - .offset:         88
        .size:           2
        .value_kind:     hidden_group_size_z
      - .offset:         90
        .size:           2
        .value_kind:     hidden_remainder_x
      - .offset:         92
        .size:           2
        .value_kind:     hidden_remainder_y
      - .offset:         94
        .size:           2
        .value_kind:     hidden_remainder_z
      - .offset:         112
        .size:           8
        .value_kind:     hidden_global_offset_x
      - .offset:         120
        .size:           8
        .value_kind:     hidden_global_offset_y
      - .offset:         128
        .size:           8
        .value_kind:     hidden_global_offset_z
      - .offset:         136
        .size:           2
        .value_kind:     hidden_grid_dims
    .group_segment_fixed_size: 4228
    .kernarg_segment_align: 8
    .kernarg_segment_size: 328
    .language:       OpenCL C
    .language_version:
      - 2
      - 0
    .max_flat_workgroup_size: 1024
    .name:           _ZN4vllm31rms_norm_per_block_quant_kernelIN3c108BFloat16EaLb0ELb1ELi64EEEvPT0_PfPKT_S8_PKffiiPS6_l
    .private_segment_fixed_size: 0
    .sgpr_count:     38
    .sgpr_spill_count: 0
    .symbol:         _ZN4vllm31rms_norm_per_block_quant_kernelIN3c108BFloat16EaLb0ELb1ELi64EEEvPT0_PfPKT_S8_PKffiiPS6_l.kd
    .uniform_work_group_size: 1
    .uses_dynamic_stack: false
    .vgpr_count:     46
    .vgpr_spill_count: 0
    .wavefront_size: 32
    .workgroup_processor_mode: 1
  - .args:
      - .actual_access:  write_only
        .address_space:  global
        .offset:         0
        .size:           8
        .value_kind:     global_buffer
      - .address_space:  global
        .offset:         8
        .size:           8
        .value_kind:     global_buffer
      - .actual_access:  read_only
        .address_space:  global
        .offset:         16
        .size:           8
        .value_kind:     global_buffer
      - .actual_access:  read_only
        .address_space:  global
        .offset:         24
        .size:           8
        .value_kind:     global_buffer
      - .address_space:  global
        .offset:         32
        .size:           8
        .value_kind:     global_buffer
      - .offset:         40
        .size:           4
        .value_kind:     by_value
      - .offset:         44
        .size:           4
        .value_kind:     by_value
      - .offset:         48
        .size:           4
        .value_kind:     by_value
      - .actual_access:  read_only
        .address_space:  global
        .offset:         56
        .size:           8
        .value_kind:     global_buffer
      - .offset:         64
        .size:           8
        .value_kind:     by_value
      - .offset:         72
        .size:           4
        .value_kind:     hidden_block_count_x
      - .offset:         76
        .size:           4
        .value_kind:     hidden_block_count_y
      - .offset:         80
        .size:           4
        .value_kind:     hidden_block_count_z
      - .offset:         84
        .size:           2
        .value_kind:     hidden_group_size_x
      - .offset:         86
        .size:           2
        .value_kind:     hidden_group_size_y
      - .offset:         88
        .size:           2
        .value_kind:     hidden_group_size_z
      - .offset:         90
        .size:           2
        .value_kind:     hidden_remainder_x
      - .offset:         92
        .size:           2
        .value_kind:     hidden_remainder_y
      - .offset:         94
        .size:           2
        .value_kind:     hidden_remainder_z
      - .offset:         112
        .size:           8
        .value_kind:     hidden_global_offset_x
      - .offset:         120
        .size:           8
        .value_kind:     hidden_global_offset_y
      - .offset:         128
        .size:           8
        .value_kind:     hidden_global_offset_z
      - .offset:         136
        .size:           2
        .value_kind:     hidden_grid_dims
    .group_segment_fixed_size: 4228
    .kernarg_segment_align: 8
    .kernarg_segment_size: 328
    .language:       OpenCL C
    .language_version:
      - 2
      - 0
    .max_flat_workgroup_size: 1024
    .name:           _ZN4vllm31rms_norm_per_block_quant_kernelIN3c108BFloat16ENS1_13Float8_e4m3fnELb0ELb0ELi64EEEvPT0_PfPKT_S9_PKffiiPS7_l
    .private_segment_fixed_size: 0
    .sgpr_count:     36
    .sgpr_spill_count: 0
    .symbol:         _ZN4vllm31rms_norm_per_block_quant_kernelIN3c108BFloat16ENS1_13Float8_e4m3fnELb0ELb0ELi64EEEvPT0_PfPKT_S9_PKffiiPS7_l.kd
    .uniform_work_group_size: 1
    .uses_dynamic_stack: false
    .vgpr_count:     46
    .vgpr_spill_count: 0
    .wavefront_size: 32
    .workgroup_processor_mode: 1
  - .args:
      - .actual_access:  write_only
        .address_space:  global
        .offset:         0
        .size:           8
        .value_kind:     global_buffer
      - .address_space:  global
        .offset:         8
        .size:           8
        .value_kind:     global_buffer
      - .actual_access:  read_only
        .address_space:  global
        .offset:         16
        .size:           8
        .value_kind:     global_buffer
      - .actual_access:  read_only
        .address_space:  global
        .offset:         24
        .size:           8
        .value_kind:     global_buffer
      - .address_space:  global
        .offset:         32
        .size:           8
        .value_kind:     global_buffer
      - .offset:         40
        .size:           4
        .value_kind:     by_value
      - .offset:         44
        .size:           4
        .value_kind:     by_value
      - .offset:         48
        .size:           4
        .value_kind:     by_value
      - .actual_access:  read_only
        .address_space:  global
        .offset:         56
        .size:           8
        .value_kind:     global_buffer
      - .offset:         64
        .size:           8
        .value_kind:     by_value
      - .offset:         72
        .size:           4
        .value_kind:     hidden_block_count_x
      - .offset:         76
        .size:           4
        .value_kind:     hidden_block_count_y
      - .offset:         80
        .size:           4
        .value_kind:     hidden_block_count_z
      - .offset:         84
        .size:           2
        .value_kind:     hidden_group_size_x
      - .offset:         86
        .size:           2
        .value_kind:     hidden_group_size_y
      - .offset:         88
        .size:           2
        .value_kind:     hidden_group_size_z
      - .offset:         90
        .size:           2
        .value_kind:     hidden_remainder_x
      - .offset:         92
        .size:           2
        .value_kind:     hidden_remainder_y
      - .offset:         94
        .size:           2
        .value_kind:     hidden_remainder_z
      - .offset:         112
        .size:           8
        .value_kind:     hidden_global_offset_x
      - .offset:         120
        .size:           8
        .value_kind:     hidden_global_offset_y
      - .offset:         128
        .size:           8
        .value_kind:     hidden_global_offset_z
      - .offset:         136
        .size:           2
        .value_kind:     hidden_grid_dims
    .group_segment_fixed_size: 4228
    .kernarg_segment_align: 8
    .kernarg_segment_size: 328
    .language:       OpenCL C
    .language_version:
      - 2
      - 0
    .max_flat_workgroup_size: 1024
    .name:           _ZN4vllm31rms_norm_per_block_quant_kernelIN3c108BFloat16ENS1_15Float8_e4m3fnuzELb0ELb0ELi64EEEvPT0_PfPKT_S9_PKffiiPS7_l
    .private_segment_fixed_size: 0
    .sgpr_count:     36
    .sgpr_spill_count: 0
    .symbol:         _ZN4vllm31rms_norm_per_block_quant_kernelIN3c108BFloat16ENS1_15Float8_e4m3fnuzELb0ELb0ELi64EEEvPT0_PfPKT_S9_PKffiiPS7_l.kd
    .uniform_work_group_size: 1
    .uses_dynamic_stack: false
    .vgpr_count:     46
    .vgpr_spill_count: 0
    .wavefront_size: 32
    .workgroup_processor_mode: 1
  - .args:
      - .actual_access:  write_only
        .address_space:  global
        .offset:         0
        .size:           8
        .value_kind:     global_buffer
      - .address_space:  global
        .offset:         8
        .size:           8
        .value_kind:     global_buffer
      - .actual_access:  read_only
        .address_space:  global
        .offset:         16
        .size:           8
        .value_kind:     global_buffer
      - .actual_access:  read_only
        .address_space:  global
        .offset:         24
        .size:           8
        .value_kind:     global_buffer
      - .address_space:  global
        .offset:         32
        .size:           8
        .value_kind:     global_buffer
      - .offset:         40
        .size:           4
        .value_kind:     by_value
      - .offset:         44
        .size:           4
        .value_kind:     by_value
      - .offset:         48
        .size:           4
        .value_kind:     by_value
      - .actual_access:  read_only
        .address_space:  global
        .offset:         56
        .size:           8
        .value_kind:     global_buffer
      - .offset:         64
        .size:           8
        .value_kind:     by_value
      - .offset:         72
        .size:           4
        .value_kind:     hidden_block_count_x
      - .offset:         76
        .size:           4
        .value_kind:     hidden_block_count_y
      - .offset:         80
        .size:           4
        .value_kind:     hidden_block_count_z
      - .offset:         84
        .size:           2
        .value_kind:     hidden_group_size_x
      - .offset:         86
        .size:           2
        .value_kind:     hidden_group_size_y
      - .offset:         88
        .size:           2
        .value_kind:     hidden_group_size_z
      - .offset:         90
        .size:           2
        .value_kind:     hidden_remainder_x
      - .offset:         92
        .size:           2
        .value_kind:     hidden_remainder_y
      - .offset:         94
        .size:           2
        .value_kind:     hidden_remainder_z
      - .offset:         112
        .size:           8
        .value_kind:     hidden_global_offset_x
      - .offset:         120
        .size:           8
        .value_kind:     hidden_global_offset_y
      - .offset:         128
        .size:           8
        .value_kind:     hidden_global_offset_z
      - .offset:         136
        .size:           2
        .value_kind:     hidden_grid_dims
    .group_segment_fixed_size: 4228
    .kernarg_segment_align: 8
    .kernarg_segment_size: 328
    .language:       OpenCL C
    .language_version:
      - 2
      - 0
    .max_flat_workgroup_size: 1024
    .name:           _ZN4vllm31rms_norm_per_block_quant_kernelIN3c108BFloat16EaLb0ELb0ELi64EEEvPT0_PfPKT_S8_PKffiiPS6_l
    .private_segment_fixed_size: 0
    .sgpr_count:     36
    .sgpr_spill_count: 0
    .symbol:         _ZN4vllm31rms_norm_per_block_quant_kernelIN3c108BFloat16EaLb0ELb0ELi64EEEvPT0_PfPKT_S8_PKffiiPS6_l.kd
    .uniform_work_group_size: 1
    .uses_dynamic_stack: false
    .vgpr_count:     46
    .vgpr_spill_count: 0
    .wavefront_size: 32
    .workgroup_processor_mode: 1
amdhsa.target:   amdgcn-amd-amdhsa--gfx1100
amdhsa.version:
  - 1
  - 2
...

	.end_amdgpu_metadata
